;; amdgpu-corpus repo=ROCm/hipCUB kind=compiled arch=gfx1250 opt=O3
	.amdgcn_target "amdgcn-amd-amdhsa--gfx1250"
	.amdhsa_code_object_version 6
	.section	.text._Z6kernelI13subtract_leftLj256ELj1ELb0EJPiS1_jEEvDpT3_,"axG",@progbits,_Z6kernelI13subtract_leftLj256ELj1ELb0EJPiS1_jEEvDpT3_,comdat
	.protected	_Z6kernelI13subtract_leftLj256ELj1ELb0EJPiS1_jEEvDpT3_ ; -- Begin function _Z6kernelI13subtract_leftLj256ELj1ELb0EJPiS1_jEEvDpT3_
	.globl	_Z6kernelI13subtract_leftLj256ELj1ELb0EJPiS1_jEEvDpT3_
	.p2align	8
	.type	_Z6kernelI13subtract_leftLj256ELj1ELb0EJPiS1_jEEvDpT3_,@function
_Z6kernelI13subtract_leftLj256ELj1ELb0EJPiS1_jEEvDpT3_: ; @_Z6kernelI13subtract_leftLj256ELj1ELb0EJPiS1_jEEvDpT3_
; %bb.0:
	s_load_b128 s[4:7], s[0:1], 0x0
	s_bfe_u32 s2, ttmp6, 0x4000c
	s_and_b32 s3, ttmp6, 15
	s_add_co_i32 s2, s2, 1
	s_getreg_b32 s8, hwreg(HW_REG_IB_STS2, 6, 4)
	s_mul_i32 s2, ttmp9, s2
	s_wait_xcnt 0x0
	s_load_b32 s0, s[0:1], 0x10
	s_add_co_i32 s3, s3, s2
	s_cmp_eq_u32 s8, 0
	s_cselect_b32 s2, ttmp9, s3
	s_mov_b32 s3, 0
	s_lshl_b32 s2, s2, 8
	s_delay_alu instid0(SALU_CYCLE_1)
	s_lshl_b64 s[2:3], s[2:3], 2
	s_wait_kmcnt 0x0
	s_add_nc_u64 s[4:5], s[4:5], s[2:3]
	global_load_b32 v1, v0, s[4:5] scale_offset
	s_cmp_eq_u32 s0, 0
	s_cbranch_scc1 .LBB0_5
; %bb.1:
	v_lshlrev_b32_e32 v2, 2, v0
	v_cmp_ne_u32_e32 vcc_lo, 0, v0
	s_delay_alu instid0(VALU_DEP_2)
	v_add_nc_u32_e32 v3, -4, v2
	s_branch .LBB0_3
.LBB0_2:                                ;   in Loop: Header=BB0_3 Depth=1
	s_or_b32 exec_lo, exec_lo, s1
	s_delay_alu instid0(VALU_DEP_1) | instskip(SKIP_1) | instid1(SALU_CYCLE_1)
	v_add_nc_u32_e32 v1, v4, v1
	s_add_co_i32 s0, s0, -1
	s_cmp_lg_u32 s0, 0
	s_barrier_signal -1
	s_barrier_wait -1
	s_cbranch_scc0 .LBB0_5
.LBB0_3:                                ; =>This Inner Loop Header: Depth=1
	s_wait_loadcnt 0x0
	v_mov_b32_e32 v4, v1
	ds_store_b32 v2, v1
	s_wait_dscnt 0x0
	s_barrier_signal -1
	s_barrier_wait -1
	s_and_saveexec_b32 s1, vcc_lo
	s_cbranch_execz .LBB0_2
; %bb.4:                                ;   in Loop: Header=BB0_3 Depth=1
	ds_load_b32 v4, v3
	s_wait_dscnt 0x0
	v_sub_nc_u32_e32 v4, v1, v4
	s_branch .LBB0_2
.LBB0_5:
	s_add_nc_u64 s[0:1], s[6:7], s[2:3]
	s_wait_loadcnt 0x0
	global_store_b32 v0, v1, s[0:1] scale_offset
	s_endpgm
	.section	.rodata,"a",@progbits
	.p2align	6, 0x0
	.amdhsa_kernel _Z6kernelI13subtract_leftLj256ELj1ELb0EJPiS1_jEEvDpT3_
		.amdhsa_group_segment_fixed_size 2048
		.amdhsa_private_segment_fixed_size 0
		.amdhsa_kernarg_size 20
		.amdhsa_user_sgpr_count 2
		.amdhsa_user_sgpr_dispatch_ptr 0
		.amdhsa_user_sgpr_queue_ptr 0
		.amdhsa_user_sgpr_kernarg_segment_ptr 1
		.amdhsa_user_sgpr_dispatch_id 0
		.amdhsa_user_sgpr_kernarg_preload_length 0
		.amdhsa_user_sgpr_kernarg_preload_offset 0
		.amdhsa_user_sgpr_private_segment_size 0
		.amdhsa_wavefront_size32 1
		.amdhsa_uses_dynamic_stack 0
		.amdhsa_enable_private_segment 0
		.amdhsa_system_sgpr_workgroup_id_x 1
		.amdhsa_system_sgpr_workgroup_id_y 0
		.amdhsa_system_sgpr_workgroup_id_z 0
		.amdhsa_system_sgpr_workgroup_info 0
		.amdhsa_system_vgpr_workitem_id 0
		.amdhsa_next_free_vgpr 5
		.amdhsa_next_free_sgpr 9
		.amdhsa_named_barrier_count 0
		.amdhsa_reserve_vcc 1
		.amdhsa_float_round_mode_32 0
		.amdhsa_float_round_mode_16_64 0
		.amdhsa_float_denorm_mode_32 3
		.amdhsa_float_denorm_mode_16_64 3
		.amdhsa_fp16_overflow 0
		.amdhsa_memory_ordered 1
		.amdhsa_forward_progress 1
		.amdhsa_inst_pref_size 2
		.amdhsa_round_robin_scheduling 0
		.amdhsa_exception_fp_ieee_invalid_op 0
		.amdhsa_exception_fp_denorm_src 0
		.amdhsa_exception_fp_ieee_div_zero 0
		.amdhsa_exception_fp_ieee_overflow 0
		.amdhsa_exception_fp_ieee_underflow 0
		.amdhsa_exception_fp_ieee_inexact 0
		.amdhsa_exception_int_div_zero 0
	.end_amdhsa_kernel
	.section	.text._Z6kernelI13subtract_leftLj256ELj1ELb0EJPiS1_jEEvDpT3_,"axG",@progbits,_Z6kernelI13subtract_leftLj256ELj1ELb0EJPiS1_jEEvDpT3_,comdat
.Lfunc_end0:
	.size	_Z6kernelI13subtract_leftLj256ELj1ELb0EJPiS1_jEEvDpT3_, .Lfunc_end0-_Z6kernelI13subtract_leftLj256ELj1ELb0EJPiS1_jEEvDpT3_
                                        ; -- End function
	.set _Z6kernelI13subtract_leftLj256ELj1ELb0EJPiS1_jEEvDpT3_.num_vgpr, 5
	.set _Z6kernelI13subtract_leftLj256ELj1ELb0EJPiS1_jEEvDpT3_.num_agpr, 0
	.set _Z6kernelI13subtract_leftLj256ELj1ELb0EJPiS1_jEEvDpT3_.numbered_sgpr, 9
	.set _Z6kernelI13subtract_leftLj256ELj1ELb0EJPiS1_jEEvDpT3_.num_named_barrier, 0
	.set _Z6kernelI13subtract_leftLj256ELj1ELb0EJPiS1_jEEvDpT3_.private_seg_size, 0
	.set _Z6kernelI13subtract_leftLj256ELj1ELb0EJPiS1_jEEvDpT3_.uses_vcc, 1
	.set _Z6kernelI13subtract_leftLj256ELj1ELb0EJPiS1_jEEvDpT3_.uses_flat_scratch, 0
	.set _Z6kernelI13subtract_leftLj256ELj1ELb0EJPiS1_jEEvDpT3_.has_dyn_sized_stack, 0
	.set _Z6kernelI13subtract_leftLj256ELj1ELb0EJPiS1_jEEvDpT3_.has_recursion, 0
	.set _Z6kernelI13subtract_leftLj256ELj1ELb0EJPiS1_jEEvDpT3_.has_indirect_call, 0
	.section	.AMDGPU.csdata,"",@progbits
; Kernel info:
; codeLenInByte = 232
; TotalNumSgprs: 11
; NumVgprs: 5
; ScratchSize: 0
; MemoryBound: 0
; FloatMode: 240
; IeeeMode: 1
; LDSByteSize: 2048 bytes/workgroup (compile time only)
; SGPRBlocks: 0
; VGPRBlocks: 0
; NumSGPRsForWavesPerEU: 11
; NumVGPRsForWavesPerEU: 5
; NamedBarCnt: 0
; Occupancy: 16
; WaveLimiterHint : 0
; COMPUTE_PGM_RSRC2:SCRATCH_EN: 0
; COMPUTE_PGM_RSRC2:USER_SGPR: 2
; COMPUTE_PGM_RSRC2:TRAP_HANDLER: 0
; COMPUTE_PGM_RSRC2:TGID_X_EN: 1
; COMPUTE_PGM_RSRC2:TGID_Y_EN: 0
; COMPUTE_PGM_RSRC2:TGID_Z_EN: 0
; COMPUTE_PGM_RSRC2:TIDIG_COMP_CNT: 0
	.section	.text._Z6kernelI13subtract_leftLj256ELj3ELb0EJPiS1_jEEvDpT3_,"axG",@progbits,_Z6kernelI13subtract_leftLj256ELj3ELb0EJPiS1_jEEvDpT3_,comdat
	.protected	_Z6kernelI13subtract_leftLj256ELj3ELb0EJPiS1_jEEvDpT3_ ; -- Begin function _Z6kernelI13subtract_leftLj256ELj3ELb0EJPiS1_jEEvDpT3_
	.globl	_Z6kernelI13subtract_leftLj256ELj3ELb0EJPiS1_jEEvDpT3_
	.p2align	8
	.type	_Z6kernelI13subtract_leftLj256ELj3ELb0EJPiS1_jEEvDpT3_,@function
_Z6kernelI13subtract_leftLj256ELj3ELb0EJPiS1_jEEvDpT3_: ; @_Z6kernelI13subtract_leftLj256ELj3ELb0EJPiS1_jEEvDpT3_
; %bb.0:
	s_load_b128 s[4:7], s[0:1], 0x0
	s_bfe_u32 s2, ttmp6, 0x4000c
	s_and_b32 s3, ttmp6, 15
	s_add_co_i32 s2, s2, 1
	s_getreg_b32 s8, hwreg(HW_REG_IB_STS2, 6, 4)
	s_mul_i32 s2, ttmp9, s2
	s_wait_xcnt 0x0
	s_load_b32 s0, s[0:1], 0x10
	s_add_co_i32 s3, s3, s2
	s_cmp_eq_u32 s8, 0
	s_cselect_b32 s2, ttmp9, s3
	s_mov_b32 s3, 0
	s_mulk_i32 s2, 0x300
	s_delay_alu instid0(SALU_CYCLE_1)
	s_lshl_b64 s[2:3], s[2:3], 2
	s_wait_kmcnt 0x0
	s_add_nc_u64 s[4:5], s[4:5], s[2:3]
	s_clause 0x2
	global_load_b32 v3, v0, s[4:5] scale_offset
	global_load_b32 v2, v0, s[4:5] offset:1024 scale_offset
	global_load_b32 v1, v0, s[4:5] offset:2048 scale_offset
	s_cmp_eq_u32 s0, 0
	s_cbranch_scc1 .LBB1_5
; %bb.1:
	v_lshlrev_b32_e32 v4, 2, v0
	v_cmp_ne_u32_e32 vcc_lo, 0, v0
	s_delay_alu instid0(VALU_DEP_2)
	v_add_nc_u32_e32 v5, -4, v4
	s_branch .LBB1_3
.LBB1_2:                                ;   in Loop: Header=BB1_3 Depth=1
	s_or_b32 exec_lo, exec_lo, s1
	v_dual_sub_nc_u32 v7, v2, v3 :: v_dual_sub_nc_u32 v8, v1, v2
	s_delay_alu instid0(VALU_DEP_2) | instskip(SKIP_1) | instid1(VALU_DEP_2)
	v_add_nc_u32_e32 v3, v6, v3
	s_add_co_i32 s0, s0, -1
	v_dual_add_nc_u32 v2, v7, v2 :: v_dual_add_nc_u32 v1, v8, v1
	s_cmp_lg_u32 s0, 0
	s_barrier_signal -1
	s_barrier_wait -1
	s_cbranch_scc0 .LBB1_5
.LBB1_3:                                ; =>This Inner Loop Header: Depth=1
	s_wait_loadcnt 0x2
	v_mov_b32_e32 v6, v3
	s_wait_loadcnt 0x0
	ds_store_b32 v4, v1
	s_wait_dscnt 0x0
	s_barrier_signal -1
	s_barrier_wait -1
	s_and_saveexec_b32 s1, vcc_lo
	s_cbranch_execz .LBB1_2
; %bb.4:                                ;   in Loop: Header=BB1_3 Depth=1
	ds_load_b32 v6, v5
	s_wait_dscnt 0x0
	v_sub_nc_u32_e32 v6, v3, v6
	s_branch .LBB1_2
.LBB1_5:
	s_add_nc_u64 s[0:1], s[6:7], s[2:3]
	s_wait_loadcnt 0x2
	global_store_b32 v0, v3, s[0:1] scale_offset
	s_wait_loadcnt 0x1
	global_store_b32 v0, v2, s[0:1] offset:1024 scale_offset
	s_wait_loadcnt 0x0
	global_store_b32 v0, v1, s[0:1] offset:2048 scale_offset
	s_endpgm
	.section	.rodata,"a",@progbits
	.p2align	6, 0x0
	.amdhsa_kernel _Z6kernelI13subtract_leftLj256ELj3ELb0EJPiS1_jEEvDpT3_
		.amdhsa_group_segment_fixed_size 2048
		.amdhsa_private_segment_fixed_size 0
		.amdhsa_kernarg_size 20
		.amdhsa_user_sgpr_count 2
		.amdhsa_user_sgpr_dispatch_ptr 0
		.amdhsa_user_sgpr_queue_ptr 0
		.amdhsa_user_sgpr_kernarg_segment_ptr 1
		.amdhsa_user_sgpr_dispatch_id 0
		.amdhsa_user_sgpr_kernarg_preload_length 0
		.amdhsa_user_sgpr_kernarg_preload_offset 0
		.amdhsa_user_sgpr_private_segment_size 0
		.amdhsa_wavefront_size32 1
		.amdhsa_uses_dynamic_stack 0
		.amdhsa_enable_private_segment 0
		.amdhsa_system_sgpr_workgroup_id_x 1
		.amdhsa_system_sgpr_workgroup_id_y 0
		.amdhsa_system_sgpr_workgroup_id_z 0
		.amdhsa_system_sgpr_workgroup_info 0
		.amdhsa_system_vgpr_workitem_id 0
		.amdhsa_next_free_vgpr 9
		.amdhsa_next_free_sgpr 9
		.amdhsa_named_barrier_count 0
		.amdhsa_reserve_vcc 1
		.amdhsa_float_round_mode_32 0
		.amdhsa_float_round_mode_16_64 0
		.amdhsa_float_denorm_mode_32 3
		.amdhsa_float_denorm_mode_16_64 3
		.amdhsa_fp16_overflow 0
		.amdhsa_memory_ordered 1
		.amdhsa_forward_progress 1
		.amdhsa_inst_pref_size 3
		.amdhsa_round_robin_scheduling 0
		.amdhsa_exception_fp_ieee_invalid_op 0
		.amdhsa_exception_fp_denorm_src 0
		.amdhsa_exception_fp_ieee_div_zero 0
		.amdhsa_exception_fp_ieee_overflow 0
		.amdhsa_exception_fp_ieee_underflow 0
		.amdhsa_exception_fp_ieee_inexact 0
		.amdhsa_exception_int_div_zero 0
	.end_amdhsa_kernel
	.section	.text._Z6kernelI13subtract_leftLj256ELj3ELb0EJPiS1_jEEvDpT3_,"axG",@progbits,_Z6kernelI13subtract_leftLj256ELj3ELb0EJPiS1_jEEvDpT3_,comdat
.Lfunc_end1:
	.size	_Z6kernelI13subtract_leftLj256ELj3ELb0EJPiS1_jEEvDpT3_, .Lfunc_end1-_Z6kernelI13subtract_leftLj256ELj3ELb0EJPiS1_jEEvDpT3_
                                        ; -- End function
	.set _Z6kernelI13subtract_leftLj256ELj3ELb0EJPiS1_jEEvDpT3_.num_vgpr, 9
	.set _Z6kernelI13subtract_leftLj256ELj3ELb0EJPiS1_jEEvDpT3_.num_agpr, 0
	.set _Z6kernelI13subtract_leftLj256ELj3ELb0EJPiS1_jEEvDpT3_.numbered_sgpr, 9
	.set _Z6kernelI13subtract_leftLj256ELj3ELb0EJPiS1_jEEvDpT3_.num_named_barrier, 0
	.set _Z6kernelI13subtract_leftLj256ELj3ELb0EJPiS1_jEEvDpT3_.private_seg_size, 0
	.set _Z6kernelI13subtract_leftLj256ELj3ELb0EJPiS1_jEEvDpT3_.uses_vcc, 1
	.set _Z6kernelI13subtract_leftLj256ELj3ELb0EJPiS1_jEEvDpT3_.uses_flat_scratch, 0
	.set _Z6kernelI13subtract_leftLj256ELj3ELb0EJPiS1_jEEvDpT3_.has_dyn_sized_stack, 0
	.set _Z6kernelI13subtract_leftLj256ELj3ELb0EJPiS1_jEEvDpT3_.has_recursion, 0
	.set _Z6kernelI13subtract_leftLj256ELj3ELb0EJPiS1_jEEvDpT3_.has_indirect_call, 0
	.section	.AMDGPU.csdata,"",@progbits
; Kernel info:
; codeLenInByte = 320
; TotalNumSgprs: 11
; NumVgprs: 9
; ScratchSize: 0
; MemoryBound: 0
; FloatMode: 240
; IeeeMode: 1
; LDSByteSize: 2048 bytes/workgroup (compile time only)
; SGPRBlocks: 0
; VGPRBlocks: 0
; NumSGPRsForWavesPerEU: 11
; NumVGPRsForWavesPerEU: 9
; NamedBarCnt: 0
; Occupancy: 16
; WaveLimiterHint : 1
; COMPUTE_PGM_RSRC2:SCRATCH_EN: 0
; COMPUTE_PGM_RSRC2:USER_SGPR: 2
; COMPUTE_PGM_RSRC2:TRAP_HANDLER: 0
; COMPUTE_PGM_RSRC2:TGID_X_EN: 1
; COMPUTE_PGM_RSRC2:TGID_Y_EN: 0
; COMPUTE_PGM_RSRC2:TGID_Z_EN: 0
; COMPUTE_PGM_RSRC2:TIDIG_COMP_CNT: 0
	.section	.text._Z6kernelI13subtract_leftLj256ELj4ELb0EJPiS1_jEEvDpT3_,"axG",@progbits,_Z6kernelI13subtract_leftLj256ELj4ELb0EJPiS1_jEEvDpT3_,comdat
	.protected	_Z6kernelI13subtract_leftLj256ELj4ELb0EJPiS1_jEEvDpT3_ ; -- Begin function _Z6kernelI13subtract_leftLj256ELj4ELb0EJPiS1_jEEvDpT3_
	.globl	_Z6kernelI13subtract_leftLj256ELj4ELb0EJPiS1_jEEvDpT3_
	.p2align	8
	.type	_Z6kernelI13subtract_leftLj256ELj4ELb0EJPiS1_jEEvDpT3_,@function
_Z6kernelI13subtract_leftLj256ELj4ELb0EJPiS1_jEEvDpT3_: ; @_Z6kernelI13subtract_leftLj256ELj4ELb0EJPiS1_jEEvDpT3_
; %bb.0:
	s_load_b128 s[4:7], s[0:1], 0x0
	s_bfe_u32 s2, ttmp6, 0x4000c
	s_and_b32 s3, ttmp6, 15
	s_add_co_i32 s2, s2, 1
	s_getreg_b32 s8, hwreg(HW_REG_IB_STS2, 6, 4)
	s_mul_i32 s2, ttmp9, s2
	s_wait_xcnt 0x0
	s_load_b32 s0, s[0:1], 0x10
	s_add_co_i32 s3, s3, s2
	s_cmp_eq_u32 s8, 0
	s_cselect_b32 s2, ttmp9, s3
	s_mov_b32 s3, 0
	s_lshl_b32 s2, s2, 10
	s_delay_alu instid0(SALU_CYCLE_1)
	s_lshl_b64 s[2:3], s[2:3], 2
	s_wait_kmcnt 0x0
	s_add_nc_u64 s[4:5], s[4:5], s[2:3]
	s_clause 0x3
	global_load_b32 v4, v0, s[4:5] scale_offset
	global_load_b32 v3, v0, s[4:5] offset:1024 scale_offset
	global_load_b32 v2, v0, s[4:5] offset:2048 scale_offset
	;; [unrolled: 1-line block ×3, first 2 shown]
	s_cmp_eq_u32 s0, 0
	s_cbranch_scc1 .LBB2_5
; %bb.1:
	v_lshlrev_b32_e32 v5, 2, v0
	v_cmp_ne_u32_e32 vcc_lo, 0, v0
	s_delay_alu instid0(VALU_DEP_2)
	v_add_nc_u32_e32 v6, -4, v5
	s_branch .LBB2_3
.LBB2_2:                                ;   in Loop: Header=BB2_3 Depth=1
	s_or_b32 exec_lo, exec_lo, s1
	v_dual_sub_nc_u32 v8, v3, v4 :: v_dual_sub_nc_u32 v9, v2, v3
	s_delay_alu instid0(VALU_DEP_2) | instskip(SKIP_1) | instid1(VALU_DEP_2)
	v_dual_sub_nc_u32 v10, v1, v2 :: v_dual_add_nc_u32 v4, v7, v4
	s_add_co_i32 s0, s0, -1
	v_dual_add_nc_u32 v3, v8, v3 :: v_dual_add_nc_u32 v2, v9, v2
	s_delay_alu instid0(VALU_DEP_2)
	v_add_nc_u32_e32 v1, v10, v1
	s_cmp_lg_u32 s0, 0
	s_barrier_signal -1
	s_barrier_wait -1
	s_cbranch_scc0 .LBB2_5
.LBB2_3:                                ; =>This Inner Loop Header: Depth=1
	s_wait_loadcnt 0x3
	v_mov_b32_e32 v7, v4
	s_wait_loadcnt 0x0
	ds_store_b32 v5, v1
	s_wait_dscnt 0x0
	s_barrier_signal -1
	s_barrier_wait -1
	s_and_saveexec_b32 s1, vcc_lo
	s_cbranch_execz .LBB2_2
; %bb.4:                                ;   in Loop: Header=BB2_3 Depth=1
	ds_load_b32 v7, v6
	s_wait_dscnt 0x0
	v_sub_nc_u32_e32 v7, v4, v7
	s_branch .LBB2_2
.LBB2_5:
	s_add_nc_u64 s[0:1], s[6:7], s[2:3]
	s_wait_loadcnt 0x3
	global_store_b32 v0, v4, s[0:1] scale_offset
	s_wait_loadcnt 0x2
	global_store_b32 v0, v3, s[0:1] offset:1024 scale_offset
	s_wait_loadcnt 0x1
	global_store_b32 v0, v2, s[0:1] offset:2048 scale_offset
	;; [unrolled: 2-line block ×3, first 2 shown]
	s_endpgm
	.section	.rodata,"a",@progbits
	.p2align	6, 0x0
	.amdhsa_kernel _Z6kernelI13subtract_leftLj256ELj4ELb0EJPiS1_jEEvDpT3_
		.amdhsa_group_segment_fixed_size 2048
		.amdhsa_private_segment_fixed_size 0
		.amdhsa_kernarg_size 20
		.amdhsa_user_sgpr_count 2
		.amdhsa_user_sgpr_dispatch_ptr 0
		.amdhsa_user_sgpr_queue_ptr 0
		.amdhsa_user_sgpr_kernarg_segment_ptr 1
		.amdhsa_user_sgpr_dispatch_id 0
		.amdhsa_user_sgpr_kernarg_preload_length 0
		.amdhsa_user_sgpr_kernarg_preload_offset 0
		.amdhsa_user_sgpr_private_segment_size 0
		.amdhsa_wavefront_size32 1
		.amdhsa_uses_dynamic_stack 0
		.amdhsa_enable_private_segment 0
		.amdhsa_system_sgpr_workgroup_id_x 1
		.amdhsa_system_sgpr_workgroup_id_y 0
		.amdhsa_system_sgpr_workgroup_id_z 0
		.amdhsa_system_sgpr_workgroup_info 0
		.amdhsa_system_vgpr_workitem_id 0
		.amdhsa_next_free_vgpr 11
		.amdhsa_next_free_sgpr 9
		.amdhsa_named_barrier_count 0
		.amdhsa_reserve_vcc 1
		.amdhsa_float_round_mode_32 0
		.amdhsa_float_round_mode_16_64 0
		.amdhsa_float_denorm_mode_32 3
		.amdhsa_float_denorm_mode_16_64 3
		.amdhsa_fp16_overflow 0
		.amdhsa_memory_ordered 1
		.amdhsa_forward_progress 1
		.amdhsa_inst_pref_size 3
		.amdhsa_round_robin_scheduling 0
		.amdhsa_exception_fp_ieee_invalid_op 0
		.amdhsa_exception_fp_denorm_src 0
		.amdhsa_exception_fp_ieee_div_zero 0
		.amdhsa_exception_fp_ieee_overflow 0
		.amdhsa_exception_fp_ieee_underflow 0
		.amdhsa_exception_fp_ieee_inexact 0
		.amdhsa_exception_int_div_zero 0
	.end_amdhsa_kernel
	.section	.text._Z6kernelI13subtract_leftLj256ELj4ELb0EJPiS1_jEEvDpT3_,"axG",@progbits,_Z6kernelI13subtract_leftLj256ELj4ELb0EJPiS1_jEEvDpT3_,comdat
.Lfunc_end2:
	.size	_Z6kernelI13subtract_leftLj256ELj4ELb0EJPiS1_jEEvDpT3_, .Lfunc_end2-_Z6kernelI13subtract_leftLj256ELj4ELb0EJPiS1_jEEvDpT3_
                                        ; -- End function
	.set _Z6kernelI13subtract_leftLj256ELj4ELb0EJPiS1_jEEvDpT3_.num_vgpr, 11
	.set _Z6kernelI13subtract_leftLj256ELj4ELb0EJPiS1_jEEvDpT3_.num_agpr, 0
	.set _Z6kernelI13subtract_leftLj256ELj4ELb0EJPiS1_jEEvDpT3_.numbered_sgpr, 9
	.set _Z6kernelI13subtract_leftLj256ELj4ELb0EJPiS1_jEEvDpT3_.num_named_barrier, 0
	.set _Z6kernelI13subtract_leftLj256ELj4ELb0EJPiS1_jEEvDpT3_.private_seg_size, 0
	.set _Z6kernelI13subtract_leftLj256ELj4ELb0EJPiS1_jEEvDpT3_.uses_vcc, 1
	.set _Z6kernelI13subtract_leftLj256ELj4ELb0EJPiS1_jEEvDpT3_.uses_flat_scratch, 0
	.set _Z6kernelI13subtract_leftLj256ELj4ELb0EJPiS1_jEEvDpT3_.has_dyn_sized_stack, 0
	.set _Z6kernelI13subtract_leftLj256ELj4ELb0EJPiS1_jEEvDpT3_.has_recursion, 0
	.set _Z6kernelI13subtract_leftLj256ELj4ELb0EJPiS1_jEEvDpT3_.has_indirect_call, 0
	.section	.AMDGPU.csdata,"",@progbits
; Kernel info:
; codeLenInByte = 364
; TotalNumSgprs: 11
; NumVgprs: 11
; ScratchSize: 0
; MemoryBound: 0
; FloatMode: 240
; IeeeMode: 1
; LDSByteSize: 2048 bytes/workgroup (compile time only)
; SGPRBlocks: 0
; VGPRBlocks: 0
; NumSGPRsForWavesPerEU: 11
; NumVGPRsForWavesPerEU: 11
; NamedBarCnt: 0
; Occupancy: 16
; WaveLimiterHint : 1
; COMPUTE_PGM_RSRC2:SCRATCH_EN: 0
; COMPUTE_PGM_RSRC2:USER_SGPR: 2
; COMPUTE_PGM_RSRC2:TRAP_HANDLER: 0
; COMPUTE_PGM_RSRC2:TGID_X_EN: 1
; COMPUTE_PGM_RSRC2:TGID_Y_EN: 0
; COMPUTE_PGM_RSRC2:TGID_Z_EN: 0
; COMPUTE_PGM_RSRC2:TIDIG_COMP_CNT: 0
	.section	.text._Z6kernelI13subtract_leftLj256ELj8ELb0EJPiS1_jEEvDpT3_,"axG",@progbits,_Z6kernelI13subtract_leftLj256ELj8ELb0EJPiS1_jEEvDpT3_,comdat
	.protected	_Z6kernelI13subtract_leftLj256ELj8ELb0EJPiS1_jEEvDpT3_ ; -- Begin function _Z6kernelI13subtract_leftLj256ELj8ELb0EJPiS1_jEEvDpT3_
	.globl	_Z6kernelI13subtract_leftLj256ELj8ELb0EJPiS1_jEEvDpT3_
	.p2align	8
	.type	_Z6kernelI13subtract_leftLj256ELj8ELb0EJPiS1_jEEvDpT3_,@function
_Z6kernelI13subtract_leftLj256ELj8ELb0EJPiS1_jEEvDpT3_: ; @_Z6kernelI13subtract_leftLj256ELj8ELb0EJPiS1_jEEvDpT3_
; %bb.0:
	s_load_b128 s[4:7], s[0:1], 0x0
	s_bfe_u32 s2, ttmp6, 0x4000c
	s_and_b32 s3, ttmp6, 15
	s_add_co_i32 s2, s2, 1
	s_getreg_b32 s8, hwreg(HW_REG_IB_STS2, 6, 4)
	s_mul_i32 s2, ttmp9, s2
	s_wait_xcnt 0x0
	s_load_b32 s0, s[0:1], 0x10
	s_add_co_i32 s3, s3, s2
	s_cmp_eq_u32 s8, 0
	s_cselect_b32 s2, ttmp9, s3
	s_mov_b32 s3, 0
	s_lshl_b32 s2, s2, 11
	s_delay_alu instid0(SALU_CYCLE_1)
	s_lshl_b64 s[2:3], s[2:3], 2
	s_wait_kmcnt 0x0
	s_add_nc_u64 s[4:5], s[4:5], s[2:3]
	s_clause 0x7
	global_load_b32 v6, v0, s[4:5] scale_offset
	global_load_b32 v8, v0, s[4:5] offset:1024 scale_offset
	global_load_b32 v3, v0, s[4:5] offset:2048 scale_offset
	;; [unrolled: 1-line block ×7, first 2 shown]
	s_cmp_eq_u32 s0, 0
	s_cbranch_scc1 .LBB3_6
; %bb.1:
	v_lshlrev_b32_e32 v2, 2, v0
	v_cmp_ne_u32_e32 vcc_lo, 0, v0
	s_delay_alu instid0(VALU_DEP_2)
	v_add_nc_u32_e32 v4, -4, v2
.LBB3_2:                                ; =>This Inner Loop Header: Depth=1
	s_wait_loadcnt 0x7
	v_mov_b32_e32 v11, v6
	s_wait_loadcnt 0x0
	ds_store_b32 v2, v1
	s_wait_dscnt 0x0
	s_barrier_signal -1
	s_barrier_wait -1
	s_and_saveexec_b32 s1, vcc_lo
	s_cbranch_execz .LBB3_4
; %bb.3:                                ;   in Loop: Header=BB3_2 Depth=1
	ds_load_b32 v11, v4
	s_wait_dscnt 0x0
	v_sub_nc_u32_e32 v11, v6, v11
.LBB3_4:                                ;   in Loop: Header=BB3_2 Depth=1
	s_or_b32 exec_lo, exec_lo, s1
	v_dual_lshlrev_b32 v12, 1, v8 :: v_dual_lshlrev_b32 v13, 1, v3
	s_delay_alu instid0(VALU_DEP_2) | instskip(SKIP_1) | instid1(VALU_DEP_3)
	v_dual_add_nc_u32 v15, v11, v6 :: v_dual_lshlrev_b32 v11, 1, v5
	v_dual_lshlrev_b32 v18, 1, v10 :: v_dual_lshlrev_b32 v1, 1, v1
	v_dual_sub_nc_u32 v14, v12, v6 :: v_dual_sub_nc_u32 v12, v13, v8
	v_dual_lshlrev_b32 v6, 1, v7 :: v_dual_lshlrev_b32 v8, 1, v9
	s_delay_alu instid0(VALU_DEP_3) | instskip(NEXT) | instid1(VALU_DEP_2)
	v_dual_sub_nc_u32 v17, v11, v3 :: v_dual_sub_nc_u32 v11, v18, v9
	v_dual_sub_nc_u32 v1, v1, v10 :: v_dual_sub_nc_u32 v16, v6, v5
	s_delay_alu instid0(VALU_DEP_3) | instskip(SKIP_1) | instid1(SALU_CYCLE_1)
	v_sub_nc_u32_e32 v13, v8, v7
	s_add_co_i32 s0, s0, -1
	s_cmp_lg_u32 s0, 0
	s_barrier_signal -1
	s_barrier_wait -1
	s_cbranch_scc0 .LBB3_7
; %bb.5:                                ;   in Loop: Header=BB3_2 Depth=1
	v_dual_mov_b32 v6, v15 :: v_dual_mov_b32 v8, v14
	v_dual_mov_b32 v3, v12 :: v_dual_mov_b32 v5, v17
	;; [unrolled: 1-line block ×3, first 2 shown]
	v_mov_b32_e32 v10, v11
	s_branch .LBB3_2
.LBB3_6:
	s_wait_loadcnt 0x1
	v_dual_mov_b32 v11, v10 :: v_dual_mov_b32 v13, v9
	v_dual_mov_b32 v16, v7 :: v_dual_mov_b32 v17, v5
	;; [unrolled: 1-line block ×3, first 2 shown]
	v_mov_b32_e32 v15, v6
.LBB3_7:
	s_add_nc_u64 s[0:1], s[6:7], s[2:3]
	s_clause 0x6
	global_store_b32 v0, v15, s[0:1] scale_offset
	global_store_b32 v0, v14, s[0:1] offset:1024 scale_offset
	global_store_b32 v0, v12, s[0:1] offset:2048 scale_offset
	;; [unrolled: 1-line block ×6, first 2 shown]
	s_wait_loadcnt 0x0
	global_store_b32 v0, v1, s[0:1] offset:7168 scale_offset
	s_endpgm
	.section	.rodata,"a",@progbits
	.p2align	6, 0x0
	.amdhsa_kernel _Z6kernelI13subtract_leftLj256ELj8ELb0EJPiS1_jEEvDpT3_
		.amdhsa_group_segment_fixed_size 2048
		.amdhsa_private_segment_fixed_size 0
		.amdhsa_kernarg_size 20
		.amdhsa_user_sgpr_count 2
		.amdhsa_user_sgpr_dispatch_ptr 0
		.amdhsa_user_sgpr_queue_ptr 0
		.amdhsa_user_sgpr_kernarg_segment_ptr 1
		.amdhsa_user_sgpr_dispatch_id 0
		.amdhsa_user_sgpr_kernarg_preload_length 0
		.amdhsa_user_sgpr_kernarg_preload_offset 0
		.amdhsa_user_sgpr_private_segment_size 0
		.amdhsa_wavefront_size32 1
		.amdhsa_uses_dynamic_stack 0
		.amdhsa_enable_private_segment 0
		.amdhsa_system_sgpr_workgroup_id_x 1
		.amdhsa_system_sgpr_workgroup_id_y 0
		.amdhsa_system_sgpr_workgroup_id_z 0
		.amdhsa_system_sgpr_workgroup_info 0
		.amdhsa_system_vgpr_workitem_id 0
		.amdhsa_next_free_vgpr 19
		.amdhsa_next_free_sgpr 9
		.amdhsa_named_barrier_count 0
		.amdhsa_reserve_vcc 1
		.amdhsa_float_round_mode_32 0
		.amdhsa_float_round_mode_16_64 0
		.amdhsa_float_denorm_mode_32 3
		.amdhsa_float_denorm_mode_16_64 3
		.amdhsa_fp16_overflow 0
		.amdhsa_memory_ordered 1
		.amdhsa_forward_progress 1
		.amdhsa_inst_pref_size 5
		.amdhsa_round_robin_scheduling 0
		.amdhsa_exception_fp_ieee_invalid_op 0
		.amdhsa_exception_fp_denorm_src 0
		.amdhsa_exception_fp_ieee_div_zero 0
		.amdhsa_exception_fp_ieee_overflow 0
		.amdhsa_exception_fp_ieee_underflow 0
		.amdhsa_exception_fp_ieee_inexact 0
		.amdhsa_exception_int_div_zero 0
	.end_amdhsa_kernel
	.section	.text._Z6kernelI13subtract_leftLj256ELj8ELb0EJPiS1_jEEvDpT3_,"axG",@progbits,_Z6kernelI13subtract_leftLj256ELj8ELb0EJPiS1_jEEvDpT3_,comdat
.Lfunc_end3:
	.size	_Z6kernelI13subtract_leftLj256ELj8ELb0EJPiS1_jEEvDpT3_, .Lfunc_end3-_Z6kernelI13subtract_leftLj256ELj8ELb0EJPiS1_jEEvDpT3_
                                        ; -- End function
	.set _Z6kernelI13subtract_leftLj256ELj8ELb0EJPiS1_jEEvDpT3_.num_vgpr, 19
	.set _Z6kernelI13subtract_leftLj256ELj8ELb0EJPiS1_jEEvDpT3_.num_agpr, 0
	.set _Z6kernelI13subtract_leftLj256ELj8ELb0EJPiS1_jEEvDpT3_.numbered_sgpr, 9
	.set _Z6kernelI13subtract_leftLj256ELj8ELb0EJPiS1_jEEvDpT3_.num_named_barrier, 0
	.set _Z6kernelI13subtract_leftLj256ELj8ELb0EJPiS1_jEEvDpT3_.private_seg_size, 0
	.set _Z6kernelI13subtract_leftLj256ELj8ELb0EJPiS1_jEEvDpT3_.uses_vcc, 1
	.set _Z6kernelI13subtract_leftLj256ELj8ELb0EJPiS1_jEEvDpT3_.uses_flat_scratch, 0
	.set _Z6kernelI13subtract_leftLj256ELj8ELb0EJPiS1_jEEvDpT3_.has_dyn_sized_stack, 0
	.set _Z6kernelI13subtract_leftLj256ELj8ELb0EJPiS1_jEEvDpT3_.has_recursion, 0
	.set _Z6kernelI13subtract_leftLj256ELj8ELb0EJPiS1_jEEvDpT3_.has_indirect_call, 0
	.section	.AMDGPU.csdata,"",@progbits
; Kernel info:
; codeLenInByte = 580
; TotalNumSgprs: 11
; NumVgprs: 19
; ScratchSize: 0
; MemoryBound: 0
; FloatMode: 240
; IeeeMode: 1
; LDSByteSize: 2048 bytes/workgroup (compile time only)
; SGPRBlocks: 0
; VGPRBlocks: 1
; NumSGPRsForWavesPerEU: 11
; NumVGPRsForWavesPerEU: 19
; NamedBarCnt: 0
; Occupancy: 16
; WaveLimiterHint : 1
; COMPUTE_PGM_RSRC2:SCRATCH_EN: 0
; COMPUTE_PGM_RSRC2:USER_SGPR: 2
; COMPUTE_PGM_RSRC2:TRAP_HANDLER: 0
; COMPUTE_PGM_RSRC2:TGID_X_EN: 1
; COMPUTE_PGM_RSRC2:TGID_Y_EN: 0
; COMPUTE_PGM_RSRC2:TGID_Z_EN: 0
; COMPUTE_PGM_RSRC2:TIDIG_COMP_CNT: 0
	.section	.text._Z6kernelI13subtract_leftLj256ELj16ELb0EJPiS1_jEEvDpT3_,"axG",@progbits,_Z6kernelI13subtract_leftLj256ELj16ELb0EJPiS1_jEEvDpT3_,comdat
	.protected	_Z6kernelI13subtract_leftLj256ELj16ELb0EJPiS1_jEEvDpT3_ ; -- Begin function _Z6kernelI13subtract_leftLj256ELj16ELb0EJPiS1_jEEvDpT3_
	.globl	_Z6kernelI13subtract_leftLj256ELj16ELb0EJPiS1_jEEvDpT3_
	.p2align	8
	.type	_Z6kernelI13subtract_leftLj256ELj16ELb0EJPiS1_jEEvDpT3_,@function
_Z6kernelI13subtract_leftLj256ELj16ELb0EJPiS1_jEEvDpT3_: ; @_Z6kernelI13subtract_leftLj256ELj16ELb0EJPiS1_jEEvDpT3_
; %bb.0:
	s_load_b128 s[4:7], s[0:1], 0x0
	s_bfe_u32 s2, ttmp6, 0x4000c
	s_and_b32 s3, ttmp6, 15
	s_add_co_i32 s2, s2, 1
	s_getreg_b32 s8, hwreg(HW_REG_IB_STS2, 6, 4)
	s_mul_i32 s2, ttmp9, s2
	s_wait_xcnt 0x0
	s_load_b32 s0, s[0:1], 0x10
	s_add_co_i32 s3, s3, s2
	s_cmp_eq_u32 s8, 0
	s_cselect_b32 s2, ttmp9, s3
	s_mov_b32 s3, 0
	s_lshl_b32 s2, s2, 12
	s_delay_alu instid0(SALU_CYCLE_1)
	s_lshl_b64 s[2:3], s[2:3], 2
	s_wait_kmcnt 0x0
	s_add_nc_u64 s[4:5], s[4:5], s[2:3]
	s_clause 0xf
	global_load_b32 v16, v0, s[4:5] scale_offset
	global_load_b32 v15, v0, s[4:5] offset:1024 scale_offset
	global_load_b32 v14, v0, s[4:5] offset:2048 scale_offset
	global_load_b32 v13, v0, s[4:5] offset:3072 scale_offset
	global_load_b32 v12, v0, s[4:5] offset:4096 scale_offset
	global_load_b32 v11, v0, s[4:5] offset:5120 scale_offset
	global_load_b32 v10, v0, s[4:5] offset:6144 scale_offset
	global_load_b32 v9, v0, s[4:5] offset:7168 scale_offset
	global_load_b32 v8, v0, s[4:5] offset:8192 scale_offset
	global_load_b32 v7, v0, s[4:5] offset:9216 scale_offset
	global_load_b32 v6, v0, s[4:5] offset:10240 scale_offset
	global_load_b32 v5, v0, s[4:5] offset:11264 scale_offset
	global_load_b32 v4, v0, s[4:5] offset:12288 scale_offset
	global_load_b32 v3, v0, s[4:5] offset:13312 scale_offset
	global_load_b32 v2, v0, s[4:5] offset:14336 scale_offset
	global_load_b32 v1, v0, s[4:5] offset:15360 scale_offset
	s_cmp_eq_u32 s0, 0
	s_cbranch_scc1 .LBB4_5
; %bb.1:
	v_lshlrev_b32_e32 v17, 2, v0
	v_cmp_ne_u32_e32 vcc_lo, 0, v0
	s_delay_alu instid0(VALU_DEP_2)
	v_add_nc_u32_e32 v18, -4, v17
	s_branch .LBB4_3
.LBB4_2:                                ;   in Loop: Header=BB4_3 Depth=1
	s_or_b32 exec_lo, exec_lo, s1
	v_dual_sub_nc_u32 v20, v1, v2 :: v_dual_sub_nc_u32 v21, v2, v3
	v_dual_sub_nc_u32 v22, v3, v4 :: v_dual_sub_nc_u32 v23, v4, v5
	;; [unrolled: 1-line block ×7, first 2 shown]
	v_dual_sub_nc_u32 v34, v12, v13 :: v_dual_add_nc_u32 v16, v19, v16
	s_delay_alu instid0(VALU_DEP_2) | instskip(NEXT) | instid1(VALU_DEP_2)
	v_dual_add_nc_u32 v14, v32, v14 :: v_dual_add_nc_u32 v15, v31, v15
	v_dual_add_nc_u32 v13, v33, v13 :: v_dual_add_nc_u32 v12, v34, v12
	;; [unrolled: 1-line block ×7, first 2 shown]
	v_add_nc_u32_e32 v1, v20, v1
	s_add_co_i32 s0, s0, -1
	s_delay_alu instid0(SALU_CYCLE_1)
	s_cmp_lg_u32 s0, 0
	s_barrier_signal -1
	s_barrier_wait -1
	s_cbranch_scc0 .LBB4_5
.LBB4_3:                                ; =>This Inner Loop Header: Depth=1
	s_wait_loadcnt 0xf
	v_mov_b32_e32 v19, v16
	s_wait_loadcnt 0x0
	ds_store_b32 v17, v1
	s_wait_dscnt 0x0
	s_barrier_signal -1
	s_barrier_wait -1
	s_and_saveexec_b32 s1, vcc_lo
	s_cbranch_execz .LBB4_2
; %bb.4:                                ;   in Loop: Header=BB4_3 Depth=1
	ds_load_b32 v19, v18
	s_wait_dscnt 0x0
	v_sub_nc_u32_e32 v19, v16, v19
	s_branch .LBB4_2
.LBB4_5:
	s_add_nc_u64 s[0:1], s[6:7], s[2:3]
	s_wait_loadcnt 0xf
	global_store_b32 v0, v16, s[0:1] scale_offset
	s_wait_loadcnt 0xe
	global_store_b32 v0, v15, s[0:1] offset:1024 scale_offset
	s_wait_loadcnt 0xd
	global_store_b32 v0, v14, s[0:1] offset:2048 scale_offset
	;; [unrolled: 2-line block ×15, first 2 shown]
	s_endpgm
	.section	.rodata,"a",@progbits
	.p2align	6, 0x0
	.amdhsa_kernel _Z6kernelI13subtract_leftLj256ELj16ELb0EJPiS1_jEEvDpT3_
		.amdhsa_group_segment_fixed_size 2048
		.amdhsa_private_segment_fixed_size 0
		.amdhsa_kernarg_size 20
		.amdhsa_user_sgpr_count 2
		.amdhsa_user_sgpr_dispatch_ptr 0
		.amdhsa_user_sgpr_queue_ptr 0
		.amdhsa_user_sgpr_kernarg_segment_ptr 1
		.amdhsa_user_sgpr_dispatch_id 0
		.amdhsa_user_sgpr_kernarg_preload_length 0
		.amdhsa_user_sgpr_kernarg_preload_offset 0
		.amdhsa_user_sgpr_private_segment_size 0
		.amdhsa_wavefront_size32 1
		.amdhsa_uses_dynamic_stack 0
		.amdhsa_enable_private_segment 0
		.amdhsa_system_sgpr_workgroup_id_x 1
		.amdhsa_system_sgpr_workgroup_id_y 0
		.amdhsa_system_sgpr_workgroup_id_z 0
		.amdhsa_system_sgpr_workgroup_info 0
		.amdhsa_system_vgpr_workitem_id 0
		.amdhsa_next_free_vgpr 35
		.amdhsa_next_free_sgpr 9
		.amdhsa_named_barrier_count 0
		.amdhsa_reserve_vcc 1
		.amdhsa_float_round_mode_32 0
		.amdhsa_float_round_mode_16_64 0
		.amdhsa_float_denorm_mode_32 3
		.amdhsa_float_denorm_mode_16_64 3
		.amdhsa_fp16_overflow 0
		.amdhsa_memory_ordered 1
		.amdhsa_forward_progress 1
		.amdhsa_inst_pref_size 7
		.amdhsa_round_robin_scheduling 0
		.amdhsa_exception_fp_ieee_invalid_op 0
		.amdhsa_exception_fp_denorm_src 0
		.amdhsa_exception_fp_ieee_div_zero 0
		.amdhsa_exception_fp_ieee_overflow 0
		.amdhsa_exception_fp_ieee_underflow 0
		.amdhsa_exception_fp_ieee_inexact 0
		.amdhsa_exception_int_div_zero 0
	.end_amdhsa_kernel
	.section	.text._Z6kernelI13subtract_leftLj256ELj16ELb0EJPiS1_jEEvDpT3_,"axG",@progbits,_Z6kernelI13subtract_leftLj256ELj16ELb0EJPiS1_jEEvDpT3_,comdat
.Lfunc_end4:
	.size	_Z6kernelI13subtract_leftLj256ELj16ELb0EJPiS1_jEEvDpT3_, .Lfunc_end4-_Z6kernelI13subtract_leftLj256ELj16ELb0EJPiS1_jEEvDpT3_
                                        ; -- End function
	.set _Z6kernelI13subtract_leftLj256ELj16ELb0EJPiS1_jEEvDpT3_.num_vgpr, 35
	.set _Z6kernelI13subtract_leftLj256ELj16ELb0EJPiS1_jEEvDpT3_.num_agpr, 0
	.set _Z6kernelI13subtract_leftLj256ELj16ELb0EJPiS1_jEEvDpT3_.numbered_sgpr, 9
	.set _Z6kernelI13subtract_leftLj256ELj16ELb0EJPiS1_jEEvDpT3_.num_named_barrier, 0
	.set _Z6kernelI13subtract_leftLj256ELj16ELb0EJPiS1_jEEvDpT3_.private_seg_size, 0
	.set _Z6kernelI13subtract_leftLj256ELj16ELb0EJPiS1_jEEvDpT3_.uses_vcc, 1
	.set _Z6kernelI13subtract_leftLj256ELj16ELb0EJPiS1_jEEvDpT3_.uses_flat_scratch, 0
	.set _Z6kernelI13subtract_leftLj256ELj16ELb0EJPiS1_jEEvDpT3_.has_dyn_sized_stack, 0
	.set _Z6kernelI13subtract_leftLj256ELj16ELb0EJPiS1_jEEvDpT3_.has_recursion, 0
	.set _Z6kernelI13subtract_leftLj256ELj16ELb0EJPiS1_jEEvDpT3_.has_indirect_call, 0
	.section	.AMDGPU.csdata,"",@progbits
; Kernel info:
; codeLenInByte = 844
; TotalNumSgprs: 11
; NumVgprs: 35
; ScratchSize: 0
; MemoryBound: 0
; FloatMode: 240
; IeeeMode: 1
; LDSByteSize: 2048 bytes/workgroup (compile time only)
; SGPRBlocks: 0
; VGPRBlocks: 2
; NumSGPRsForWavesPerEU: 11
; NumVGPRsForWavesPerEU: 35
; NamedBarCnt: 0
; Occupancy: 16
; WaveLimiterHint : 1
; COMPUTE_PGM_RSRC2:SCRATCH_EN: 0
; COMPUTE_PGM_RSRC2:USER_SGPR: 2
; COMPUTE_PGM_RSRC2:TRAP_HANDLER: 0
; COMPUTE_PGM_RSRC2:TGID_X_EN: 1
; COMPUTE_PGM_RSRC2:TGID_Y_EN: 0
; COMPUTE_PGM_RSRC2:TGID_Z_EN: 0
; COMPUTE_PGM_RSRC2:TIDIG_COMP_CNT: 0
	.section	.text._Z6kernelI13subtract_leftLj256ELj32ELb0EJPiS1_jEEvDpT3_,"axG",@progbits,_Z6kernelI13subtract_leftLj256ELj32ELb0EJPiS1_jEEvDpT3_,comdat
	.protected	_Z6kernelI13subtract_leftLj256ELj32ELb0EJPiS1_jEEvDpT3_ ; -- Begin function _Z6kernelI13subtract_leftLj256ELj32ELb0EJPiS1_jEEvDpT3_
	.globl	_Z6kernelI13subtract_leftLj256ELj32ELb0EJPiS1_jEEvDpT3_
	.p2align	8
	.type	_Z6kernelI13subtract_leftLj256ELj32ELb0EJPiS1_jEEvDpT3_,@function
_Z6kernelI13subtract_leftLj256ELj32ELb0EJPiS1_jEEvDpT3_: ; @_Z6kernelI13subtract_leftLj256ELj32ELb0EJPiS1_jEEvDpT3_
; %bb.0:
	s_load_b128 s[4:7], s[0:1], 0x0
	s_bfe_u32 s2, ttmp6, 0x4000c
	s_and_b32 s3, ttmp6, 15
	s_add_co_i32 s2, s2, 1
	s_getreg_b32 s8, hwreg(HW_REG_IB_STS2, 6, 4)
	s_mul_i32 s2, ttmp9, s2
	s_wait_xcnt 0x0
	s_load_b32 s0, s[0:1], 0x10
	s_add_co_i32 s3, s3, s2
	s_cmp_eq_u32 s8, 0
	s_cselect_b32 s2, ttmp9, s3
	s_mov_b32 s3, 0
	s_lshl_b32 s2, s2, 13
	s_delay_alu instid0(SALU_CYCLE_1)
	s_lshl_b64 s[2:3], s[2:3], 2
	s_wait_kmcnt 0x0
	s_add_nc_u64 s[4:5], s[4:5], s[2:3]
	s_clause 0x1f
	global_load_b32 v32, v0, s[4:5] scale_offset
	global_load_b32 v31, v0, s[4:5] offset:1024 scale_offset
	global_load_b32 v30, v0, s[4:5] offset:2048 scale_offset
	;; [unrolled: 1-line block ×31, first 2 shown]
	s_cmp_eq_u32 s0, 0
	s_cbranch_scc1 .LBB5_5
; %bb.1:
	v_lshlrev_b32_e32 v33, 2, v0
	v_cmp_ne_u32_e32 vcc_lo, 0, v0
	s_delay_alu instid0(VALU_DEP_2)
	v_add_nc_u32_e32 v34, -4, v33
	s_branch .LBB5_3
.LBB5_2:                                ;   in Loop: Header=BB5_3 Depth=1
	s_or_b32 exec_lo, exec_lo, s1
	v_dual_sub_nc_u32 v60, v31, v32 :: v_dual_sub_nc_u32 v62, v30, v31
	v_sub_nc_u32_e32 v61, v27, v28
	v_dual_add_nc_u32 v32, v35, v32 :: v_dual_sub_nc_u32 v35, v29, v30
	v_dual_sub_nc_u32 v36, v1, v2 :: v_dual_sub_nc_u32 v37, v2, v3
	v_dual_sub_nc_u32 v38, v3, v4 :: v_dual_sub_nc_u32 v39, v4, v5
	;; [unrolled: 1-line block ×12, first 2 shown]
	v_add_nc_u32_e32 v31, v60, v31
	v_dual_sub_nc_u32 v60, v28, v29 :: v_dual_add_nc_u32 v30, v62, v30
	v_dual_sub_nc_u32 v62, v26, v27 :: v_dual_add_nc_u32 v29, v35, v29
	;; [unrolled: 1-line block ×3, first 2 shown]
	s_delay_alu instid0(VALU_DEP_2) | instskip(SKIP_1) | instid1(VALU_DEP_3)
	v_dual_add_nc_u32 v28, v60, v28 :: v_dual_add_nc_u32 v26, v62, v26
	v_dual_add_nc_u32 v25, v59, v25 :: v_dual_add_nc_u32 v23, v58, v23
	;; [unrolled: 1-line block ×13, first 2 shown]
	v_add_nc_u32_e32 v1, v36, v1
	s_add_co_i32 s0, s0, -1
	s_delay_alu instid0(SALU_CYCLE_1)
	s_cmp_lg_u32 s0, 0
	s_barrier_signal -1
	s_barrier_wait -1
	s_cbranch_scc0 .LBB5_5
.LBB5_3:                                ; =>This Inner Loop Header: Depth=1
	s_wait_loadcnt 0x1f
	v_mov_b32_e32 v35, v32
	s_wait_loadcnt 0x0
	ds_store_b32 v33, v1
	s_wait_dscnt 0x0
	s_barrier_signal -1
	s_barrier_wait -1
	s_and_saveexec_b32 s1, vcc_lo
	s_cbranch_execz .LBB5_2
; %bb.4:                                ;   in Loop: Header=BB5_3 Depth=1
	ds_load_b32 v35, v34
	s_wait_dscnt 0x0
	v_sub_nc_u32_e32 v35, v32, v35
	s_branch .LBB5_2
.LBB5_5:
	s_add_nc_u64 s[0:1], s[6:7], s[2:3]
	s_wait_loadcnt 0x1f
	global_store_b32 v0, v32, s[0:1] scale_offset
	s_wait_loadcnt 0x1e
	global_store_b32 v0, v31, s[0:1] offset:1024 scale_offset
	s_wait_loadcnt 0x1d
	global_store_b32 v0, v30, s[0:1] offset:2048 scale_offset
	;; [unrolled: 2-line block ×31, first 2 shown]
	s_endpgm
	.section	.rodata,"a",@progbits
	.p2align	6, 0x0
	.amdhsa_kernel _Z6kernelI13subtract_leftLj256ELj32ELb0EJPiS1_jEEvDpT3_
		.amdhsa_group_segment_fixed_size 2048
		.amdhsa_private_segment_fixed_size 0
		.amdhsa_kernarg_size 20
		.amdhsa_user_sgpr_count 2
		.amdhsa_user_sgpr_dispatch_ptr 0
		.amdhsa_user_sgpr_queue_ptr 0
		.amdhsa_user_sgpr_kernarg_segment_ptr 1
		.amdhsa_user_sgpr_dispatch_id 0
		.amdhsa_user_sgpr_kernarg_preload_length 0
		.amdhsa_user_sgpr_kernarg_preload_offset 0
		.amdhsa_user_sgpr_private_segment_size 0
		.amdhsa_wavefront_size32 1
		.amdhsa_uses_dynamic_stack 0
		.amdhsa_enable_private_segment 0
		.amdhsa_system_sgpr_workgroup_id_x 1
		.amdhsa_system_sgpr_workgroup_id_y 0
		.amdhsa_system_sgpr_workgroup_id_z 0
		.amdhsa_system_sgpr_workgroup_info 0
		.amdhsa_system_vgpr_workitem_id 0
		.amdhsa_next_free_vgpr 63
		.amdhsa_next_free_sgpr 9
		.amdhsa_named_barrier_count 0
		.amdhsa_reserve_vcc 1
		.amdhsa_float_round_mode_32 0
		.amdhsa_float_round_mode_16_64 0
		.amdhsa_float_denorm_mode_32 3
		.amdhsa_float_denorm_mode_16_64 3
		.amdhsa_fp16_overflow 0
		.amdhsa_memory_ordered 1
		.amdhsa_forward_progress 1
		.amdhsa_inst_pref_size 12
		.amdhsa_round_robin_scheduling 0
		.amdhsa_exception_fp_ieee_invalid_op 0
		.amdhsa_exception_fp_denorm_src 0
		.amdhsa_exception_fp_ieee_div_zero 0
		.amdhsa_exception_fp_ieee_overflow 0
		.amdhsa_exception_fp_ieee_underflow 0
		.amdhsa_exception_fp_ieee_inexact 0
		.amdhsa_exception_int_div_zero 0
	.end_amdhsa_kernel
	.section	.text._Z6kernelI13subtract_leftLj256ELj32ELb0EJPiS1_jEEvDpT3_,"axG",@progbits,_Z6kernelI13subtract_leftLj256ELj32ELb0EJPiS1_jEEvDpT3_,comdat
.Lfunc_end5:
	.size	_Z6kernelI13subtract_leftLj256ELj32ELb0EJPiS1_jEEvDpT3_, .Lfunc_end5-_Z6kernelI13subtract_leftLj256ELj32ELb0EJPiS1_jEEvDpT3_
                                        ; -- End function
	.set _Z6kernelI13subtract_leftLj256ELj32ELb0EJPiS1_jEEvDpT3_.num_vgpr, 63
	.set _Z6kernelI13subtract_leftLj256ELj32ELb0EJPiS1_jEEvDpT3_.num_agpr, 0
	.set _Z6kernelI13subtract_leftLj256ELj32ELb0EJPiS1_jEEvDpT3_.numbered_sgpr, 9
	.set _Z6kernelI13subtract_leftLj256ELj32ELb0EJPiS1_jEEvDpT3_.num_named_barrier, 0
	.set _Z6kernelI13subtract_leftLj256ELj32ELb0EJPiS1_jEEvDpT3_.private_seg_size, 0
	.set _Z6kernelI13subtract_leftLj256ELj32ELb0EJPiS1_jEEvDpT3_.uses_vcc, 1
	.set _Z6kernelI13subtract_leftLj256ELj32ELb0EJPiS1_jEEvDpT3_.uses_flat_scratch, 0
	.set _Z6kernelI13subtract_leftLj256ELj32ELb0EJPiS1_jEEvDpT3_.has_dyn_sized_stack, 0
	.set _Z6kernelI13subtract_leftLj256ELj32ELb0EJPiS1_jEEvDpT3_.has_recursion, 0
	.set _Z6kernelI13subtract_leftLj256ELj32ELb0EJPiS1_jEEvDpT3_.has_indirect_call, 0
	.section	.AMDGPU.csdata,"",@progbits
; Kernel info:
; codeLenInByte = 1480
; TotalNumSgprs: 11
; NumVgprs: 63
; ScratchSize: 0
; MemoryBound: 0
; FloatMode: 240
; IeeeMode: 1
; LDSByteSize: 2048 bytes/workgroup (compile time only)
; SGPRBlocks: 0
; VGPRBlocks: 3
; NumSGPRsForWavesPerEU: 11
; NumVGPRsForWavesPerEU: 63
; NamedBarCnt: 0
; Occupancy: 16
; WaveLimiterHint : 1
; COMPUTE_PGM_RSRC2:SCRATCH_EN: 0
; COMPUTE_PGM_RSRC2:USER_SGPR: 2
; COMPUTE_PGM_RSRC2:TRAP_HANDLER: 0
; COMPUTE_PGM_RSRC2:TGID_X_EN: 1
; COMPUTE_PGM_RSRC2:TGID_Y_EN: 0
; COMPUTE_PGM_RSRC2:TGID_Z_EN: 0
; COMPUTE_PGM_RSRC2:TIDIG_COMP_CNT: 0
	.section	.text._Z6kernelI13subtract_leftLj256ELj1ELb0EJPfS1_jEEvDpT3_,"axG",@progbits,_Z6kernelI13subtract_leftLj256ELj1ELb0EJPfS1_jEEvDpT3_,comdat
	.protected	_Z6kernelI13subtract_leftLj256ELj1ELb0EJPfS1_jEEvDpT3_ ; -- Begin function _Z6kernelI13subtract_leftLj256ELj1ELb0EJPfS1_jEEvDpT3_
	.globl	_Z6kernelI13subtract_leftLj256ELj1ELb0EJPfS1_jEEvDpT3_
	.p2align	8
	.type	_Z6kernelI13subtract_leftLj256ELj1ELb0EJPfS1_jEEvDpT3_,@function
_Z6kernelI13subtract_leftLj256ELj1ELb0EJPfS1_jEEvDpT3_: ; @_Z6kernelI13subtract_leftLj256ELj1ELb0EJPfS1_jEEvDpT3_
; %bb.0:
	s_load_b128 s[4:7], s[0:1], 0x0
	s_bfe_u32 s2, ttmp6, 0x4000c
	s_and_b32 s3, ttmp6, 15
	s_add_co_i32 s2, s2, 1
	s_getreg_b32 s8, hwreg(HW_REG_IB_STS2, 6, 4)
	s_mul_i32 s2, ttmp9, s2
	s_wait_xcnt 0x0
	s_load_b32 s0, s[0:1], 0x10
	s_add_co_i32 s3, s3, s2
	s_cmp_eq_u32 s8, 0
	s_cselect_b32 s2, ttmp9, s3
	s_mov_b32 s3, 0
	s_lshl_b32 s2, s2, 8
	s_delay_alu instid0(SALU_CYCLE_1)
	s_lshl_b64 s[2:3], s[2:3], 2
	s_wait_kmcnt 0x0
	s_add_nc_u64 s[4:5], s[4:5], s[2:3]
	global_load_b32 v1, v0, s[4:5] scale_offset
	s_cmp_eq_u32 s0, 0
	s_cbranch_scc1 .LBB6_5
; %bb.1:
	v_lshlrev_b32_e32 v2, 2, v0
	v_cmp_ne_u32_e32 vcc_lo, 0, v0
	s_delay_alu instid0(VALU_DEP_2)
	v_add_nc_u32_e32 v3, -4, v2
	s_branch .LBB6_3
.LBB6_2:                                ;   in Loop: Header=BB6_3 Depth=1
	s_or_b32 exec_lo, exec_lo, s1
	s_delay_alu instid0(VALU_DEP_1) | instskip(SKIP_1) | instid1(SALU_CYCLE_1)
	v_add_f32_e32 v1, v1, v4
	s_add_co_i32 s0, s0, -1
	s_cmp_lg_u32 s0, 0
	s_barrier_signal -1
	s_barrier_wait -1
	s_cbranch_scc0 .LBB6_5
.LBB6_3:                                ; =>This Inner Loop Header: Depth=1
	s_wait_loadcnt 0x0
	v_mov_b32_e32 v4, v1
	ds_store_b32 v2, v1
	s_wait_dscnt 0x0
	s_barrier_signal -1
	s_barrier_wait -1
	s_and_saveexec_b32 s1, vcc_lo
	s_cbranch_execz .LBB6_2
; %bb.4:                                ;   in Loop: Header=BB6_3 Depth=1
	ds_load_b32 v4, v3
	s_wait_dscnt 0x0
	v_sub_f32_e32 v4, v1, v4
	s_branch .LBB6_2
.LBB6_5:
	s_add_nc_u64 s[0:1], s[6:7], s[2:3]
	s_wait_loadcnt 0x0
	global_store_b32 v0, v1, s[0:1] scale_offset
	s_endpgm
	.section	.rodata,"a",@progbits
	.p2align	6, 0x0
	.amdhsa_kernel _Z6kernelI13subtract_leftLj256ELj1ELb0EJPfS1_jEEvDpT3_
		.amdhsa_group_segment_fixed_size 2048
		.amdhsa_private_segment_fixed_size 0
		.amdhsa_kernarg_size 20
		.amdhsa_user_sgpr_count 2
		.amdhsa_user_sgpr_dispatch_ptr 0
		.amdhsa_user_sgpr_queue_ptr 0
		.amdhsa_user_sgpr_kernarg_segment_ptr 1
		.amdhsa_user_sgpr_dispatch_id 0
		.amdhsa_user_sgpr_kernarg_preload_length 0
		.amdhsa_user_sgpr_kernarg_preload_offset 0
		.amdhsa_user_sgpr_private_segment_size 0
		.amdhsa_wavefront_size32 1
		.amdhsa_uses_dynamic_stack 0
		.amdhsa_enable_private_segment 0
		.amdhsa_system_sgpr_workgroup_id_x 1
		.amdhsa_system_sgpr_workgroup_id_y 0
		.amdhsa_system_sgpr_workgroup_id_z 0
		.amdhsa_system_sgpr_workgroup_info 0
		.amdhsa_system_vgpr_workitem_id 0
		.amdhsa_next_free_vgpr 5
		.amdhsa_next_free_sgpr 9
		.amdhsa_named_barrier_count 0
		.amdhsa_reserve_vcc 1
		.amdhsa_float_round_mode_32 0
		.amdhsa_float_round_mode_16_64 0
		.amdhsa_float_denorm_mode_32 3
		.amdhsa_float_denorm_mode_16_64 3
		.amdhsa_fp16_overflow 0
		.amdhsa_memory_ordered 1
		.amdhsa_forward_progress 1
		.amdhsa_inst_pref_size 2
		.amdhsa_round_robin_scheduling 0
		.amdhsa_exception_fp_ieee_invalid_op 0
		.amdhsa_exception_fp_denorm_src 0
		.amdhsa_exception_fp_ieee_div_zero 0
		.amdhsa_exception_fp_ieee_overflow 0
		.amdhsa_exception_fp_ieee_underflow 0
		.amdhsa_exception_fp_ieee_inexact 0
		.amdhsa_exception_int_div_zero 0
	.end_amdhsa_kernel
	.section	.text._Z6kernelI13subtract_leftLj256ELj1ELb0EJPfS1_jEEvDpT3_,"axG",@progbits,_Z6kernelI13subtract_leftLj256ELj1ELb0EJPfS1_jEEvDpT3_,comdat
.Lfunc_end6:
	.size	_Z6kernelI13subtract_leftLj256ELj1ELb0EJPfS1_jEEvDpT3_, .Lfunc_end6-_Z6kernelI13subtract_leftLj256ELj1ELb0EJPfS1_jEEvDpT3_
                                        ; -- End function
	.set _Z6kernelI13subtract_leftLj256ELj1ELb0EJPfS1_jEEvDpT3_.num_vgpr, 5
	.set _Z6kernelI13subtract_leftLj256ELj1ELb0EJPfS1_jEEvDpT3_.num_agpr, 0
	.set _Z6kernelI13subtract_leftLj256ELj1ELb0EJPfS1_jEEvDpT3_.numbered_sgpr, 9
	.set _Z6kernelI13subtract_leftLj256ELj1ELb0EJPfS1_jEEvDpT3_.num_named_barrier, 0
	.set _Z6kernelI13subtract_leftLj256ELj1ELb0EJPfS1_jEEvDpT3_.private_seg_size, 0
	.set _Z6kernelI13subtract_leftLj256ELj1ELb0EJPfS1_jEEvDpT3_.uses_vcc, 1
	.set _Z6kernelI13subtract_leftLj256ELj1ELb0EJPfS1_jEEvDpT3_.uses_flat_scratch, 0
	.set _Z6kernelI13subtract_leftLj256ELj1ELb0EJPfS1_jEEvDpT3_.has_dyn_sized_stack, 0
	.set _Z6kernelI13subtract_leftLj256ELj1ELb0EJPfS1_jEEvDpT3_.has_recursion, 0
	.set _Z6kernelI13subtract_leftLj256ELj1ELb0EJPfS1_jEEvDpT3_.has_indirect_call, 0
	.section	.AMDGPU.csdata,"",@progbits
; Kernel info:
; codeLenInByte = 232
; TotalNumSgprs: 11
; NumVgprs: 5
; ScratchSize: 0
; MemoryBound: 0
; FloatMode: 240
; IeeeMode: 1
; LDSByteSize: 2048 bytes/workgroup (compile time only)
; SGPRBlocks: 0
; VGPRBlocks: 0
; NumSGPRsForWavesPerEU: 11
; NumVGPRsForWavesPerEU: 5
; NamedBarCnt: 0
; Occupancy: 16
; WaveLimiterHint : 0
; COMPUTE_PGM_RSRC2:SCRATCH_EN: 0
; COMPUTE_PGM_RSRC2:USER_SGPR: 2
; COMPUTE_PGM_RSRC2:TRAP_HANDLER: 0
; COMPUTE_PGM_RSRC2:TGID_X_EN: 1
; COMPUTE_PGM_RSRC2:TGID_Y_EN: 0
; COMPUTE_PGM_RSRC2:TGID_Z_EN: 0
; COMPUTE_PGM_RSRC2:TIDIG_COMP_CNT: 0
	.section	.text._Z6kernelI13subtract_leftLj256ELj3ELb0EJPfS1_jEEvDpT3_,"axG",@progbits,_Z6kernelI13subtract_leftLj256ELj3ELb0EJPfS1_jEEvDpT3_,comdat
	.protected	_Z6kernelI13subtract_leftLj256ELj3ELb0EJPfS1_jEEvDpT3_ ; -- Begin function _Z6kernelI13subtract_leftLj256ELj3ELb0EJPfS1_jEEvDpT3_
	.globl	_Z6kernelI13subtract_leftLj256ELj3ELb0EJPfS1_jEEvDpT3_
	.p2align	8
	.type	_Z6kernelI13subtract_leftLj256ELj3ELb0EJPfS1_jEEvDpT3_,@function
_Z6kernelI13subtract_leftLj256ELj3ELb0EJPfS1_jEEvDpT3_: ; @_Z6kernelI13subtract_leftLj256ELj3ELb0EJPfS1_jEEvDpT3_
; %bb.0:
	s_load_b128 s[4:7], s[0:1], 0x0
	s_bfe_u32 s2, ttmp6, 0x4000c
	s_and_b32 s3, ttmp6, 15
	s_add_co_i32 s2, s2, 1
	s_getreg_b32 s8, hwreg(HW_REG_IB_STS2, 6, 4)
	s_mul_i32 s2, ttmp9, s2
	s_wait_xcnt 0x0
	s_load_b32 s0, s[0:1], 0x10
	s_add_co_i32 s3, s3, s2
	s_cmp_eq_u32 s8, 0
	s_cselect_b32 s2, ttmp9, s3
	s_mov_b32 s3, 0
	s_mulk_i32 s2, 0x300
	s_delay_alu instid0(SALU_CYCLE_1)
	s_lshl_b64 s[2:3], s[2:3], 2
	s_wait_kmcnt 0x0
	s_add_nc_u64 s[4:5], s[4:5], s[2:3]
	s_clause 0x2
	global_load_b32 v2, v0, s[4:5] scale_offset
	global_load_b32 v8, v0, s[4:5] offset:1024 scale_offset
	global_load_b32 v9, v0, s[4:5] offset:2048 scale_offset
	s_cmp_eq_u32 s0, 0
	s_cbranch_scc1 .LBB7_5
; %bb.1:
	v_lshlrev_b32_e32 v1, 2, v0
	v_cmp_ne_u32_e32 vcc_lo, 0, v0
	s_delay_alu instid0(VALU_DEP_2)
	v_add_nc_u32_e32 v7, -4, v1
	s_branch .LBB7_3
.LBB7_2:                                ;   in Loop: Header=BB7_3 Depth=1
	s_or_b32 exec_lo, exec_lo, s1
	s_delay_alu instid0(VALU_DEP_1) | instskip(SKIP_2) | instid1(VALU_DEP_2)
	v_dual_mov_b32 v3, v8 :: v_dual_add_f32 v2, v2, v4
	v_add_f32_e32 v9, v9, v11
	s_add_co_i32 s0, s0, -1
	v_add_f32_e32 v8, v3, v10
	s_cmp_lg_u32 s0, 0
	s_barrier_signal -1
	s_barrier_wait -1
	s_cbranch_scc0 .LBB7_5
.LBB7_3:                                ; =>This Inner Loop Header: Depth=1
	s_wait_loadcnt 0x1
	v_mov_b32_e32 v3, v8
	v_mov_b32_e32 v6, v4
	s_wait_loadcnt 0x0
	ds_store_b32 v1, v9
	s_wait_dscnt 0x0
	s_barrier_signal -1
	v_pk_add_f32 v[10:11], v[8:9], v[2:3] neg_lo:[0,1] neg_hi:[0,1]
	v_dual_mov_b32 v5, v3 :: v_dual_mov_b32 v4, v2
	s_barrier_wait -1
	s_and_saveexec_b32 s1, vcc_lo
	s_cbranch_execz .LBB7_2
; %bb.4:                                ;   in Loop: Header=BB7_3 Depth=1
	ds_load_b32 v3, v7
	s_wait_dscnt 0x0
	v_sub_f32_e32 v4, v2, v3
	s_branch .LBB7_2
.LBB7_5:
	s_add_nc_u64 s[0:1], s[6:7], s[2:3]
	s_wait_loadcnt 0x2
	global_store_b32 v0, v2, s[0:1] scale_offset
	s_wait_loadcnt 0x1
	global_store_b32 v0, v8, s[0:1] offset:1024 scale_offset
	s_wait_loadcnt 0x0
	global_store_b32 v0, v9, s[0:1] offset:2048 scale_offset
	s_endpgm
	.section	.rodata,"a",@progbits
	.p2align	6, 0x0
	.amdhsa_kernel _Z6kernelI13subtract_leftLj256ELj3ELb0EJPfS1_jEEvDpT3_
		.amdhsa_group_segment_fixed_size 2048
		.amdhsa_private_segment_fixed_size 0
		.amdhsa_kernarg_size 20
		.amdhsa_user_sgpr_count 2
		.amdhsa_user_sgpr_dispatch_ptr 0
		.amdhsa_user_sgpr_queue_ptr 0
		.amdhsa_user_sgpr_kernarg_segment_ptr 1
		.amdhsa_user_sgpr_dispatch_id 0
		.amdhsa_user_sgpr_kernarg_preload_length 0
		.amdhsa_user_sgpr_kernarg_preload_offset 0
		.amdhsa_user_sgpr_private_segment_size 0
		.amdhsa_wavefront_size32 1
		.amdhsa_uses_dynamic_stack 0
		.amdhsa_enable_private_segment 0
		.amdhsa_system_sgpr_workgroup_id_x 1
		.amdhsa_system_sgpr_workgroup_id_y 0
		.amdhsa_system_sgpr_workgroup_id_z 0
		.amdhsa_system_sgpr_workgroup_info 0
		.amdhsa_system_vgpr_workitem_id 0
		.amdhsa_next_free_vgpr 12
		.amdhsa_next_free_sgpr 9
		.amdhsa_named_barrier_count 0
		.amdhsa_reserve_vcc 1
		.amdhsa_float_round_mode_32 0
		.amdhsa_float_round_mode_16_64 0
		.amdhsa_float_denorm_mode_32 3
		.amdhsa_float_denorm_mode_16_64 3
		.amdhsa_fp16_overflow 0
		.amdhsa_memory_ordered 1
		.amdhsa_forward_progress 1
		.amdhsa_inst_pref_size 3
		.amdhsa_round_robin_scheduling 0
		.amdhsa_exception_fp_ieee_invalid_op 0
		.amdhsa_exception_fp_denorm_src 0
		.amdhsa_exception_fp_ieee_div_zero 0
		.amdhsa_exception_fp_ieee_overflow 0
		.amdhsa_exception_fp_ieee_underflow 0
		.amdhsa_exception_fp_ieee_inexact 0
		.amdhsa_exception_int_div_zero 0
	.end_amdhsa_kernel
	.section	.text._Z6kernelI13subtract_leftLj256ELj3ELb0EJPfS1_jEEvDpT3_,"axG",@progbits,_Z6kernelI13subtract_leftLj256ELj3ELb0EJPfS1_jEEvDpT3_,comdat
.Lfunc_end7:
	.size	_Z6kernelI13subtract_leftLj256ELj3ELb0EJPfS1_jEEvDpT3_, .Lfunc_end7-_Z6kernelI13subtract_leftLj256ELj3ELb0EJPfS1_jEEvDpT3_
                                        ; -- End function
	.set _Z6kernelI13subtract_leftLj256ELj3ELb0EJPfS1_jEEvDpT3_.num_vgpr, 12
	.set _Z6kernelI13subtract_leftLj256ELj3ELb0EJPfS1_jEEvDpT3_.num_agpr, 0
	.set _Z6kernelI13subtract_leftLj256ELj3ELb0EJPfS1_jEEvDpT3_.numbered_sgpr, 9
	.set _Z6kernelI13subtract_leftLj256ELj3ELb0EJPfS1_jEEvDpT3_.num_named_barrier, 0
	.set _Z6kernelI13subtract_leftLj256ELj3ELb0EJPfS1_jEEvDpT3_.private_seg_size, 0
	.set _Z6kernelI13subtract_leftLj256ELj3ELb0EJPfS1_jEEvDpT3_.uses_vcc, 1
	.set _Z6kernelI13subtract_leftLj256ELj3ELb0EJPfS1_jEEvDpT3_.uses_flat_scratch, 0
	.set _Z6kernelI13subtract_leftLj256ELj3ELb0EJPfS1_jEEvDpT3_.has_dyn_sized_stack, 0
	.set _Z6kernelI13subtract_leftLj256ELj3ELb0EJPfS1_jEEvDpT3_.has_recursion, 0
	.set _Z6kernelI13subtract_leftLj256ELj3ELb0EJPfS1_jEEvDpT3_.has_indirect_call, 0
	.section	.AMDGPU.csdata,"",@progbits
; Kernel info:
; codeLenInByte = 328
; TotalNumSgprs: 11
; NumVgprs: 12
; ScratchSize: 0
; MemoryBound: 0
; FloatMode: 240
; IeeeMode: 1
; LDSByteSize: 2048 bytes/workgroup (compile time only)
; SGPRBlocks: 0
; VGPRBlocks: 0
; NumSGPRsForWavesPerEU: 11
; NumVGPRsForWavesPerEU: 12
; NamedBarCnt: 0
; Occupancy: 16
; WaveLimiterHint : 1
; COMPUTE_PGM_RSRC2:SCRATCH_EN: 0
; COMPUTE_PGM_RSRC2:USER_SGPR: 2
; COMPUTE_PGM_RSRC2:TRAP_HANDLER: 0
; COMPUTE_PGM_RSRC2:TGID_X_EN: 1
; COMPUTE_PGM_RSRC2:TGID_Y_EN: 0
; COMPUTE_PGM_RSRC2:TGID_Z_EN: 0
; COMPUTE_PGM_RSRC2:TIDIG_COMP_CNT: 0
	.section	.text._Z6kernelI13subtract_leftLj256ELj4ELb0EJPfS1_jEEvDpT3_,"axG",@progbits,_Z6kernelI13subtract_leftLj256ELj4ELb0EJPfS1_jEEvDpT3_,comdat
	.protected	_Z6kernelI13subtract_leftLj256ELj4ELb0EJPfS1_jEEvDpT3_ ; -- Begin function _Z6kernelI13subtract_leftLj256ELj4ELb0EJPfS1_jEEvDpT3_
	.globl	_Z6kernelI13subtract_leftLj256ELj4ELb0EJPfS1_jEEvDpT3_
	.p2align	8
	.type	_Z6kernelI13subtract_leftLj256ELj4ELb0EJPfS1_jEEvDpT3_,@function
_Z6kernelI13subtract_leftLj256ELj4ELb0EJPfS1_jEEvDpT3_: ; @_Z6kernelI13subtract_leftLj256ELj4ELb0EJPfS1_jEEvDpT3_
; %bb.0:
	s_load_b128 s[4:7], s[0:1], 0x0
	s_bfe_u32 s2, ttmp6, 0x4000c
	s_and_b32 s3, ttmp6, 15
	s_add_co_i32 s2, s2, 1
	s_getreg_b32 s8, hwreg(HW_REG_IB_STS2, 6, 4)
	s_mul_i32 s2, ttmp9, s2
	s_wait_xcnt 0x0
	s_load_b32 s0, s[0:1], 0x10
	s_add_co_i32 s3, s3, s2
	s_cmp_eq_u32 s8, 0
	s_cselect_b32 s2, ttmp9, s3
	s_mov_b32 s3, 0
	s_lshl_b32 s2, s2, 10
	s_delay_alu instid0(SALU_CYCLE_1)
	s_lshl_b64 s[2:3], s[2:3], 2
	s_wait_kmcnt 0x0
	s_add_nc_u64 s[4:5], s[4:5], s[2:3]
	s_clause 0x3
	global_load_b32 v2, v0, s[4:5] scale_offset
	global_load_b32 v10, v0, s[4:5] offset:1024 scale_offset
	global_load_b32 v11, v0, s[4:5] offset:2048 scale_offset
	;; [unrolled: 1-line block ×3, first 2 shown]
	s_cmp_eq_u32 s0, 0
	s_cbranch_scc1 .LBB8_5
; %bb.1:
	v_lshlrev_b32_e32 v1, 2, v0
	v_cmp_ne_u32_e32 vcc_lo, 0, v0
	s_delay_alu instid0(VALU_DEP_2)
	v_add_nc_u32_e32 v16, -4, v1
	s_branch .LBB8_3
.LBB8_2:                                ;   in Loop: Header=BB8_3 Depth=1
	s_or_b32 exec_lo, exec_lo, s1
	v_dual_mov_b32 v3, v10 :: v_dual_mov_b32 v4, v11
	v_dual_mov_b32 v7, v14 :: v_dual_mov_b32 v12, v15
	s_add_co_i32 s0, s0, -1
	s_delay_alu instid0(SALU_CYCLE_1) | instskip(NEXT) | instid1(VALU_DEP_1)
	s_cmp_lg_u32 s0, 0
	v_pk_add_f32 v[2:3], v[2:3], v[6:7]
	s_delay_alu instid0(VALU_DEP_2) | instskip(SKIP_2) | instid1(VALU_DEP_1)
	v_pk_add_f32 v[4:5], v[4:5], v[12:13]
	s_barrier_signal -1
	s_barrier_wait -1
	v_dual_mov_b32 v10, v3 :: v_dual_mov_b32 v11, v4
	s_cbranch_scc0 .LBB8_5
.LBB8_3:                                ; =>This Inner Loop Header: Depth=1
	s_wait_loadcnt 0x0
	s_delay_alu instid0(VALU_DEP_1)
	v_dual_mov_b32 v3, v10 :: v_dual_sub_f32 v13, v5, v11
	v_mov_b64_e32 v[8:9], v[4:5]
	ds_store_b32 v1, v5
	s_wait_dscnt 0x0
	v_mov_b64_e32 v[6:7], v[2:3]
	v_pk_add_f32 v[14:15], v[10:11], v[2:3] neg_lo:[0,1] neg_hi:[0,1]
	s_barrier_signal -1
	s_barrier_wait -1
	s_and_saveexec_b32 s1, vcc_lo
	s_cbranch_execz .LBB8_2
; %bb.4:                                ;   in Loop: Header=BB8_3 Depth=1
	ds_load_b32 v3, v16
	s_wait_dscnt 0x0
	v_sub_f32_e32 v6, v2, v3
	s_branch .LBB8_2
.LBB8_5:
	s_add_nc_u64 s[0:1], s[6:7], s[2:3]
	s_wait_loadcnt 0x3
	global_store_b32 v0, v2, s[0:1] scale_offset
	s_wait_loadcnt 0x2
	global_store_b32 v0, v10, s[0:1] offset:1024 scale_offset
	s_wait_loadcnt 0x1
	global_store_b32 v0, v11, s[0:1] offset:2048 scale_offset
	;; [unrolled: 2-line block ×3, first 2 shown]
	s_endpgm
	.section	.rodata,"a",@progbits
	.p2align	6, 0x0
	.amdhsa_kernel _Z6kernelI13subtract_leftLj256ELj4ELb0EJPfS1_jEEvDpT3_
		.amdhsa_group_segment_fixed_size 2048
		.amdhsa_private_segment_fixed_size 0
		.amdhsa_kernarg_size 20
		.amdhsa_user_sgpr_count 2
		.amdhsa_user_sgpr_dispatch_ptr 0
		.amdhsa_user_sgpr_queue_ptr 0
		.amdhsa_user_sgpr_kernarg_segment_ptr 1
		.amdhsa_user_sgpr_dispatch_id 0
		.amdhsa_user_sgpr_kernarg_preload_length 0
		.amdhsa_user_sgpr_kernarg_preload_offset 0
		.amdhsa_user_sgpr_private_segment_size 0
		.amdhsa_wavefront_size32 1
		.amdhsa_uses_dynamic_stack 0
		.amdhsa_enable_private_segment 0
		.amdhsa_system_sgpr_workgroup_id_x 1
		.amdhsa_system_sgpr_workgroup_id_y 0
		.amdhsa_system_sgpr_workgroup_id_z 0
		.amdhsa_system_sgpr_workgroup_info 0
		.amdhsa_system_vgpr_workitem_id 0
		.amdhsa_next_free_vgpr 17
		.amdhsa_next_free_sgpr 9
		.amdhsa_named_barrier_count 0
		.amdhsa_reserve_vcc 1
		.amdhsa_float_round_mode_32 0
		.amdhsa_float_round_mode_16_64 0
		.amdhsa_float_denorm_mode_32 3
		.amdhsa_float_denorm_mode_16_64 3
		.amdhsa_fp16_overflow 0
		.amdhsa_memory_ordered 1
		.amdhsa_forward_progress 1
		.amdhsa_inst_pref_size 4
		.amdhsa_round_robin_scheduling 0
		.amdhsa_exception_fp_ieee_invalid_op 0
		.amdhsa_exception_fp_denorm_src 0
		.amdhsa_exception_fp_ieee_div_zero 0
		.amdhsa_exception_fp_ieee_overflow 0
		.amdhsa_exception_fp_ieee_underflow 0
		.amdhsa_exception_fp_ieee_inexact 0
		.amdhsa_exception_int_div_zero 0
	.end_amdhsa_kernel
	.section	.text._Z6kernelI13subtract_leftLj256ELj4ELb0EJPfS1_jEEvDpT3_,"axG",@progbits,_Z6kernelI13subtract_leftLj256ELj4ELb0EJPfS1_jEEvDpT3_,comdat
.Lfunc_end8:
	.size	_Z6kernelI13subtract_leftLj256ELj4ELb0EJPfS1_jEEvDpT3_, .Lfunc_end8-_Z6kernelI13subtract_leftLj256ELj4ELb0EJPfS1_jEEvDpT3_
                                        ; -- End function
	.set _Z6kernelI13subtract_leftLj256ELj4ELb0EJPfS1_jEEvDpT3_.num_vgpr, 17
	.set _Z6kernelI13subtract_leftLj256ELj4ELb0EJPfS1_jEEvDpT3_.num_agpr, 0
	.set _Z6kernelI13subtract_leftLj256ELj4ELb0EJPfS1_jEEvDpT3_.numbered_sgpr, 9
	.set _Z6kernelI13subtract_leftLj256ELj4ELb0EJPfS1_jEEvDpT3_.num_named_barrier, 0
	.set _Z6kernelI13subtract_leftLj256ELj4ELb0EJPfS1_jEEvDpT3_.private_seg_size, 0
	.set _Z6kernelI13subtract_leftLj256ELj4ELb0EJPfS1_jEEvDpT3_.uses_vcc, 1
	.set _Z6kernelI13subtract_leftLj256ELj4ELb0EJPfS1_jEEvDpT3_.uses_flat_scratch, 0
	.set _Z6kernelI13subtract_leftLj256ELj4ELb0EJPfS1_jEEvDpT3_.has_dyn_sized_stack, 0
	.set _Z6kernelI13subtract_leftLj256ELj4ELb0EJPfS1_jEEvDpT3_.has_recursion, 0
	.set _Z6kernelI13subtract_leftLj256ELj4ELb0EJPfS1_jEEvDpT3_.has_indirect_call, 0
	.section	.AMDGPU.csdata,"",@progbits
; Kernel info:
; codeLenInByte = 388
; TotalNumSgprs: 11
; NumVgprs: 17
; ScratchSize: 0
; MemoryBound: 0
; FloatMode: 240
; IeeeMode: 1
; LDSByteSize: 2048 bytes/workgroup (compile time only)
; SGPRBlocks: 0
; VGPRBlocks: 1
; NumSGPRsForWavesPerEU: 11
; NumVGPRsForWavesPerEU: 17
; NamedBarCnt: 0
; Occupancy: 16
; WaveLimiterHint : 1
; COMPUTE_PGM_RSRC2:SCRATCH_EN: 0
; COMPUTE_PGM_RSRC2:USER_SGPR: 2
; COMPUTE_PGM_RSRC2:TRAP_HANDLER: 0
; COMPUTE_PGM_RSRC2:TGID_X_EN: 1
; COMPUTE_PGM_RSRC2:TGID_Y_EN: 0
; COMPUTE_PGM_RSRC2:TGID_Z_EN: 0
; COMPUTE_PGM_RSRC2:TIDIG_COMP_CNT: 0
	.section	.text._Z6kernelI13subtract_leftLj256ELj8ELb0EJPfS1_jEEvDpT3_,"axG",@progbits,_Z6kernelI13subtract_leftLj256ELj8ELb0EJPfS1_jEEvDpT3_,comdat
	.protected	_Z6kernelI13subtract_leftLj256ELj8ELb0EJPfS1_jEEvDpT3_ ; -- Begin function _Z6kernelI13subtract_leftLj256ELj8ELb0EJPfS1_jEEvDpT3_
	.globl	_Z6kernelI13subtract_leftLj256ELj8ELb0EJPfS1_jEEvDpT3_
	.p2align	8
	.type	_Z6kernelI13subtract_leftLj256ELj8ELb0EJPfS1_jEEvDpT3_,@function
_Z6kernelI13subtract_leftLj256ELj8ELb0EJPfS1_jEEvDpT3_: ; @_Z6kernelI13subtract_leftLj256ELj8ELb0EJPfS1_jEEvDpT3_
; %bb.0:
	s_load_b128 s[4:7], s[0:1], 0x0
	s_bfe_u32 s2, ttmp6, 0x4000c
	s_and_b32 s3, ttmp6, 15
	s_add_co_i32 s2, s2, 1
	s_getreg_b32 s8, hwreg(HW_REG_IB_STS2, 6, 4)
	s_mul_i32 s2, ttmp9, s2
	s_wait_xcnt 0x0
	s_load_b32 s0, s[0:1], 0x10
	s_add_co_i32 s3, s3, s2
	s_cmp_eq_u32 s8, 0
	s_cselect_b32 s2, ttmp9, s3
	s_mov_b32 s3, 0
	s_lshl_b32 s2, s2, 11
	s_delay_alu instid0(SALU_CYCLE_1)
	s_lshl_b64 s[2:3], s[2:3], 2
	s_wait_kmcnt 0x0
	s_add_nc_u64 s[4:5], s[4:5], s[2:3]
	s_clause 0x7
	global_load_b32 v4, v0, s[4:5] scale_offset
	global_load_b32 v10, v0, s[4:5] offset:1024 scale_offset
	global_load_b32 v6, v0, s[4:5] offset:2048 scale_offset
	;; [unrolled: 1-line block ×7, first 2 shown]
	s_cmp_eq_u32 s0, 0
	s_cbranch_scc1 .LBB9_5
; %bb.1:
	v_lshlrev_b32_e32 v1, 2, v0
	v_cmp_ne_u32_e32 vcc_lo, 0, v0
	s_delay_alu instid0(VALU_DEP_2)
	v_add_nc_u32_e32 v18, -4, v1
	s_branch .LBB9_3
.LBB9_2:                                ;   in Loop: Header=BB9_3 Depth=1
	s_or_b32 exec_lo, exec_lo, s1
	v_dual_mov_b32 v9, v14 :: v_dual_mov_b32 v7, v12
	v_dual_mov_b32 v11, v6 :: v_dual_mov_b32 v13, v8
	;; [unrolled: 1-line block ×3, first 2 shown]
	v_sub_f32_e32 v17, v10, v4
	s_delay_alu instid0(VALU_DEP_3) | instskip(NEXT) | instid1(VALU_DEP_4)
	v_pk_add_f32 v[10:11], v[6:7], v[10:11] neg_lo:[0,1] neg_hi:[0,1]
	v_pk_add_f32 v[12:13], v[8:9], v[12:13] neg_lo:[0,1] neg_hi:[0,1]
	s_delay_alu instid0(VALU_DEP_4)
	v_pk_add_f32 v[14:15], v[2:3], v[14:15] neg_lo:[0,1] neg_hi:[0,1]
	s_add_co_i32 s0, s0, -1
	v_pk_add_f32 v[4:5], v[4:5], v[16:17]
	v_pk_add_f32 v[6:7], v[6:7], v[10:11]
	;; [unrolled: 1-line block ×4, first 2 shown]
	s_cmp_lg_u32 s0, 0
	s_delay_alu instid0(VALU_DEP_3) | instskip(NEXT) | instid1(VALU_DEP_3)
	v_dual_mov_b32 v10, v5 :: v_dual_mov_b32 v12, v7
	v_mov_b32_e32 v14, v9
	s_barrier_signal -1
	s_barrier_wait -1
	s_cbranch_scc0 .LBB9_5
.LBB9_3:                                ; =>This Inner Loop Header: Depth=1
	s_wait_loadcnt 0x7
	v_mov_b32_e32 v16, v4
	s_wait_loadcnt 0x0
	ds_store_b32 v1, v3
	s_wait_dscnt 0x0
	s_barrier_signal -1
	s_barrier_wait -1
	s_and_saveexec_b32 s1, vcc_lo
	s_cbranch_execz .LBB9_2
; %bb.4:                                ;   in Loop: Header=BB9_3 Depth=1
	ds_load_b32 v5, v18
	s_wait_dscnt 0x0
	v_sub_f32_e32 v16, v4, v5
	s_branch .LBB9_2
.LBB9_5:
	s_add_nc_u64 s[0:1], s[6:7], s[2:3]
	s_wait_loadcnt 0x7
	global_store_b32 v0, v4, s[0:1] scale_offset
	s_wait_loadcnt 0x6
	global_store_b32 v0, v10, s[0:1] offset:1024 scale_offset
	s_wait_loadcnt 0x5
	global_store_b32 v0, v6, s[0:1] offset:2048 scale_offset
	;; [unrolled: 2-line block ×7, first 2 shown]
	s_endpgm
	.section	.rodata,"a",@progbits
	.p2align	6, 0x0
	.amdhsa_kernel _Z6kernelI13subtract_leftLj256ELj8ELb0EJPfS1_jEEvDpT3_
		.amdhsa_group_segment_fixed_size 2048
		.amdhsa_private_segment_fixed_size 0
		.amdhsa_kernarg_size 20
		.amdhsa_user_sgpr_count 2
		.amdhsa_user_sgpr_dispatch_ptr 0
		.amdhsa_user_sgpr_queue_ptr 0
		.amdhsa_user_sgpr_kernarg_segment_ptr 1
		.amdhsa_user_sgpr_dispatch_id 0
		.amdhsa_user_sgpr_kernarg_preload_length 0
		.amdhsa_user_sgpr_kernarg_preload_offset 0
		.amdhsa_user_sgpr_private_segment_size 0
		.amdhsa_wavefront_size32 1
		.amdhsa_uses_dynamic_stack 0
		.amdhsa_enable_private_segment 0
		.amdhsa_system_sgpr_workgroup_id_x 1
		.amdhsa_system_sgpr_workgroup_id_y 0
		.amdhsa_system_sgpr_workgroup_id_z 0
		.amdhsa_system_sgpr_workgroup_info 0
		.amdhsa_system_vgpr_workitem_id 0
		.amdhsa_next_free_vgpr 19
		.amdhsa_next_free_sgpr 9
		.amdhsa_named_barrier_count 0
		.amdhsa_reserve_vcc 1
		.amdhsa_float_round_mode_32 0
		.amdhsa_float_round_mode_16_64 0
		.amdhsa_float_denorm_mode_32 3
		.amdhsa_float_denorm_mode_16_64 3
		.amdhsa_fp16_overflow 0
		.amdhsa_memory_ordered 1
		.amdhsa_forward_progress 1
		.amdhsa_inst_pref_size 5
		.amdhsa_round_robin_scheduling 0
		.amdhsa_exception_fp_ieee_invalid_op 0
		.amdhsa_exception_fp_denorm_src 0
		.amdhsa_exception_fp_ieee_div_zero 0
		.amdhsa_exception_fp_ieee_overflow 0
		.amdhsa_exception_fp_ieee_underflow 0
		.amdhsa_exception_fp_ieee_inexact 0
		.amdhsa_exception_int_div_zero 0
	.end_amdhsa_kernel
	.section	.text._Z6kernelI13subtract_leftLj256ELj8ELb0EJPfS1_jEEvDpT3_,"axG",@progbits,_Z6kernelI13subtract_leftLj256ELj8ELb0EJPfS1_jEEvDpT3_,comdat
.Lfunc_end9:
	.size	_Z6kernelI13subtract_leftLj256ELj8ELb0EJPfS1_jEEvDpT3_, .Lfunc_end9-_Z6kernelI13subtract_leftLj256ELj8ELb0EJPfS1_jEEvDpT3_
                                        ; -- End function
	.set _Z6kernelI13subtract_leftLj256ELj8ELb0EJPfS1_jEEvDpT3_.num_vgpr, 19
	.set _Z6kernelI13subtract_leftLj256ELj8ELb0EJPfS1_jEEvDpT3_.num_agpr, 0
	.set _Z6kernelI13subtract_leftLj256ELj8ELb0EJPfS1_jEEvDpT3_.numbered_sgpr, 9
	.set _Z6kernelI13subtract_leftLj256ELj8ELb0EJPfS1_jEEvDpT3_.num_named_barrier, 0
	.set _Z6kernelI13subtract_leftLj256ELj8ELb0EJPfS1_jEEvDpT3_.private_seg_size, 0
	.set _Z6kernelI13subtract_leftLj256ELj8ELb0EJPfS1_jEEvDpT3_.uses_vcc, 1
	.set _Z6kernelI13subtract_leftLj256ELj8ELb0EJPfS1_jEEvDpT3_.uses_flat_scratch, 0
	.set _Z6kernelI13subtract_leftLj256ELj8ELb0EJPfS1_jEEvDpT3_.has_dyn_sized_stack, 0
	.set _Z6kernelI13subtract_leftLj256ELj8ELb0EJPfS1_jEEvDpT3_.has_recursion, 0
	.set _Z6kernelI13subtract_leftLj256ELj8ELb0EJPfS1_jEEvDpT3_.has_indirect_call, 0
	.section	.AMDGPU.csdata,"",@progbits
; Kernel info:
; codeLenInByte = 552
; TotalNumSgprs: 11
; NumVgprs: 19
; ScratchSize: 0
; MemoryBound: 0
; FloatMode: 240
; IeeeMode: 1
; LDSByteSize: 2048 bytes/workgroup (compile time only)
; SGPRBlocks: 0
; VGPRBlocks: 1
; NumSGPRsForWavesPerEU: 11
; NumVGPRsForWavesPerEU: 19
; NamedBarCnt: 0
; Occupancy: 16
; WaveLimiterHint : 1
; COMPUTE_PGM_RSRC2:SCRATCH_EN: 0
; COMPUTE_PGM_RSRC2:USER_SGPR: 2
; COMPUTE_PGM_RSRC2:TRAP_HANDLER: 0
; COMPUTE_PGM_RSRC2:TGID_X_EN: 1
; COMPUTE_PGM_RSRC2:TGID_Y_EN: 0
; COMPUTE_PGM_RSRC2:TGID_Z_EN: 0
; COMPUTE_PGM_RSRC2:TIDIG_COMP_CNT: 0
	.section	.text._Z6kernelI13subtract_leftLj256ELj16ELb0EJPfS1_jEEvDpT3_,"axG",@progbits,_Z6kernelI13subtract_leftLj256ELj16ELb0EJPfS1_jEEvDpT3_,comdat
	.protected	_Z6kernelI13subtract_leftLj256ELj16ELb0EJPfS1_jEEvDpT3_ ; -- Begin function _Z6kernelI13subtract_leftLj256ELj16ELb0EJPfS1_jEEvDpT3_
	.globl	_Z6kernelI13subtract_leftLj256ELj16ELb0EJPfS1_jEEvDpT3_
	.p2align	8
	.type	_Z6kernelI13subtract_leftLj256ELj16ELb0EJPfS1_jEEvDpT3_,@function
_Z6kernelI13subtract_leftLj256ELj16ELb0EJPfS1_jEEvDpT3_: ; @_Z6kernelI13subtract_leftLj256ELj16ELb0EJPfS1_jEEvDpT3_
; %bb.0:
	s_load_b128 s[4:7], s[0:1], 0x0
	s_bfe_u32 s2, ttmp6, 0x4000c
	s_and_b32 s3, ttmp6, 15
	s_add_co_i32 s2, s2, 1
	s_getreg_b32 s8, hwreg(HW_REG_IB_STS2, 6, 4)
	s_mul_i32 s2, ttmp9, s2
	s_wait_xcnt 0x0
	s_load_b32 s0, s[0:1], 0x10
	s_add_co_i32 s3, s3, s2
	s_cmp_eq_u32 s8, 0
	s_cselect_b32 s2, ttmp9, s3
	s_mov_b32 s3, 0
	s_lshl_b32 s2, s2, 12
	s_delay_alu instid0(SALU_CYCLE_1)
	s_lshl_b64 s[2:3], s[2:3], 2
	s_wait_kmcnt 0x0
	s_add_nc_u64 s[4:5], s[4:5], s[2:3]
	s_clause 0xf
	global_load_b32 v3, v0, s[4:5] scale_offset
	global_load_b32 v2, v0, s[4:5] offset:1024 scale_offset
	global_load_b32 v4, v0, s[4:5] offset:2048 scale_offset
	;; [unrolled: 1-line block ×15, first 2 shown]
	s_cmp_eq_u32 s0, 0
	s_cbranch_scc1 .LBB10_5
; %bb.1:
	v_lshlrev_b32_e32 v1, 2, v0
	v_cmp_ne_u32_e32 vcc_lo, 0, v0
	s_delay_alu instid0(VALU_DEP_2)
	v_add_nc_u32_e32 v18, -4, v1
	s_branch .LBB10_3
.LBB10_2:                               ;   in Loop: Header=BB10_3 Depth=1
	s_or_b32 exec_lo, exec_lo, s1
	v_dual_mov_b32 v32, v3 :: v_dual_mov_b32 v34, v2
	v_dual_mov_b32 v20, v15 :: v_dual_mov_b32 v21, v16
	;; [unrolled: 1-line block ×7, first 2 shown]
	v_mov_b32_e32 v29, v8
	v_pk_add_f32 v[32:33], v[2:3], v[32:33] neg_lo:[0,1] neg_hi:[0,1]
	v_pk_add_f32 v[20:21], v[16:17], v[20:21] neg_lo:[0,1] neg_hi:[0,1]
	;; [unrolled: 1-line block ×4, first 2 shown]
	v_mov_b32_e32 v33, v19
	v_pk_add_f32 v[34:35], v[4:5], v[34:35] neg_lo:[0,1] neg_hi:[0,1]
	v_pk_add_f32 v[30:31], v[6:7], v[30:31] neg_lo:[0,1] neg_hi:[0,1]
	;; [unrolled: 1-line block ×4, first 2 shown]
	v_pk_add_f32 v[2:3], v[2:3], v[32:33]
	v_pk_add_f32 v[4:5], v[4:5], v[34:35]
	;; [unrolled: 1-line block ×8, first 2 shown]
	s_add_co_i32 s0, s0, -1
	s_delay_alu instid0(SALU_CYCLE_1)
	s_cmp_lg_u32 s0, 0
	s_barrier_signal -1
	s_barrier_wait -1
	s_cbranch_scc0 .LBB10_5
.LBB10_3:                               ; =>This Inner Loop Header: Depth=1
	s_wait_loadcnt 0xf
	v_mov_b32_e32 v19, v3
	s_wait_loadcnt 0x0
	ds_store_b32 v1, v17
	s_wait_dscnt 0x0
	s_barrier_signal -1
	s_barrier_wait -1
	s_and_saveexec_b32 s1, vcc_lo
	s_cbranch_execz .LBB10_2
; %bb.4:                                ;   in Loop: Header=BB10_3 Depth=1
	ds_load_b32 v19, v18
	s_wait_dscnt 0x0
	v_sub_f32_e32 v19, v3, v19
	s_branch .LBB10_2
.LBB10_5:
	s_add_nc_u64 s[0:1], s[6:7], s[2:3]
	s_wait_loadcnt 0xf
	global_store_b32 v0, v3, s[0:1] scale_offset
	s_wait_loadcnt 0xe
	global_store_b32 v0, v2, s[0:1] offset:1024 scale_offset
	s_wait_loadcnt 0xd
	global_store_b32 v0, v4, s[0:1] offset:2048 scale_offset
	;; [unrolled: 2-line block ×15, first 2 shown]
	s_endpgm
	.section	.rodata,"a",@progbits
	.p2align	6, 0x0
	.amdhsa_kernel _Z6kernelI13subtract_leftLj256ELj16ELb0EJPfS1_jEEvDpT3_
		.amdhsa_group_segment_fixed_size 2048
		.amdhsa_private_segment_fixed_size 0
		.amdhsa_kernarg_size 20
		.amdhsa_user_sgpr_count 2
		.amdhsa_user_sgpr_dispatch_ptr 0
		.amdhsa_user_sgpr_queue_ptr 0
		.amdhsa_user_sgpr_kernarg_segment_ptr 1
		.amdhsa_user_sgpr_dispatch_id 0
		.amdhsa_user_sgpr_kernarg_preload_length 0
		.amdhsa_user_sgpr_kernarg_preload_offset 0
		.amdhsa_user_sgpr_private_segment_size 0
		.amdhsa_wavefront_size32 1
		.amdhsa_uses_dynamic_stack 0
		.amdhsa_enable_private_segment 0
		.amdhsa_system_sgpr_workgroup_id_x 1
		.amdhsa_system_sgpr_workgroup_id_y 0
		.amdhsa_system_sgpr_workgroup_id_z 0
		.amdhsa_system_sgpr_workgroup_info 0
		.amdhsa_system_vgpr_workitem_id 0
		.amdhsa_next_free_vgpr 36
		.amdhsa_next_free_sgpr 9
		.amdhsa_named_barrier_count 0
		.amdhsa_reserve_vcc 1
		.amdhsa_float_round_mode_32 0
		.amdhsa_float_round_mode_16_64 0
		.amdhsa_float_denorm_mode_32 3
		.amdhsa_float_denorm_mode_16_64 3
		.amdhsa_fp16_overflow 0
		.amdhsa_memory_ordered 1
		.amdhsa_forward_progress 1
		.amdhsa_inst_pref_size 7
		.amdhsa_round_robin_scheduling 0
		.amdhsa_exception_fp_ieee_invalid_op 0
		.amdhsa_exception_fp_denorm_src 0
		.amdhsa_exception_fp_ieee_div_zero 0
		.amdhsa_exception_fp_ieee_overflow 0
		.amdhsa_exception_fp_ieee_underflow 0
		.amdhsa_exception_fp_ieee_inexact 0
		.amdhsa_exception_int_div_zero 0
	.end_amdhsa_kernel
	.section	.text._Z6kernelI13subtract_leftLj256ELj16ELb0EJPfS1_jEEvDpT3_,"axG",@progbits,_Z6kernelI13subtract_leftLj256ELj16ELb0EJPfS1_jEEvDpT3_,comdat
.Lfunc_end10:
	.size	_Z6kernelI13subtract_leftLj256ELj16ELb0EJPfS1_jEEvDpT3_, .Lfunc_end10-_Z6kernelI13subtract_leftLj256ELj16ELb0EJPfS1_jEEvDpT3_
                                        ; -- End function
	.set _Z6kernelI13subtract_leftLj256ELj16ELb0EJPfS1_jEEvDpT3_.num_vgpr, 36
	.set _Z6kernelI13subtract_leftLj256ELj16ELb0EJPfS1_jEEvDpT3_.num_agpr, 0
	.set _Z6kernelI13subtract_leftLj256ELj16ELb0EJPfS1_jEEvDpT3_.numbered_sgpr, 9
	.set _Z6kernelI13subtract_leftLj256ELj16ELb0EJPfS1_jEEvDpT3_.num_named_barrier, 0
	.set _Z6kernelI13subtract_leftLj256ELj16ELb0EJPfS1_jEEvDpT3_.private_seg_size, 0
	.set _Z6kernelI13subtract_leftLj256ELj16ELb0EJPfS1_jEEvDpT3_.uses_vcc, 1
	.set _Z6kernelI13subtract_leftLj256ELj16ELb0EJPfS1_jEEvDpT3_.uses_flat_scratch, 0
	.set _Z6kernelI13subtract_leftLj256ELj16ELb0EJPfS1_jEEvDpT3_.has_dyn_sized_stack, 0
	.set _Z6kernelI13subtract_leftLj256ELj16ELb0EJPfS1_jEEvDpT3_.has_recursion, 0
	.set _Z6kernelI13subtract_leftLj256ELj16ELb0EJPfS1_jEEvDpT3_.has_indirect_call, 0
	.section	.AMDGPU.csdata,"",@progbits
; Kernel info:
; codeLenInByte = 860
; TotalNumSgprs: 11
; NumVgprs: 36
; ScratchSize: 0
; MemoryBound: 0
; FloatMode: 240
; IeeeMode: 1
; LDSByteSize: 2048 bytes/workgroup (compile time only)
; SGPRBlocks: 0
; VGPRBlocks: 2
; NumSGPRsForWavesPerEU: 11
; NumVGPRsForWavesPerEU: 36
; NamedBarCnt: 0
; Occupancy: 16
; WaveLimiterHint : 1
; COMPUTE_PGM_RSRC2:SCRATCH_EN: 0
; COMPUTE_PGM_RSRC2:USER_SGPR: 2
; COMPUTE_PGM_RSRC2:TRAP_HANDLER: 0
; COMPUTE_PGM_RSRC2:TGID_X_EN: 1
; COMPUTE_PGM_RSRC2:TGID_Y_EN: 0
; COMPUTE_PGM_RSRC2:TGID_Z_EN: 0
; COMPUTE_PGM_RSRC2:TIDIG_COMP_CNT: 0
	.section	.text._Z6kernelI13subtract_leftLj256ELj32ELb0EJPfS1_jEEvDpT3_,"axG",@progbits,_Z6kernelI13subtract_leftLj256ELj32ELb0EJPfS1_jEEvDpT3_,comdat
	.protected	_Z6kernelI13subtract_leftLj256ELj32ELb0EJPfS1_jEEvDpT3_ ; -- Begin function _Z6kernelI13subtract_leftLj256ELj32ELb0EJPfS1_jEEvDpT3_
	.globl	_Z6kernelI13subtract_leftLj256ELj32ELb0EJPfS1_jEEvDpT3_
	.p2align	8
	.type	_Z6kernelI13subtract_leftLj256ELj32ELb0EJPfS1_jEEvDpT3_,@function
_Z6kernelI13subtract_leftLj256ELj32ELb0EJPfS1_jEEvDpT3_: ; @_Z6kernelI13subtract_leftLj256ELj32ELb0EJPfS1_jEEvDpT3_
; %bb.0:
	s_load_b128 s[4:7], s[0:1], 0x0
	s_bfe_u32 s2, ttmp6, 0x4000c
	s_and_b32 s3, ttmp6, 15
	s_add_co_i32 s2, s2, 1
	s_getreg_b32 s8, hwreg(HW_REG_IB_STS2, 6, 4)
	s_mul_i32 s2, ttmp9, s2
	s_wait_xcnt 0x0
	s_load_b32 s0, s[0:1], 0x10
	s_add_co_i32 s3, s3, s2
	s_cmp_eq_u32 s8, 0
	s_cselect_b32 s2, ttmp9, s3
	s_mov_b32 s3, 0
	s_lshl_b32 s2, s2, 13
	s_delay_alu instid0(SALU_CYCLE_1)
	s_lshl_b64 s[2:3], s[2:3], 2
	s_wait_kmcnt 0x0
	s_add_nc_u64 s[4:5], s[4:5], s[2:3]
	s_clause 0x1f
	global_load_b32 v3, v0, s[4:5] scale_offset
	global_load_b32 v2, v0, s[4:5] offset:1024 scale_offset
	global_load_b32 v4, v0, s[4:5] offset:2048 scale_offset
	;; [unrolled: 1-line block ×31, first 2 shown]
	s_cmp_eq_u32 s0, 0
	s_cbranch_scc1 .LBB11_5
; %bb.1:
	v_lshlrev_b32_e32 v1, 2, v0
	v_cmp_ne_u32_e32 vcc_lo, 0, v0
	s_delay_alu instid0(VALU_DEP_2)
	v_add_nc_u32_e32 v34, -4, v1
	s_branch .LBB11_3
.LBB11_2:                               ;   in Loop: Header=BB11_3 Depth=1
	s_or_b32 exec_lo, exec_lo, s1
	v_dual_mov_b32 v44, v23 :: v_dual_mov_b32 v46, v3
	v_dual_mov_b32 v50, v2 :: v_dual_mov_b32 v51, v4
	;; [unrolled: 1-line block ×3, first 2 shown]
	v_mov_b32_e32 v55, v12
	s_delay_alu instid0(VALU_DEP_4) | instskip(SKIP_4) | instid1(VALU_DEP_4)
	v_pk_add_f32 v[46:47], v[2:3], v[46:47] neg_lo:[0,1] neg_hi:[0,1]
	v_dual_mov_b32 v47, v35 :: v_dual_mov_b32 v49, v22
	v_pk_add_f32 v[50:51], v[4:5], v[50:51] neg_lo:[0,1] neg_hi:[0,1]
	v_mov_b32_e32 v53, v10
	v_pk_add_f32 v[54:55], v[12:13], v[54:55] neg_lo:[0,1] neg_hi:[0,1]
	v_pk_add_f32 v[2:3], v[2:3], v[46:47]
	v_dual_mov_b32 v46, v5 :: v_dual_mov_b32 v47, v6
	v_pk_add_f32 v[4:5], v[4:5], v[50:51]
	v_dual_mov_b32 v50, v7 :: v_dual_mov_b32 v51, v8
	v_pk_add_f32 v[52:53], v[10:11], v[52:53] neg_lo:[0,1] neg_hi:[0,1]
	s_delay_alu instid0(VALU_DEP_4) | instskip(SKIP_1) | instid1(VALU_DEP_4)
	v_pk_add_f32 v[46:47], v[6:7], v[46:47] neg_lo:[0,1] neg_hi:[0,1]
	v_dual_mov_b32 v36, v31 :: v_dual_mov_b32 v37, v32
	v_pk_add_f32 v[50:51], v[8:9], v[50:51] neg_lo:[0,1] neg_hi:[0,1]
	v_dual_mov_b32 v38, v29 :: v_dual_mov_b32 v39, v30
	v_dual_mov_b32 v40, v27 :: v_dual_mov_b32 v41, v28
	;; [unrolled: 1-line block ×4, first 2 shown]
	v_pk_add_f32 v[6:7], v[6:7], v[46:47]
	v_mov_b32_e32 v46, v19
	v_pk_add_f32 v[8:9], v[8:9], v[50:51]
	v_mov_b32_e32 v50, v17
	;; [unrolled: 2-line block ×3, first 2 shown]
	v_pk_add_f32 v[12:13], v[12:13], v[54:55]
	v_dual_mov_b32 v54, v15 :: v_dual_mov_b32 v53, v14
	v_dual_mov_b32 v55, v16 :: v_dual_mov_b32 v51, v18
	v_mov_b32_e32 v47, v20
	v_pk_add_f32 v[36:37], v[32:33], v[36:37] neg_lo:[0,1] neg_hi:[0,1]
	v_pk_add_f32 v[38:39], v[30:31], v[38:39] neg_lo:[0,1] neg_hi:[0,1]
	;; [unrolled: 1-line block ×10, first 2 shown]
	v_pk_add_f32 v[14:15], v[14:15], v[52:53]
	v_pk_add_f32 v[16:17], v[16:17], v[54:55]
	;; [unrolled: 1-line block ×10, first 2 shown]
	s_add_co_i32 s0, s0, -1
	s_delay_alu instid0(SALU_CYCLE_1)
	s_cmp_lg_u32 s0, 0
	s_barrier_signal -1
	s_barrier_wait -1
	s_cbranch_scc0 .LBB11_5
.LBB11_3:                               ; =>This Inner Loop Header: Depth=1
	s_wait_loadcnt 0x1f
	v_mov_b32_e32 v35, v3
	s_wait_loadcnt 0x0
	ds_store_b32 v1, v33
	s_wait_dscnt 0x0
	s_barrier_signal -1
	s_barrier_wait -1
	s_and_saveexec_b32 s1, vcc_lo
	s_cbranch_execz .LBB11_2
; %bb.4:                                ;   in Loop: Header=BB11_3 Depth=1
	ds_load_b32 v35, v34
	s_wait_dscnt 0x0
	v_sub_f32_e32 v35, v3, v35
	s_branch .LBB11_2
.LBB11_5:
	s_add_nc_u64 s[0:1], s[6:7], s[2:3]
	s_wait_loadcnt 0x1f
	global_store_b32 v0, v3, s[0:1] scale_offset
	s_wait_loadcnt 0x1e
	global_store_b32 v0, v2, s[0:1] offset:1024 scale_offset
	s_wait_loadcnt 0x1d
	global_store_b32 v0, v4, s[0:1] offset:2048 scale_offset
	;; [unrolled: 2-line block ×31, first 2 shown]
	s_endpgm
	.section	.rodata,"a",@progbits
	.p2align	6, 0x0
	.amdhsa_kernel _Z6kernelI13subtract_leftLj256ELj32ELb0EJPfS1_jEEvDpT3_
		.amdhsa_group_segment_fixed_size 2048
		.amdhsa_private_segment_fixed_size 0
		.amdhsa_kernarg_size 20
		.amdhsa_user_sgpr_count 2
		.amdhsa_user_sgpr_dispatch_ptr 0
		.amdhsa_user_sgpr_queue_ptr 0
		.amdhsa_user_sgpr_kernarg_segment_ptr 1
		.amdhsa_user_sgpr_dispatch_id 0
		.amdhsa_user_sgpr_kernarg_preload_length 0
		.amdhsa_user_sgpr_kernarg_preload_offset 0
		.amdhsa_user_sgpr_private_segment_size 0
		.amdhsa_wavefront_size32 1
		.amdhsa_uses_dynamic_stack 0
		.amdhsa_enable_private_segment 0
		.amdhsa_system_sgpr_workgroup_id_x 1
		.amdhsa_system_sgpr_workgroup_id_y 0
		.amdhsa_system_sgpr_workgroup_id_z 0
		.amdhsa_system_sgpr_workgroup_info 0
		.amdhsa_system_vgpr_workitem_id 0
		.amdhsa_next_free_vgpr 56
		.amdhsa_next_free_sgpr 9
		.amdhsa_named_barrier_count 0
		.amdhsa_reserve_vcc 1
		.amdhsa_float_round_mode_32 0
		.amdhsa_float_round_mode_16_64 0
		.amdhsa_float_denorm_mode_32 3
		.amdhsa_float_denorm_mode_16_64 3
		.amdhsa_fp16_overflow 0
		.amdhsa_memory_ordered 1
		.amdhsa_forward_progress 1
		.amdhsa_inst_pref_size 12
		.amdhsa_round_robin_scheduling 0
		.amdhsa_exception_fp_ieee_invalid_op 0
		.amdhsa_exception_fp_denorm_src 0
		.amdhsa_exception_fp_ieee_div_zero 0
		.amdhsa_exception_fp_ieee_overflow 0
		.amdhsa_exception_fp_ieee_underflow 0
		.amdhsa_exception_fp_ieee_inexact 0
		.amdhsa_exception_int_div_zero 0
	.end_amdhsa_kernel
	.section	.text._Z6kernelI13subtract_leftLj256ELj32ELb0EJPfS1_jEEvDpT3_,"axG",@progbits,_Z6kernelI13subtract_leftLj256ELj32ELb0EJPfS1_jEEvDpT3_,comdat
.Lfunc_end11:
	.size	_Z6kernelI13subtract_leftLj256ELj32ELb0EJPfS1_jEEvDpT3_, .Lfunc_end11-_Z6kernelI13subtract_leftLj256ELj32ELb0EJPfS1_jEEvDpT3_
                                        ; -- End function
	.set _Z6kernelI13subtract_leftLj256ELj32ELb0EJPfS1_jEEvDpT3_.num_vgpr, 56
	.set _Z6kernelI13subtract_leftLj256ELj32ELb0EJPfS1_jEEvDpT3_.num_agpr, 0
	.set _Z6kernelI13subtract_leftLj256ELj32ELb0EJPfS1_jEEvDpT3_.numbered_sgpr, 9
	.set _Z6kernelI13subtract_leftLj256ELj32ELb0EJPfS1_jEEvDpT3_.num_named_barrier, 0
	.set _Z6kernelI13subtract_leftLj256ELj32ELb0EJPfS1_jEEvDpT3_.private_seg_size, 0
	.set _Z6kernelI13subtract_leftLj256ELj32ELb0EJPfS1_jEEvDpT3_.uses_vcc, 1
	.set _Z6kernelI13subtract_leftLj256ELj32ELb0EJPfS1_jEEvDpT3_.uses_flat_scratch, 0
	.set _Z6kernelI13subtract_leftLj256ELj32ELb0EJPfS1_jEEvDpT3_.has_dyn_sized_stack, 0
	.set _Z6kernelI13subtract_leftLj256ELj32ELb0EJPfS1_jEEvDpT3_.has_recursion, 0
	.set _Z6kernelI13subtract_leftLj256ELj32ELb0EJPfS1_jEEvDpT3_.has_indirect_call, 0
	.section	.AMDGPU.csdata,"",@progbits
; Kernel info:
; codeLenInByte = 1512
; TotalNumSgprs: 11
; NumVgprs: 56
; ScratchSize: 0
; MemoryBound: 0
; FloatMode: 240
; IeeeMode: 1
; LDSByteSize: 2048 bytes/workgroup (compile time only)
; SGPRBlocks: 0
; VGPRBlocks: 3
; NumSGPRsForWavesPerEU: 11
; NumVGPRsForWavesPerEU: 56
; NamedBarCnt: 0
; Occupancy: 16
; WaveLimiterHint : 1
; COMPUTE_PGM_RSRC2:SCRATCH_EN: 0
; COMPUTE_PGM_RSRC2:USER_SGPR: 2
; COMPUTE_PGM_RSRC2:TRAP_HANDLER: 0
; COMPUTE_PGM_RSRC2:TGID_X_EN: 1
; COMPUTE_PGM_RSRC2:TGID_Y_EN: 0
; COMPUTE_PGM_RSRC2:TGID_Z_EN: 0
; COMPUTE_PGM_RSRC2:TIDIG_COMP_CNT: 0
	.section	.text._Z6kernelI13subtract_leftLj256ELj1ELb0EJPaS1_jEEvDpT3_,"axG",@progbits,_Z6kernelI13subtract_leftLj256ELj1ELb0EJPaS1_jEEvDpT3_,comdat
	.protected	_Z6kernelI13subtract_leftLj256ELj1ELb0EJPaS1_jEEvDpT3_ ; -- Begin function _Z6kernelI13subtract_leftLj256ELj1ELb0EJPaS1_jEEvDpT3_
	.globl	_Z6kernelI13subtract_leftLj256ELj1ELb0EJPaS1_jEEvDpT3_
	.p2align	8
	.type	_Z6kernelI13subtract_leftLj256ELj1ELb0EJPaS1_jEEvDpT3_,@function
_Z6kernelI13subtract_leftLj256ELj1ELb0EJPaS1_jEEvDpT3_: ; @_Z6kernelI13subtract_leftLj256ELj1ELb0EJPaS1_jEEvDpT3_
; %bb.0:
	s_load_b128 s[4:7], s[0:1], 0x0
	s_bfe_u32 s2, ttmp6, 0x4000c
	s_and_b32 s3, ttmp6, 15
	s_add_co_i32 s2, s2, 1
	s_getreg_b32 s8, hwreg(HW_REG_IB_STS2, 6, 4)
	s_mul_i32 s2, ttmp9, s2
	s_wait_xcnt 0x0
	s_load_b32 s0, s[0:1], 0x10
	s_add_co_i32 s3, s3, s2
	s_cmp_eq_u32 s8, 0
	v_mov_b32_e32 v1, 0
	s_cselect_b32 s2, ttmp9, s3
	s_mov_b32 s3, 0
	s_lshl_b32 s2, s2, 8
	s_wait_kmcnt 0x0
	s_add_nc_u64 s[4:5], s[4:5], s[2:3]
	global_load_u8 v2, v0, s[4:5]
	s_cmp_eq_u32 s0, 0
	s_cbranch_scc1 .LBB12_5
; %bb.1:
	v_add_nc_u32_e32 v3, -1, v0
	v_cmp_ne_u32_e32 vcc_lo, 0, v0
	s_branch .LBB12_3
.LBB12_2:                               ;   in Loop: Header=BB12_3 Depth=1
	s_or_b32 exec_lo, exec_lo, s1
	s_delay_alu instid0(VALU_DEP_1) | instskip(SKIP_1) | instid1(SALU_CYCLE_1)
	v_add_nc_u16 v2, v4, v2
	s_add_co_i32 s0, s0, -1
	s_cmp_lg_u32 s0, 0
	s_barrier_signal -1
	s_barrier_wait -1
	s_cbranch_scc0 .LBB12_5
.LBB12_3:                               ; =>This Inner Loop Header: Depth=1
	s_wait_loadcnt 0x0
	v_mov_b32_e32 v4, v2
	ds_store_b8 v0, v2
	s_wait_dscnt 0x0
	s_barrier_signal -1
	s_barrier_wait -1
	s_and_saveexec_b32 s1, vcc_lo
	s_cbranch_execz .LBB12_2
; %bb.4:                                ;   in Loop: Header=BB12_3 Depth=1
	ds_load_u8 v4, v3
	s_wait_dscnt 0x0
	v_sub_nc_u16 v4, v2, v4
	s_branch .LBB12_2
.LBB12_5:
	s_add_nc_u64 s[0:1], s[6:7], s[2:3]
	s_wait_xcnt 0x0
	v_add_nc_u64_e32 v[0:1], s[0:1], v[0:1]
	s_wait_loadcnt 0x0
	global_store_b8 v[0:1], v2, off
	s_endpgm
	.section	.rodata,"a",@progbits
	.p2align	6, 0x0
	.amdhsa_kernel _Z6kernelI13subtract_leftLj256ELj1ELb0EJPaS1_jEEvDpT3_
		.amdhsa_group_segment_fixed_size 512
		.amdhsa_private_segment_fixed_size 0
		.amdhsa_kernarg_size 20
		.amdhsa_user_sgpr_count 2
		.amdhsa_user_sgpr_dispatch_ptr 0
		.amdhsa_user_sgpr_queue_ptr 0
		.amdhsa_user_sgpr_kernarg_segment_ptr 1
		.amdhsa_user_sgpr_dispatch_id 0
		.amdhsa_user_sgpr_kernarg_preload_length 0
		.amdhsa_user_sgpr_kernarg_preload_offset 0
		.amdhsa_user_sgpr_private_segment_size 0
		.amdhsa_wavefront_size32 1
		.amdhsa_uses_dynamic_stack 0
		.amdhsa_enable_private_segment 0
		.amdhsa_system_sgpr_workgroup_id_x 1
		.amdhsa_system_sgpr_workgroup_id_y 0
		.amdhsa_system_sgpr_workgroup_id_z 0
		.amdhsa_system_sgpr_workgroup_info 0
		.amdhsa_system_vgpr_workitem_id 0
		.amdhsa_next_free_vgpr 5
		.amdhsa_next_free_sgpr 9
		.amdhsa_named_barrier_count 0
		.amdhsa_reserve_vcc 1
		.amdhsa_float_round_mode_32 0
		.amdhsa_float_round_mode_16_64 0
		.amdhsa_float_denorm_mode_32 3
		.amdhsa_float_denorm_mode_16_64 3
		.amdhsa_fp16_overflow 0
		.amdhsa_memory_ordered 1
		.amdhsa_forward_progress 1
		.amdhsa_inst_pref_size 2
		.amdhsa_round_robin_scheduling 0
		.amdhsa_exception_fp_ieee_invalid_op 0
		.amdhsa_exception_fp_denorm_src 0
		.amdhsa_exception_fp_ieee_div_zero 0
		.amdhsa_exception_fp_ieee_overflow 0
		.amdhsa_exception_fp_ieee_underflow 0
		.amdhsa_exception_fp_ieee_inexact 0
		.amdhsa_exception_int_div_zero 0
	.end_amdhsa_kernel
	.section	.text._Z6kernelI13subtract_leftLj256ELj1ELb0EJPaS1_jEEvDpT3_,"axG",@progbits,_Z6kernelI13subtract_leftLj256ELj1ELb0EJPaS1_jEEvDpT3_,comdat
.Lfunc_end12:
	.size	_Z6kernelI13subtract_leftLj256ELj1ELb0EJPaS1_jEEvDpT3_, .Lfunc_end12-_Z6kernelI13subtract_leftLj256ELj1ELb0EJPaS1_jEEvDpT3_
                                        ; -- End function
	.set _Z6kernelI13subtract_leftLj256ELj1ELb0EJPaS1_jEEvDpT3_.num_vgpr, 5
	.set _Z6kernelI13subtract_leftLj256ELj1ELb0EJPaS1_jEEvDpT3_.num_agpr, 0
	.set _Z6kernelI13subtract_leftLj256ELj1ELb0EJPaS1_jEEvDpT3_.numbered_sgpr, 9
	.set _Z6kernelI13subtract_leftLj256ELj1ELb0EJPaS1_jEEvDpT3_.num_named_barrier, 0
	.set _Z6kernelI13subtract_leftLj256ELj1ELb0EJPaS1_jEEvDpT3_.private_seg_size, 0
	.set _Z6kernelI13subtract_leftLj256ELj1ELb0EJPaS1_jEEvDpT3_.uses_vcc, 1
	.set _Z6kernelI13subtract_leftLj256ELj1ELb0EJPaS1_jEEvDpT3_.uses_flat_scratch, 0
	.set _Z6kernelI13subtract_leftLj256ELj1ELb0EJPaS1_jEEvDpT3_.has_dyn_sized_stack, 0
	.set _Z6kernelI13subtract_leftLj256ELj1ELb0EJPaS1_jEEvDpT3_.has_recursion, 0
	.set _Z6kernelI13subtract_leftLj256ELj1ELb0EJPaS1_jEEvDpT3_.has_indirect_call, 0
	.section	.AMDGPU.csdata,"",@progbits
; Kernel info:
; codeLenInByte = 236
; TotalNumSgprs: 11
; NumVgprs: 5
; ScratchSize: 0
; MemoryBound: 0
; FloatMode: 240
; IeeeMode: 1
; LDSByteSize: 512 bytes/workgroup (compile time only)
; SGPRBlocks: 0
; VGPRBlocks: 0
; NumSGPRsForWavesPerEU: 11
; NumVGPRsForWavesPerEU: 5
; NamedBarCnt: 0
; Occupancy: 16
; WaveLimiterHint : 0
; COMPUTE_PGM_RSRC2:SCRATCH_EN: 0
; COMPUTE_PGM_RSRC2:USER_SGPR: 2
; COMPUTE_PGM_RSRC2:TRAP_HANDLER: 0
; COMPUTE_PGM_RSRC2:TGID_X_EN: 1
; COMPUTE_PGM_RSRC2:TGID_Y_EN: 0
; COMPUTE_PGM_RSRC2:TGID_Z_EN: 0
; COMPUTE_PGM_RSRC2:TIDIG_COMP_CNT: 0
	.section	.text._Z6kernelI13subtract_leftLj256ELj3ELb0EJPaS1_jEEvDpT3_,"axG",@progbits,_Z6kernelI13subtract_leftLj256ELj3ELb0EJPaS1_jEEvDpT3_,comdat
	.protected	_Z6kernelI13subtract_leftLj256ELj3ELb0EJPaS1_jEEvDpT3_ ; -- Begin function _Z6kernelI13subtract_leftLj256ELj3ELb0EJPaS1_jEEvDpT3_
	.globl	_Z6kernelI13subtract_leftLj256ELj3ELb0EJPaS1_jEEvDpT3_
	.p2align	8
	.type	_Z6kernelI13subtract_leftLj256ELj3ELb0EJPaS1_jEEvDpT3_,@function
_Z6kernelI13subtract_leftLj256ELj3ELb0EJPaS1_jEEvDpT3_: ; @_Z6kernelI13subtract_leftLj256ELj3ELb0EJPaS1_jEEvDpT3_
; %bb.0:
	s_load_b128 s[4:7], s[0:1], 0x0
	s_bfe_u32 s2, ttmp6, 0x4000c
	s_and_b32 s3, ttmp6, 15
	s_add_co_i32 s2, s2, 1
	s_getreg_b32 s8, hwreg(HW_REG_IB_STS2, 6, 4)
	s_mul_i32 s2, ttmp9, s2
	s_wait_xcnt 0x0
	s_load_b32 s0, s[0:1], 0x10
	s_add_co_i32 s3, s3, s2
	s_cmp_eq_u32 s8, 0
	s_cselect_b32 s2, ttmp9, s3
	s_mov_b32 s3, 0
	s_mulk_i32 s2, 0x300
	s_wait_kmcnt 0x0
	s_add_nc_u64 s[4:5], s[4:5], s[2:3]
	s_clause 0x2
	global_load_u8 v1, v0, s[4:5] offset:256
	global_load_u8 v2, v0, s[4:5] offset:512
	global_load_u8 v3, v0, s[4:5]
	s_cmp_eq_u32 s0, 0
	s_wait_loadcnt 0x0
	v_perm_b32 v3, v3, v1, 0xc0c0004
	v_mov_b32_e32 v1, 0
	s_delay_alu instid0(VALU_DEP_2)
	v_lshl_or_b32 v2, v2, 16, v3
	s_cbranch_scc1 .LBB13_5
; %bb.1:
	v_add_nc_u32_e32 v3, -1, v0
	v_cmp_ne_u32_e32 vcc_lo, 0, v0
	s_branch .LBB13_3
.LBB13_2:                               ;   in Loop: Header=BB13_3 Depth=1
	s_or_b32 exec_lo, exec_lo, s1
	v_lshrrev_b32_e32 v6, 8, v2
	v_lshrrev_b16 v9, 8, v2
	s_add_co_i32 s0, s0, -1
	s_delay_alu instid0(SALU_CYCLE_1) | instskip(NEXT) | instid1(VALU_DEP_2)
	s_cmp_lg_u32 s0, 0
	v_sub_nc_u16 v7, v4, v6
	s_barrier_signal -1
	s_barrier_wait -1
	s_delay_alu instid0(VALU_DEP_1) | instskip(SKIP_1) | instid1(VALU_DEP_1)
	v_lshlrev_b16 v8, 8, v7
	v_and_b32_e32 v7, 0xff, v7
	v_add_nc_u16 v4, v7, v4
	s_delay_alu instid0(VALU_DEP_1) | instskip(NEXT) | instid1(VALU_DEP_1)
	v_and_b32_e32 v4, 0xff, v4
	v_lshlrev_b32_e32 v4, 16, v4
	v_sub_nc_u16 v6, v6, v2
	v_add_nc_u16 v2, v5, v2
	s_delay_alu instid0(VALU_DEP_2) | instskip(NEXT) | instid1(VALU_DEP_1)
	v_bitop3_b16 v6, v6, v8, 0xff bitop3:0xec
	v_add_nc_u16 v6, v6, v9
	s_delay_alu instid0(VALU_DEP_1) | instskip(NEXT) | instid1(VALU_DEP_1)
	v_lshlrev_b16 v5, 8, v6
	v_perm_b32 v2, v2, v5, 0xc0c0104
	s_delay_alu instid0(VALU_DEP_1)
	v_or_b32_e32 v2, v2, v4
	s_cbranch_scc0 .LBB13_5
.LBB13_3:                               ; =>This Inner Loop Header: Depth=1
	s_delay_alu instid0(VALU_DEP_1)
	v_dual_mov_b32 v5, v2 :: v_dual_lshrrev_b32 v4, 16, v2
	ds_store_b8 v0, v4
	s_wait_dscnt 0x0
	s_barrier_signal -1
	s_barrier_wait -1
	s_and_saveexec_b32 s1, vcc_lo
	s_cbranch_execz .LBB13_2
; %bb.4:                                ;   in Loop: Header=BB13_3 Depth=1
	ds_load_u8 v5, v3
	s_wait_dscnt 0x0
	v_sub_nc_u16 v5, v2, v5
	s_branch .LBB13_2
.LBB13_5:
	s_add_nc_u64 s[0:1], s[6:7], s[2:3]
	s_delay_alu instid0(VALU_DEP_1)
	v_lshrrev_b32_e32 v3, 8, v2
	v_add_nc_u64_e32 v[0:1], s[0:1], v[0:1]
	s_clause 0x2
	global_store_b8 v[0:1], v2, off
	global_store_b8 v[0:1], v3, off offset:256
	global_store_d16_hi_b8 v[0:1], v2, off offset:512
	s_endpgm
	.section	.rodata,"a",@progbits
	.p2align	6, 0x0
	.amdhsa_kernel _Z6kernelI13subtract_leftLj256ELj3ELb0EJPaS1_jEEvDpT3_
		.amdhsa_group_segment_fixed_size 512
		.amdhsa_private_segment_fixed_size 0
		.amdhsa_kernarg_size 20
		.amdhsa_user_sgpr_count 2
		.amdhsa_user_sgpr_dispatch_ptr 0
		.amdhsa_user_sgpr_queue_ptr 0
		.amdhsa_user_sgpr_kernarg_segment_ptr 1
		.amdhsa_user_sgpr_dispatch_id 0
		.amdhsa_user_sgpr_kernarg_preload_length 0
		.amdhsa_user_sgpr_kernarg_preload_offset 0
		.amdhsa_user_sgpr_private_segment_size 0
		.amdhsa_wavefront_size32 1
		.amdhsa_uses_dynamic_stack 0
		.amdhsa_enable_private_segment 0
		.amdhsa_system_sgpr_workgroup_id_x 1
		.amdhsa_system_sgpr_workgroup_id_y 0
		.amdhsa_system_sgpr_workgroup_id_z 0
		.amdhsa_system_sgpr_workgroup_info 0
		.amdhsa_system_vgpr_workitem_id 0
		.amdhsa_next_free_vgpr 10
		.amdhsa_next_free_sgpr 9
		.amdhsa_named_barrier_count 0
		.amdhsa_reserve_vcc 1
		.amdhsa_float_round_mode_32 0
		.amdhsa_float_round_mode_16_64 0
		.amdhsa_float_denorm_mode_32 3
		.amdhsa_float_denorm_mode_16_64 3
		.amdhsa_fp16_overflow 0
		.amdhsa_memory_ordered 1
		.amdhsa_forward_progress 1
		.amdhsa_inst_pref_size 4
		.amdhsa_round_robin_scheduling 0
		.amdhsa_exception_fp_ieee_invalid_op 0
		.amdhsa_exception_fp_denorm_src 0
		.amdhsa_exception_fp_ieee_div_zero 0
		.amdhsa_exception_fp_ieee_overflow 0
		.amdhsa_exception_fp_ieee_underflow 0
		.amdhsa_exception_fp_ieee_inexact 0
		.amdhsa_exception_int_div_zero 0
	.end_amdhsa_kernel
	.section	.text._Z6kernelI13subtract_leftLj256ELj3ELb0EJPaS1_jEEvDpT3_,"axG",@progbits,_Z6kernelI13subtract_leftLj256ELj3ELb0EJPaS1_jEEvDpT3_,comdat
.Lfunc_end13:
	.size	_Z6kernelI13subtract_leftLj256ELj3ELb0EJPaS1_jEEvDpT3_, .Lfunc_end13-_Z6kernelI13subtract_leftLj256ELj3ELb0EJPaS1_jEEvDpT3_
                                        ; -- End function
	.set _Z6kernelI13subtract_leftLj256ELj3ELb0EJPaS1_jEEvDpT3_.num_vgpr, 10
	.set _Z6kernelI13subtract_leftLj256ELj3ELb0EJPaS1_jEEvDpT3_.num_agpr, 0
	.set _Z6kernelI13subtract_leftLj256ELj3ELb0EJPaS1_jEEvDpT3_.numbered_sgpr, 9
	.set _Z6kernelI13subtract_leftLj256ELj3ELb0EJPaS1_jEEvDpT3_.num_named_barrier, 0
	.set _Z6kernelI13subtract_leftLj256ELj3ELb0EJPaS1_jEEvDpT3_.private_seg_size, 0
	.set _Z6kernelI13subtract_leftLj256ELj3ELb0EJPaS1_jEEvDpT3_.uses_vcc, 1
	.set _Z6kernelI13subtract_leftLj256ELj3ELb0EJPaS1_jEEvDpT3_.uses_flat_scratch, 0
	.set _Z6kernelI13subtract_leftLj256ELj3ELb0EJPaS1_jEEvDpT3_.has_dyn_sized_stack, 0
	.set _Z6kernelI13subtract_leftLj256ELj3ELb0EJPaS1_jEEvDpT3_.has_recursion, 0
	.set _Z6kernelI13subtract_leftLj256ELj3ELb0EJPaS1_jEEvDpT3_.has_indirect_call, 0
	.section	.AMDGPU.csdata,"",@progbits
; Kernel info:
; codeLenInByte = 452
; TotalNumSgprs: 11
; NumVgprs: 10
; ScratchSize: 0
; MemoryBound: 0
; FloatMode: 240
; IeeeMode: 1
; LDSByteSize: 512 bytes/workgroup (compile time only)
; SGPRBlocks: 0
; VGPRBlocks: 0
; NumSGPRsForWavesPerEU: 11
; NumVGPRsForWavesPerEU: 10
; NamedBarCnt: 0
; Occupancy: 16
; WaveLimiterHint : 1
; COMPUTE_PGM_RSRC2:SCRATCH_EN: 0
; COMPUTE_PGM_RSRC2:USER_SGPR: 2
; COMPUTE_PGM_RSRC2:TRAP_HANDLER: 0
; COMPUTE_PGM_RSRC2:TGID_X_EN: 1
; COMPUTE_PGM_RSRC2:TGID_Y_EN: 0
; COMPUTE_PGM_RSRC2:TGID_Z_EN: 0
; COMPUTE_PGM_RSRC2:TIDIG_COMP_CNT: 0
	.section	.text._Z6kernelI13subtract_leftLj256ELj4ELb0EJPaS1_jEEvDpT3_,"axG",@progbits,_Z6kernelI13subtract_leftLj256ELj4ELb0EJPaS1_jEEvDpT3_,comdat
	.protected	_Z6kernelI13subtract_leftLj256ELj4ELb0EJPaS1_jEEvDpT3_ ; -- Begin function _Z6kernelI13subtract_leftLj256ELj4ELb0EJPaS1_jEEvDpT3_
	.globl	_Z6kernelI13subtract_leftLj256ELj4ELb0EJPaS1_jEEvDpT3_
	.p2align	8
	.type	_Z6kernelI13subtract_leftLj256ELj4ELb0EJPaS1_jEEvDpT3_,@function
_Z6kernelI13subtract_leftLj256ELj4ELb0EJPaS1_jEEvDpT3_: ; @_Z6kernelI13subtract_leftLj256ELj4ELb0EJPaS1_jEEvDpT3_
; %bb.0:
	s_load_b128 s[4:7], s[0:1], 0x0
	s_bfe_u32 s2, ttmp6, 0x4000c
	s_and_b32 s3, ttmp6, 15
	s_add_co_i32 s2, s2, 1
	s_getreg_b32 s8, hwreg(HW_REG_IB_STS2, 6, 4)
	s_mul_i32 s2, ttmp9, s2
	s_wait_xcnt 0x0
	s_load_b32 s0, s[0:1], 0x10
	s_add_co_i32 s3, s3, s2
	s_cmp_eq_u32 s8, 0
	s_cselect_b32 s2, ttmp9, s3
	s_mov_b32 s3, 0
	s_lshl_b32 s2, s2, 10
	s_wait_kmcnt 0x0
	s_add_nc_u64 s[4:5], s[4:5], s[2:3]
	s_clause 0x3
	global_load_u8 v1, v0, s[4:5] offset:256
	global_load_u8 v2, v0, s[4:5] offset:512
	global_load_u8 v3, v0, s[4:5]
	global_load_u8 v4, v0, s[4:5] offset:768
	s_cmp_eq_u32 s0, 0
	s_wait_loadcnt 0x1
	v_perm_b32 v3, v3, v1, 0xc0c0004
	s_wait_loadcnt 0x0
	v_perm_b32 v2, v2, v4, 0xc0c0004
	v_mov_b32_e32 v1, 0
	s_delay_alu instid0(VALU_DEP_2)
	v_lshl_or_b32 v2, v2, 16, v3
	s_cbranch_scc1 .LBB14_5
; %bb.1:
	v_add_nc_u32_e32 v3, -1, v0
	v_cmp_ne_u32_e32 vcc_lo, 0, v0
	s_branch .LBB14_3
.LBB14_2:                               ;   in Loop: Header=BB14_3 Depth=1
	s_or_b32 exec_lo, exec_lo, s1
	v_dual_lshrrev_b32 v6, 16, v2 :: v_dual_lshrrev_b32 v7, 8, v2
	v_lshrrev_b16 v9, 8, v2
	s_add_co_i32 s0, s0, -1
	s_delay_alu instid0(VALU_DEP_2) | instskip(NEXT) | instid1(VALU_DEP_3)
	v_sub_nc_u16 v8, v4, v6
	v_sub_nc_u16 v10, v6, v7
	v_sub_nc_u16 v7, v7, v2
	v_add_nc_u16 v2, v5, v2
	s_cmp_lg_u32 s0, 0
	v_lshlrev_b16 v11, 8, v8
	v_and_b32_e32 v8, 0xff, v8
	v_add_nc_u16 v7, v7, v9
	s_barrier_signal -1
	s_barrier_wait -1
	v_bitop3_b16 v9, v10, v11, 0xff bitop3:0xec
	v_add_nc_u16 v4, v8, v4
	v_lshlrev_b16 v5, 8, v7
	s_delay_alu instid0(VALU_DEP_3) | instskip(NEXT) | instid1(VALU_DEP_3)
	v_add_nc_u16 v6, v9, v6
	v_lshlrev_b16 v4, 8, v4
	s_delay_alu instid0(VALU_DEP_3) | instskip(NEXT) | instid1(VALU_DEP_2)
	v_bitop3_b16 v2, v2, v5, 0xff bitop3:0xec
	v_bitop3_b16 v4, v6, v4, 0xff bitop3:0xec
	s_delay_alu instid0(VALU_DEP_2) | instskip(NEXT) | instid1(VALU_DEP_2)
	v_and_b32_e32 v2, 0xffff, v2
	v_lshlrev_b32_e32 v4, 16, v4
	s_delay_alu instid0(VALU_DEP_1)
	v_or_b32_e32 v2, v2, v4
	s_cbranch_scc0 .LBB14_5
.LBB14_3:                               ; =>This Inner Loop Header: Depth=1
	s_delay_alu instid0(VALU_DEP_1)
	v_dual_mov_b32 v5, v2 :: v_dual_lshrrev_b32 v4, 24, v2
	ds_store_b8 v0, v4
	s_wait_dscnt 0x0
	s_barrier_signal -1
	s_barrier_wait -1
	s_and_saveexec_b32 s1, vcc_lo
	s_cbranch_execz .LBB14_2
; %bb.4:                                ;   in Loop: Header=BB14_3 Depth=1
	ds_load_u8 v5, v3
	s_wait_dscnt 0x0
	v_sub_nc_u16 v5, v2, v5
	s_branch .LBB14_2
.LBB14_5:
	s_add_nc_u64 s[0:1], s[6:7], s[2:3]
	s_delay_alu instid0(VALU_DEP_1)
	v_dual_lshrrev_b32 v3, 8, v2 :: v_dual_lshrrev_b32 v4, 24, v2
	v_add_nc_u64_e32 v[0:1], s[0:1], v[0:1]
	s_clause 0x3
	global_store_b8 v[0:1], v2, off
	global_store_b8 v[0:1], v3, off offset:256
	global_store_d16_hi_b8 v[0:1], v2, off offset:512
	global_store_b8 v[0:1], v4, off offset:768
	s_endpgm
	.section	.rodata,"a",@progbits
	.p2align	6, 0x0
	.amdhsa_kernel _Z6kernelI13subtract_leftLj256ELj4ELb0EJPaS1_jEEvDpT3_
		.amdhsa_group_segment_fixed_size 512
		.amdhsa_private_segment_fixed_size 0
		.amdhsa_kernarg_size 20
		.amdhsa_user_sgpr_count 2
		.amdhsa_user_sgpr_dispatch_ptr 0
		.amdhsa_user_sgpr_queue_ptr 0
		.amdhsa_user_sgpr_kernarg_segment_ptr 1
		.amdhsa_user_sgpr_dispatch_id 0
		.amdhsa_user_sgpr_kernarg_preload_length 0
		.amdhsa_user_sgpr_kernarg_preload_offset 0
		.amdhsa_user_sgpr_private_segment_size 0
		.amdhsa_wavefront_size32 1
		.amdhsa_uses_dynamic_stack 0
		.amdhsa_enable_private_segment 0
		.amdhsa_system_sgpr_workgroup_id_x 1
		.amdhsa_system_sgpr_workgroup_id_y 0
		.amdhsa_system_sgpr_workgroup_id_z 0
		.amdhsa_system_sgpr_workgroup_info 0
		.amdhsa_system_vgpr_workitem_id 0
		.amdhsa_next_free_vgpr 12
		.amdhsa_next_free_sgpr 9
		.amdhsa_named_barrier_count 0
		.amdhsa_reserve_vcc 1
		.amdhsa_float_round_mode_32 0
		.amdhsa_float_round_mode_16_64 0
		.amdhsa_float_denorm_mode_32 3
		.amdhsa_float_denorm_mode_16_64 3
		.amdhsa_fp16_overflow 0
		.amdhsa_memory_ordered 1
		.amdhsa_forward_progress 1
		.amdhsa_inst_pref_size 5
		.amdhsa_round_robin_scheduling 0
		.amdhsa_exception_fp_ieee_invalid_op 0
		.amdhsa_exception_fp_denorm_src 0
		.amdhsa_exception_fp_ieee_div_zero 0
		.amdhsa_exception_fp_ieee_overflow 0
		.amdhsa_exception_fp_ieee_underflow 0
		.amdhsa_exception_fp_ieee_inexact 0
		.amdhsa_exception_int_div_zero 0
	.end_amdhsa_kernel
	.section	.text._Z6kernelI13subtract_leftLj256ELj4ELb0EJPaS1_jEEvDpT3_,"axG",@progbits,_Z6kernelI13subtract_leftLj256ELj4ELb0EJPaS1_jEEvDpT3_,comdat
.Lfunc_end14:
	.size	_Z6kernelI13subtract_leftLj256ELj4ELb0EJPaS1_jEEvDpT3_, .Lfunc_end14-_Z6kernelI13subtract_leftLj256ELj4ELb0EJPaS1_jEEvDpT3_
                                        ; -- End function
	.set _Z6kernelI13subtract_leftLj256ELj4ELb0EJPaS1_jEEvDpT3_.num_vgpr, 12
	.set _Z6kernelI13subtract_leftLj256ELj4ELb0EJPaS1_jEEvDpT3_.num_agpr, 0
	.set _Z6kernelI13subtract_leftLj256ELj4ELb0EJPaS1_jEEvDpT3_.numbered_sgpr, 9
	.set _Z6kernelI13subtract_leftLj256ELj4ELb0EJPaS1_jEEvDpT3_.num_named_barrier, 0
	.set _Z6kernelI13subtract_leftLj256ELj4ELb0EJPaS1_jEEvDpT3_.private_seg_size, 0
	.set _Z6kernelI13subtract_leftLj256ELj4ELb0EJPaS1_jEEvDpT3_.uses_vcc, 1
	.set _Z6kernelI13subtract_leftLj256ELj4ELb0EJPaS1_jEEvDpT3_.uses_flat_scratch, 0
	.set _Z6kernelI13subtract_leftLj256ELj4ELb0EJPaS1_jEEvDpT3_.has_dyn_sized_stack, 0
	.set _Z6kernelI13subtract_leftLj256ELj4ELb0EJPaS1_jEEvDpT3_.has_recursion, 0
	.set _Z6kernelI13subtract_leftLj256ELj4ELb0EJPaS1_jEEvDpT3_.has_indirect_call, 0
	.section	.AMDGPU.csdata,"",@progbits
; Kernel info:
; codeLenInByte = 540
; TotalNumSgprs: 11
; NumVgprs: 12
; ScratchSize: 0
; MemoryBound: 0
; FloatMode: 240
; IeeeMode: 1
; LDSByteSize: 512 bytes/workgroup (compile time only)
; SGPRBlocks: 0
; VGPRBlocks: 0
; NumSGPRsForWavesPerEU: 11
; NumVGPRsForWavesPerEU: 12
; NamedBarCnt: 0
; Occupancy: 16
; WaveLimiterHint : 1
; COMPUTE_PGM_RSRC2:SCRATCH_EN: 0
; COMPUTE_PGM_RSRC2:USER_SGPR: 2
; COMPUTE_PGM_RSRC2:TRAP_HANDLER: 0
; COMPUTE_PGM_RSRC2:TGID_X_EN: 1
; COMPUTE_PGM_RSRC2:TGID_Y_EN: 0
; COMPUTE_PGM_RSRC2:TGID_Z_EN: 0
; COMPUTE_PGM_RSRC2:TIDIG_COMP_CNT: 0
	.section	.text._Z6kernelI13subtract_leftLj256ELj8ELb0EJPaS1_jEEvDpT3_,"axG",@progbits,_Z6kernelI13subtract_leftLj256ELj8ELb0EJPaS1_jEEvDpT3_,comdat
	.protected	_Z6kernelI13subtract_leftLj256ELj8ELb0EJPaS1_jEEvDpT3_ ; -- Begin function _Z6kernelI13subtract_leftLj256ELj8ELb0EJPaS1_jEEvDpT3_
	.globl	_Z6kernelI13subtract_leftLj256ELj8ELb0EJPaS1_jEEvDpT3_
	.p2align	8
	.type	_Z6kernelI13subtract_leftLj256ELj8ELb0EJPaS1_jEEvDpT3_,@function
_Z6kernelI13subtract_leftLj256ELj8ELb0EJPaS1_jEEvDpT3_: ; @_Z6kernelI13subtract_leftLj256ELj8ELb0EJPaS1_jEEvDpT3_
; %bb.0:
	s_load_b128 s[4:7], s[0:1], 0x0
	s_bfe_u32 s2, ttmp6, 0x4000c
	s_and_b32 s3, ttmp6, 15
	s_add_co_i32 s2, s2, 1
	s_getreg_b32 s8, hwreg(HW_REG_IB_STS2, 6, 4)
	s_mul_i32 s2, ttmp9, s2
	s_wait_xcnt 0x0
	s_load_b32 s0, s[0:1], 0x10
	s_add_co_i32 s3, s3, s2
	s_cmp_eq_u32 s8, 0
	s_cselect_b32 s2, ttmp9, s3
	s_mov_b32 s3, 0
	s_lshl_b32 s2, s2, 11
	s_wait_kmcnt 0x0
	s_add_nc_u64 s[4:5], s[4:5], s[2:3]
	s_clause 0x7
	global_load_u8 v1, v0, s[4:5] offset:256
	global_load_u8 v2, v0, s[4:5] offset:1536
	;; [unrolled: 1-line block ×4, first 2 shown]
	global_load_u8 v5, v0, s[4:5]
	global_load_u8 v6, v0, s[4:5] offset:768
	global_load_u8 v7, v0, s[4:5] offset:1280
	;; [unrolled: 1-line block ×3, first 2 shown]
	s_cmp_eq_u32 s0, 0
	s_wait_loadcnt 0x3
	v_perm_b32 v5, v5, v1, 0xc0c0004
	s_wait_loadcnt 0x2
	v_perm_b32 v4, v4, v6, 0xc0c0004
	s_wait_loadcnt 0x1
	v_perm_b32 v6, v3, v7, 0xc0c0004
	s_wait_loadcnt 0x0
	v_perm_b32 v2, v2, v8, 0xc0c0004
	v_mov_b32_e32 v1, 0
	v_lshl_or_b32 v3, v4, 16, v5
	s_delay_alu instid0(VALU_DEP_3)
	v_lshl_or_b32 v2, v2, 16, v6
	s_cbranch_scc1 .LBB15_5
; %bb.1:
	v_add_nc_u32_e32 v4, -1, v0
	v_cmp_ne_u32_e32 vcc_lo, 0, v0
	s_branch .LBB15_3
.LBB15_2:                               ;   in Loop: Header=BB15_3 Depth=1
	s_or_b32 exec_lo, exec_lo, s1
	s_delay_alu instid0(VALU_DEP_1) | instskip(SKIP_3) | instid1(VALU_DEP_4)
	v_lshrrev_b16 v13, 8, v12
	v_dual_lshrrev_b32 v14, 24, v10 :: v_dual_lshrrev_b32 v16, 16, v12
	v_lshrrev_b16 v11, 8, v2
	v_lshrrev_b16 v15, 8, v10
	v_add_nc_u16 v8, v13, v8
	s_delay_alu instid0(VALU_DEP_4) | instskip(SKIP_1) | instid1(VALU_DEP_4)
	v_add_nc_u16 v9, v14, v9
	v_dual_lshrrev_b32 v13, 24, v12 :: v_dual_lshrrev_b32 v14, 16, v10
	v_add_nc_u16 v11, v15, v11
	s_delay_alu instid0(VALU_DEP_4) | instskip(NEXT) | instid1(VALU_DEP_4)
	v_lshlrev_b16 v8, 8, v8
	v_lshlrev_b16 v9, 8, v9
	s_delay_alu instid0(VALU_DEP_4) | instskip(SKIP_2) | instid1(VALU_DEP_4)
	v_add_nc_u16 v6, v13, v6
	v_add_nc_u16 v7, v14, v7
	v_lshlrev_b16 v11, 8, v11
	v_dual_lshrrev_b32 v8, 8, v8 :: v_dual_lshrrev_b32 v9, 8, v9
	v_add_nc_u16 v5, v16, v5
	v_lshlrev_b16 v6, 8, v6
	v_add_nc_u16 v2, v10, v2
	v_add_nc_u16 v3, v12, v3
	v_lshlrev_b16 v9, 8, v9
	v_lshlrev_b16 v8, 8, v8
	v_perm_b32 v5, v5, v6, 0xc0c0104
	s_add_co_i32 s0, s0, -1
	s_delay_alu instid0(VALU_DEP_3) | instskip(NEXT) | instid1(VALU_DEP_3)
	v_bitop3_b16 v7, v7, v9, 0xff bitop3:0xec
	v_bitop3_b16 v3, v3, v8, 0xff bitop3:0xec
	s_cmp_lg_u32 s0, 0
	s_barrier_signal -1
	s_barrier_wait -1
	v_lshlrev_b32_e32 v6, 16, v7
	v_lshrrev_b32_e32 v10, 8, v11
	v_and_b32_e32 v3, 0xffff, v3
	s_delay_alu instid0(VALU_DEP_2) | instskip(NEXT) | instid1(VALU_DEP_2)
	v_lshlrev_b16 v10, 8, v10
	v_lshl_or_b32 v3, v5, 16, v3
	s_delay_alu instid0(VALU_DEP_2) | instskip(NEXT) | instid1(VALU_DEP_1)
	v_bitop3_b16 v2, v2, v10, 0xff bitop3:0xec
	v_and_b32_e32 v2, 0xffff, v2
	s_delay_alu instid0(VALU_DEP_1)
	v_or_b32_e32 v2, v2, v6
	s_cbranch_scc0 .LBB15_5
.LBB15_3:                               ; =>This Inner Loop Header: Depth=1
	v_dual_lshrrev_b32 v5, 8, v3 :: v_dual_lshrrev_b32 v6, 24, v3
	v_lshrrev_b16 v8, 8, v3
	s_delay_alu instid0(VALU_DEP_3) | instskip(NEXT) | instid1(VALU_DEP_3)
	v_dual_lshrrev_b32 v9, 24, v2 :: v_dual_lshrrev_b32 v12, 8, v2
	v_sub_nc_u16 v7, v5, v3
	v_lshrrev_b32_e32 v5, 16, v3
	v_sub_nc_u16 v18, v2, v6
	ds_store_b8 v0, v9
	s_wait_dscnt 0x0
	v_lshlrev_b16 v10, 8, v7
	v_lshrrev_b32_e32 v7, 16, v2
	v_sub_nc_u16 v11, v6, v5
	v_sub_nc_u16 v13, v5, v8
	s_barrier_signal -1
	v_bitop3_b16 v10, v3, v10, 0xff bitop3:0xec
	v_sub_nc_u16 v15, v9, v7
	v_lshlrev_b16 v14, 8, v11
	v_sub_nc_u16 v16, v7, v12
	v_sub_nc_u16 v12, v12, v2
	v_and_b32_e32 v11, 0xffff, v10
	v_lshlrev_b16 v15, 8, v15
	v_bitop3_b16 v13, v13, v14, 0xff bitop3:0xec
	v_lshrrev_b32_e32 v14, 8, v14
	v_lshlrev_b16 v12, 8, v12
	v_lshrrev_b32_e32 v17, 8, v11
	v_bitop3_b16 v15, v16, v15, 0xff bitop3:0xec
	s_barrier_wait -1
	v_lshlrev_b16 v14, 8, v14
	v_bitop3_b16 v12, v18, v12, 0xff bitop3:0xec
	v_lshlrev_b16 v17, 8, v17
	s_delay_alu instid0(VALU_DEP_3) | instskip(NEXT) | instid1(VALU_DEP_3)
	v_bitop3_b16 v14, v13, v14, 0xff bitop3:0xec
	v_and_b32_e32 v12, 0xffff, v12
	s_delay_alu instid0(VALU_DEP_3) | instskip(NEXT) | instid1(VALU_DEP_3)
	v_bitop3_b16 v10, v10, v17, 0xff bitop3:0xec
	v_dual_lshlrev_b32 v15, 16, v15 :: v_dual_lshlrev_b32 v14, 16, v14
	s_delay_alu instid0(VALU_DEP_2) | instskip(NEXT) | instid1(VALU_DEP_2)
	v_and_b32_e32 v16, 0xffff, v10
	v_or_b32_e32 v10, v12, v15
	s_delay_alu instid0(VALU_DEP_2)
	v_or_b32_e32 v12, v16, v14
	s_and_saveexec_b32 s1, vcc_lo
	s_cbranch_execz .LBB15_2
; %bb.4:                                ;   in Loop: Header=BB15_3 Depth=1
	ds_load_u8 v12, v4
	v_lshlrev_b32_e32 v13, 16, v13
	s_delay_alu instid0(VALU_DEP_1) | instskip(SKIP_2) | instid1(VALU_DEP_1)
	v_or_b32_e32 v11, v11, v13
	s_wait_dscnt 0x0
	v_sub_nc_u16 v12, v3, v12
	v_perm_b32 v12, v12, v11, 0x3020104
	s_branch .LBB15_2
.LBB15_5:
	s_add_nc_u64 s[0:1], s[6:7], s[2:3]
	s_delay_alu instid0(VALU_DEP_2)
	v_dual_lshrrev_b32 v4, 8, v3 :: v_dual_lshrrev_b32 v5, 24, v3
	v_add_nc_u64_e32 v[0:1], s[0:1], v[0:1]
	v_dual_lshrrev_b32 v6, 8, v2 :: v_dual_lshrrev_b32 v7, 24, v2
	s_clause 0x7
	global_store_b8 v[0:1], v3, off
	global_store_b8 v[0:1], v4, off offset:256
	global_store_d16_hi_b8 v[0:1], v3, off offset:512
	global_store_b8 v[0:1], v5, off offset:768
	global_store_b8 v[0:1], v2, off offset:1024
	;; [unrolled: 1-line block ×3, first 2 shown]
	global_store_d16_hi_b8 v[0:1], v2, off offset:1536
	global_store_b8 v[0:1], v7, off offset:1792
	s_endpgm
	.section	.rodata,"a",@progbits
	.p2align	6, 0x0
	.amdhsa_kernel _Z6kernelI13subtract_leftLj256ELj8ELb0EJPaS1_jEEvDpT3_
		.amdhsa_group_segment_fixed_size 512
		.amdhsa_private_segment_fixed_size 0
		.amdhsa_kernarg_size 20
		.amdhsa_user_sgpr_count 2
		.amdhsa_user_sgpr_dispatch_ptr 0
		.amdhsa_user_sgpr_queue_ptr 0
		.amdhsa_user_sgpr_kernarg_segment_ptr 1
		.amdhsa_user_sgpr_dispatch_id 0
		.amdhsa_user_sgpr_kernarg_preload_length 0
		.amdhsa_user_sgpr_kernarg_preload_offset 0
		.amdhsa_user_sgpr_private_segment_size 0
		.amdhsa_wavefront_size32 1
		.amdhsa_uses_dynamic_stack 0
		.amdhsa_enable_private_segment 0
		.amdhsa_system_sgpr_workgroup_id_x 1
		.amdhsa_system_sgpr_workgroup_id_y 0
		.amdhsa_system_sgpr_workgroup_id_z 0
		.amdhsa_system_sgpr_workgroup_info 0
		.amdhsa_system_vgpr_workitem_id 0
		.amdhsa_next_free_vgpr 19
		.amdhsa_next_free_sgpr 9
		.amdhsa_named_barrier_count 0
		.amdhsa_reserve_vcc 1
		.amdhsa_float_round_mode_32 0
		.amdhsa_float_round_mode_16_64 0
		.amdhsa_float_denorm_mode_32 3
		.amdhsa_float_denorm_mode_16_64 3
		.amdhsa_fp16_overflow 0
		.amdhsa_memory_ordered 1
		.amdhsa_forward_progress 1
		.amdhsa_inst_pref_size 9
		.amdhsa_round_robin_scheduling 0
		.amdhsa_exception_fp_ieee_invalid_op 0
		.amdhsa_exception_fp_denorm_src 0
		.amdhsa_exception_fp_ieee_div_zero 0
		.amdhsa_exception_fp_ieee_overflow 0
		.amdhsa_exception_fp_ieee_underflow 0
		.amdhsa_exception_fp_ieee_inexact 0
		.amdhsa_exception_int_div_zero 0
	.end_amdhsa_kernel
	.section	.text._Z6kernelI13subtract_leftLj256ELj8ELb0EJPaS1_jEEvDpT3_,"axG",@progbits,_Z6kernelI13subtract_leftLj256ELj8ELb0EJPaS1_jEEvDpT3_,comdat
.Lfunc_end15:
	.size	_Z6kernelI13subtract_leftLj256ELj8ELb0EJPaS1_jEEvDpT3_, .Lfunc_end15-_Z6kernelI13subtract_leftLj256ELj8ELb0EJPaS1_jEEvDpT3_
                                        ; -- End function
	.set _Z6kernelI13subtract_leftLj256ELj8ELb0EJPaS1_jEEvDpT3_.num_vgpr, 19
	.set _Z6kernelI13subtract_leftLj256ELj8ELb0EJPaS1_jEEvDpT3_.num_agpr, 0
	.set _Z6kernelI13subtract_leftLj256ELj8ELb0EJPaS1_jEEvDpT3_.numbered_sgpr, 9
	.set _Z6kernelI13subtract_leftLj256ELj8ELb0EJPaS1_jEEvDpT3_.num_named_barrier, 0
	.set _Z6kernelI13subtract_leftLj256ELj8ELb0EJPaS1_jEEvDpT3_.private_seg_size, 0
	.set _Z6kernelI13subtract_leftLj256ELj8ELb0EJPaS1_jEEvDpT3_.uses_vcc, 1
	.set _Z6kernelI13subtract_leftLj256ELj8ELb0EJPaS1_jEEvDpT3_.uses_flat_scratch, 0
	.set _Z6kernelI13subtract_leftLj256ELj8ELb0EJPaS1_jEEvDpT3_.has_dyn_sized_stack, 0
	.set _Z6kernelI13subtract_leftLj256ELj8ELb0EJPaS1_jEEvDpT3_.has_recursion, 0
	.set _Z6kernelI13subtract_leftLj256ELj8ELb0EJPaS1_jEEvDpT3_.has_indirect_call, 0
	.section	.AMDGPU.csdata,"",@progbits
; Kernel info:
; codeLenInByte = 1104
; TotalNumSgprs: 11
; NumVgprs: 19
; ScratchSize: 0
; MemoryBound: 0
; FloatMode: 240
; IeeeMode: 1
; LDSByteSize: 512 bytes/workgroup (compile time only)
; SGPRBlocks: 0
; VGPRBlocks: 1
; NumSGPRsForWavesPerEU: 11
; NumVGPRsForWavesPerEU: 19
; NamedBarCnt: 0
; Occupancy: 16
; WaveLimiterHint : 1
; COMPUTE_PGM_RSRC2:SCRATCH_EN: 0
; COMPUTE_PGM_RSRC2:USER_SGPR: 2
; COMPUTE_PGM_RSRC2:TRAP_HANDLER: 0
; COMPUTE_PGM_RSRC2:TGID_X_EN: 1
; COMPUTE_PGM_RSRC2:TGID_Y_EN: 0
; COMPUTE_PGM_RSRC2:TGID_Z_EN: 0
; COMPUTE_PGM_RSRC2:TIDIG_COMP_CNT: 0
	.section	.text._Z6kernelI13subtract_leftLj256ELj16ELb0EJPaS1_jEEvDpT3_,"axG",@progbits,_Z6kernelI13subtract_leftLj256ELj16ELb0EJPaS1_jEEvDpT3_,comdat
	.protected	_Z6kernelI13subtract_leftLj256ELj16ELb0EJPaS1_jEEvDpT3_ ; -- Begin function _Z6kernelI13subtract_leftLj256ELj16ELb0EJPaS1_jEEvDpT3_
	.globl	_Z6kernelI13subtract_leftLj256ELj16ELb0EJPaS1_jEEvDpT3_
	.p2align	8
	.type	_Z6kernelI13subtract_leftLj256ELj16ELb0EJPaS1_jEEvDpT3_,@function
_Z6kernelI13subtract_leftLj256ELj16ELb0EJPaS1_jEEvDpT3_: ; @_Z6kernelI13subtract_leftLj256ELj16ELb0EJPaS1_jEEvDpT3_
; %bb.0:
	s_load_b128 s[4:7], s[0:1], 0x0
	s_bfe_u32 s2, ttmp6, 0x4000c
	s_and_b32 s3, ttmp6, 15
	s_add_co_i32 s2, s2, 1
	s_getreg_b32 s8, hwreg(HW_REG_IB_STS2, 6, 4)
	s_mul_i32 s2, ttmp9, s2
	s_wait_xcnt 0x0
	s_load_b32 s0, s[0:1], 0x10
	s_add_co_i32 s3, s3, s2
	s_cmp_eq_u32 s8, 0
	s_cselect_b32 s2, ttmp9, s3
	s_mov_b32 s3, 0
	s_lshl_b32 s2, s2, 12
	s_wait_kmcnt 0x0
	s_add_nc_u64 s[4:5], s[4:5], s[2:3]
	s_clause 0xf
	global_load_u8 v1, v0, s[4:5] offset:256
	global_load_u8 v2, v0, s[4:5] offset:768
	;; [unrolled: 1-line block ×7, first 2 shown]
	global_load_u8 v8, v0, s[4:5]
	global_load_u8 v9, v0, s[4:5] offset:2304
	global_load_u8 v10, v0, s[4:5] offset:3584
	;; [unrolled: 1-line block ×8, first 2 shown]
	s_cmp_eq_u32 s0, 0
	s_wait_loadcnt 0xb
	v_perm_b32 v4, v5, v4, 0xc0c0004
	s_wait_loadcnt 0xa
	v_perm_b32 v3, v6, v3, 0xc0c0004
	;; [unrolled: 2-line block ×4, first 2 shown]
	v_mov_b32_e32 v1, 0
	v_lshl_or_b32 v4, v4, 16, v3
	s_wait_loadcnt 0x3
	v_perm_b32 v6, v13, v9, 0xc0c0004
	s_wait_loadcnt 0x2
	v_perm_b32 v7, v12, v14, 0xc0c0004
	s_wait_loadcnt 0x1
	v_perm_b32 v9, v11, v15, 0xc0c0004
	s_wait_loadcnt 0x0
	v_perm_b32 v10, v10, v16, 0xc0c0004
	v_lshl_or_b32 v5, v2, 16, v8
	v_lshl_or_b32 v3, v7, 16, v6
	s_delay_alu instid0(VALU_DEP_3)
	v_lshl_or_b32 v2, v10, 16, v9
	s_cbranch_scc1 .LBB16_5
; %bb.1:
	v_add_nc_u32_e32 v6, -1, v0
	v_cmp_ne_u32_e32 vcc_lo, 0, v0
	s_branch .LBB16_3
.LBB16_2:                               ;   in Loop: Header=BB16_3 Depth=1
	s_or_b32 exec_lo, exec_lo, s1
	v_lshrrev_b16 v18, 8, v2
	v_lshrrev_b16 v22, 8, v19
	v_lshrrev_b32_e32 v27, 24, v21
	v_lshrrev_b16 v29, 8, v21
	v_lshrrev_b16 v26, 8, v20
	v_dual_lshrrev_b32 v28, 16, v21 :: v_dual_lshrrev_b32 v30, 16, v24
	v_add_nc_u16 v18, v22, v18
	v_lshrrev_b32_e32 v22, 24, v19
	v_add_nc_u16 v12, v29, v12
	v_add_nc_u16 v11, v27, v11
	v_dual_lshrrev_b32 v23, 16, v20 :: v_dual_lshrrev_b32 v25, 24, v20
	s_delay_alu instid0(VALU_DEP_4) | instskip(NEXT) | instid1(VALU_DEP_4)
	v_add_nc_u16 v16, v22, v16
	v_lshlrev_b16 v12, 8, v12
	s_delay_alu instid0(VALU_DEP_4) | instskip(SKIP_3) | instid1(VALU_DEP_4)
	v_lshlrev_b16 v11, 8, v11
	v_lshlrev_b16 v18, 8, v18
	v_dual_lshrrev_b32 v22, 16, v19 :: v_dual_lshrrev_b32 v32, 24, v24
	v_lshlrev_b16 v16, 8, v16
	v_dual_lshrrev_b32 v12, 8, v12 :: v_dual_lshrrev_b32 v11, 8, v11
	v_lshrrev_b16 v31, 8, v24
	s_delay_alu instid0(VALU_DEP_3)
	v_dual_lshrrev_b32 v18, 8, v18 :: v_dual_lshrrev_b32 v16, 8, v16
	v_add_nc_u16 v9, v26, v9
	v_add_nc_u16 v8, v28, v8
	v_lshlrev_b16 v11, 8, v11
	v_add_nc_u16 v15, v22, v15
	v_add_nc_u16 v14, v31, v14
	;; [unrolled: 1-line block ×4, first 2 shown]
	v_lshlrev_b16 v9, 8, v9
	v_add_nc_u16 v2, v19, v2
	v_add_nc_u16 v4, v21, v4
	;; [unrolled: 1-line block ×3, first 2 shown]
	v_lshlrev_b16 v12, 8, v12
	v_bitop3_b16 v8, v8, v11, 0xff bitop3:0xec
	v_lshlrev_b16 v11, 8, v16
	v_lshlrev_b16 v16, 8, v18
	;; [unrolled: 1-line block ×4, first 2 shown]
	v_add_nc_u16 v10, v30, v10
	v_lshlrev_b16 v17, 8, v17
	v_add_nc_u16 v7, v23, v7
	v_add_nc_u16 v3, v24, v3
	v_bitop3_b16 v4, v4, v12, 0xff bitop3:0xec
	v_perm_b32 v5, v5, v9, 0xc0c0104
	v_bitop3_b16 v9, v15, v11, 0xff bitop3:0xec
	v_bitop3_b16 v2, v2, v16, 0xff bitop3:0xec
	v_perm_b32 v7, v7, v17, 0xc0c0104
	v_lshlrev_b32_e32 v8, 16, v8
	v_and_b32_e32 v4, 0xffff, v4
	v_perm_b32 v10, v10, v13, 0xc0c0104
	v_perm_b32 v3, v3, v14, 0xc0c0104
	v_lshlrev_b32_e32 v9, 16, v9
	v_and_b32_e32 v2, 0xffff, v2
	v_lshl_or_b32 v5, v7, 16, v5
	v_or_b32_e32 v4, v4, v8
	v_lshl_or_b32 v3, v10, 16, v3
	s_add_co_i32 s0, s0, -1
	v_or_b32_e32 v2, v2, v9
	s_cmp_lg_u32 s0, 0
	s_barrier_signal -1
	s_barrier_wait -1
	s_cbranch_scc0 .LBB16_5
.LBB16_3:                               ; =>This Inner Loop Header: Depth=1
	v_dual_lshrrev_b32 v10, 16, v3 :: v_dual_lshrrev_b32 v13, 24, v3
	v_dual_lshrrev_b32 v17, 8, v3 :: v_dual_lshrrev_b32 v15, 16, v2
	v_lshrrev_b16 v14, 8, v3
	v_dual_lshrrev_b32 v19, 8, v4 :: v_dual_lshrrev_b32 v11, 24, v4
	s_delay_alu instid0(VALU_DEP_4) | instskip(NEXT) | instid1(VALU_DEP_4)
	v_sub_nc_u16 v18, v13, v10
	v_sub_nc_u16 v17, v17, v3
	s_delay_alu instid0(VALU_DEP_4) | instskip(SKIP_1) | instid1(VALU_DEP_4)
	v_sub_nc_u16 v22, v10, v14
	v_dual_lshrrev_b32 v7, 16, v5 :: v_dual_lshrrev_b32 v8, 16, v4
	v_lshlrev_b16 v24, 8, v18
	s_delay_alu instid0(VALU_DEP_4) | instskip(SKIP_2) | instid1(VALU_DEP_4)
	v_lshlrev_b16 v17, 8, v17
	v_sub_nc_u16 v23, v3, v11
	v_dual_lshrrev_b32 v16, 24, v2 :: v_dual_lshrrev_b32 v20, 8, v2
	v_bitop3_b16 v18, v22, v24, 0xff bitop3:0xec
	v_lshrrev_b32_e32 v22, 8, v5
	s_delay_alu instid0(VALU_DEP_4)
	v_bitop3_b16 v28, v23, v17, 0xff bitop3:0xec
	v_lshrrev_b32_e32 v17, 24, v5
	v_sub_nc_u16 v19, v19, v4
	v_lshrrev_b16 v12, 8, v4
	v_sub_nc_u16 v22, v22, v5
	v_sub_nc_u16 v21, v16, v15
	;; [unrolled: 1-line block ×3, first 2 shown]
	v_lshlrev_b16 v19, 8, v19
	v_sub_nc_u16 v26, v4, v17
	v_lshlrev_b16 v22, 8, v22
	v_lshrrev_b16 v9, 8, v5
	v_sub_nc_u16 v27, v15, v20
	v_sub_nc_u16 v20, v20, v2
	;; [unrolled: 1-line block ×3, first 2 shown]
	v_lshlrev_b16 v29, 8, v23
	v_sub_nc_u16 v23, v17, v7
	v_bitop3_b16 v33, v5, v22, 0xff bitop3:0xec
	v_bitop3_b16 v19, v26, v19, 0xff bitop3:0xec
	v_lshlrev_b16 v21, 8, v21
	v_sub_nc_u16 v30, v7, v9
	v_lshlrev_b16 v31, 8, v23
	v_sub_nc_u16 v32, v2, v13
	v_bitop3_b16 v22, v25, v29, 0xff bitop3:0xec
	v_and_b32_e32 v26, 0xffff, v33
	v_lshlrev_b16 v20, 8, v20
	v_and_b32_e32 v25, 0xffff, v19
	v_bitop3_b16 v21, v27, v21, 0xff bitop3:0xec
	v_and_b32_e32 v27, 0xffff, v28
	v_bitop3_b16 v23, v30, v31, 0xff bitop3:0xec
	v_dual_lshrrev_b32 v30, 8, v31 :: v_dual_lshrrev_b32 v29, 8, v29
	v_bitop3_b16 v20, v32, v20, 0xff bitop3:0xec
	v_dual_lshrrev_b32 v31, 8, v25 :: v_dual_lshrrev_b32 v32, 8, v26
	v_dual_lshrrev_b32 v34, 8, v27 :: v_dual_lshrrev_b32 v24, 8, v24
	s_delay_alu instid0(VALU_DEP_4) | instskip(NEXT) | instid1(VALU_DEP_3)
	v_lshlrev_b16 v30, 8, v30
	v_lshlrev_b16 v31, 8, v31
	s_delay_alu instid0(VALU_DEP_4)
	v_lshlrev_b16 v32, 8, v32
	v_lshlrev_b16 v29, 8, v29
	;; [unrolled: 1-line block ×4, first 2 shown]
	v_bitop3_b16 v30, v23, v30, 0xff bitop3:0xec
	v_bitop3_b16 v32, v33, v32, 0xff bitop3:0xec
	;; [unrolled: 1-line block ×6, first 2 shown]
	v_and_b32_e32 v20, 0xffff, v20
	v_dual_lshlrev_b32 v21, 16, v21 :: v_dual_lshlrev_b32 v30, 16, v30
	v_and_b32_e32 v31, 0xffff, v32
	v_and_b32_e32 v32, 0xffff, v19
	v_dual_lshlrev_b32 v29, 16, v29 :: v_dual_lshlrev_b32 v24, 16, v24
	v_and_b32_e32 v28, 0xffff, v28
	v_or_b32_e32 v19, v20, v21
	v_or_b32_e32 v20, v31, v30
	s_delay_alu instid0(VALU_DEP_4)
	v_or_b32_e32 v21, v32, v29
	ds_store_b8 v0, v16
	v_or_b32_e32 v24, v28, v24
	s_wait_dscnt 0x0
	s_barrier_signal -1
	s_barrier_wait -1
	s_and_saveexec_b32 s1, vcc_lo
	s_cbranch_execz .LBB16_2
; %bb.4:                                ;   in Loop: Header=BB16_3 Depth=1
	ds_load_u8 v20, v6
	v_dual_lshlrev_b32 v21, 16, v23 :: v_dual_lshlrev_b32 v18, 16, v18
	s_delay_alu instid0(VALU_DEP_1) | instskip(NEXT) | instid1(VALU_DEP_2)
	v_dual_lshlrev_b32 v21, 16, v22 :: v_dual_bitop2_b32 v23, v26, v21 bitop3:0x54
	v_or_b32_e32 v24, v27, v18
	s_delay_alu instid0(VALU_DEP_2) | instskip(SKIP_2) | instid1(VALU_DEP_1)
	v_or_b32_e32 v21, v25, v21
	s_wait_dscnt 0x0
	v_sub_nc_u16 v20, v5, v20
	v_perm_b32 v20, v20, v23, 0x3020104
	s_branch .LBB16_2
.LBB16_5:
	s_add_nc_u64 s[0:1], s[6:7], s[2:3]
	v_dual_lshrrev_b32 v6, 8, v5 :: v_dual_lshrrev_b32 v7, 24, v5
	v_add_nc_u64_e32 v[0:1], s[0:1], v[0:1]
	v_dual_lshrrev_b32 v8, 8, v4 :: v_dual_lshrrev_b32 v9, 24, v4
	s_clause 0x7
	global_store_b8 v[0:1], v5, off
	global_store_b8 v[0:1], v6, off offset:256
	global_store_d16_hi_b8 v[0:1], v5, off offset:512
	global_store_b8 v[0:1], v7, off offset:768
	global_store_b8 v[0:1], v4, off offset:1024
	;; [unrolled: 1-line block ×3, first 2 shown]
	global_store_d16_hi_b8 v[0:1], v4, off offset:1536
	global_store_b8 v[0:1], v9, off offset:1792
	s_wait_xcnt 0x1
	v_dual_lshrrev_b32 v4, 8, v3 :: v_dual_lshrrev_b32 v5, 24, v3
	v_dual_lshrrev_b32 v6, 8, v2 :: v_dual_lshrrev_b32 v7, 24, v2
	s_clause 0x7
	global_store_b8 v[0:1], v3, off offset:2048
	global_store_b8 v[0:1], v4, off offset:2304
	global_store_d16_hi_b8 v[0:1], v3, off offset:2560
	global_store_b8 v[0:1], v5, off offset:2816
	global_store_b8 v[0:1], v2, off offset:3072
	;; [unrolled: 1-line block ×3, first 2 shown]
	global_store_d16_hi_b8 v[0:1], v2, off offset:3584
	global_store_b8 v[0:1], v7, off offset:3840
	s_endpgm
	.section	.rodata,"a",@progbits
	.p2align	6, 0x0
	.amdhsa_kernel _Z6kernelI13subtract_leftLj256ELj16ELb0EJPaS1_jEEvDpT3_
		.amdhsa_group_segment_fixed_size 512
		.amdhsa_private_segment_fixed_size 0
		.amdhsa_kernarg_size 20
		.amdhsa_user_sgpr_count 2
		.amdhsa_user_sgpr_dispatch_ptr 0
		.amdhsa_user_sgpr_queue_ptr 0
		.amdhsa_user_sgpr_kernarg_segment_ptr 1
		.amdhsa_user_sgpr_dispatch_id 0
		.amdhsa_user_sgpr_kernarg_preload_length 0
		.amdhsa_user_sgpr_kernarg_preload_offset 0
		.amdhsa_user_sgpr_private_segment_size 0
		.amdhsa_wavefront_size32 1
		.amdhsa_uses_dynamic_stack 0
		.amdhsa_enable_private_segment 0
		.amdhsa_system_sgpr_workgroup_id_x 1
		.amdhsa_system_sgpr_workgroup_id_y 0
		.amdhsa_system_sgpr_workgroup_id_z 0
		.amdhsa_system_sgpr_workgroup_info 0
		.amdhsa_system_vgpr_workitem_id 0
		.amdhsa_next_free_vgpr 35
		.amdhsa_next_free_sgpr 9
		.amdhsa_named_barrier_count 0
		.amdhsa_reserve_vcc 1
		.amdhsa_float_round_mode_32 0
		.amdhsa_float_round_mode_16_64 0
		.amdhsa_float_denorm_mode_32 3
		.amdhsa_float_denorm_mode_16_64 3
		.amdhsa_fp16_overflow 0
		.amdhsa_memory_ordered 1
		.amdhsa_forward_progress 1
		.amdhsa_inst_pref_size 16
		.amdhsa_round_robin_scheduling 0
		.amdhsa_exception_fp_ieee_invalid_op 0
		.amdhsa_exception_fp_denorm_src 0
		.amdhsa_exception_fp_ieee_div_zero 0
		.amdhsa_exception_fp_ieee_overflow 0
		.amdhsa_exception_fp_ieee_underflow 0
		.amdhsa_exception_fp_ieee_inexact 0
		.amdhsa_exception_int_div_zero 0
	.end_amdhsa_kernel
	.section	.text._Z6kernelI13subtract_leftLj256ELj16ELb0EJPaS1_jEEvDpT3_,"axG",@progbits,_Z6kernelI13subtract_leftLj256ELj16ELb0EJPaS1_jEEvDpT3_,comdat
.Lfunc_end16:
	.size	_Z6kernelI13subtract_leftLj256ELj16ELb0EJPaS1_jEEvDpT3_, .Lfunc_end16-_Z6kernelI13subtract_leftLj256ELj16ELb0EJPaS1_jEEvDpT3_
                                        ; -- End function
	.set _Z6kernelI13subtract_leftLj256ELj16ELb0EJPaS1_jEEvDpT3_.num_vgpr, 35
	.set _Z6kernelI13subtract_leftLj256ELj16ELb0EJPaS1_jEEvDpT3_.num_agpr, 0
	.set _Z6kernelI13subtract_leftLj256ELj16ELb0EJPaS1_jEEvDpT3_.numbered_sgpr, 9
	.set _Z6kernelI13subtract_leftLj256ELj16ELb0EJPaS1_jEEvDpT3_.num_named_barrier, 0
	.set _Z6kernelI13subtract_leftLj256ELj16ELb0EJPaS1_jEEvDpT3_.private_seg_size, 0
	.set _Z6kernelI13subtract_leftLj256ELj16ELb0EJPaS1_jEEvDpT3_.uses_vcc, 1
	.set _Z6kernelI13subtract_leftLj256ELj16ELb0EJPaS1_jEEvDpT3_.uses_flat_scratch, 0
	.set _Z6kernelI13subtract_leftLj256ELj16ELb0EJPaS1_jEEvDpT3_.has_dyn_sized_stack, 0
	.set _Z6kernelI13subtract_leftLj256ELj16ELb0EJPaS1_jEEvDpT3_.has_recursion, 0
	.set _Z6kernelI13subtract_leftLj256ELj16ELb0EJPaS1_jEEvDpT3_.has_indirect_call, 0
	.section	.AMDGPU.csdata,"",@progbits
; Kernel info:
; codeLenInByte = 1988
; TotalNumSgprs: 11
; NumVgprs: 35
; ScratchSize: 0
; MemoryBound: 0
; FloatMode: 240
; IeeeMode: 1
; LDSByteSize: 512 bytes/workgroup (compile time only)
; SGPRBlocks: 0
; VGPRBlocks: 2
; NumSGPRsForWavesPerEU: 11
; NumVGPRsForWavesPerEU: 35
; NamedBarCnt: 0
; Occupancy: 16
; WaveLimiterHint : 1
; COMPUTE_PGM_RSRC2:SCRATCH_EN: 0
; COMPUTE_PGM_RSRC2:USER_SGPR: 2
; COMPUTE_PGM_RSRC2:TRAP_HANDLER: 0
; COMPUTE_PGM_RSRC2:TGID_X_EN: 1
; COMPUTE_PGM_RSRC2:TGID_Y_EN: 0
; COMPUTE_PGM_RSRC2:TGID_Z_EN: 0
; COMPUTE_PGM_RSRC2:TIDIG_COMP_CNT: 0
	.section	.text._Z6kernelI13subtract_leftLj256ELj32ELb0EJPaS1_jEEvDpT3_,"axG",@progbits,_Z6kernelI13subtract_leftLj256ELj32ELb0EJPaS1_jEEvDpT3_,comdat
	.protected	_Z6kernelI13subtract_leftLj256ELj32ELb0EJPaS1_jEEvDpT3_ ; -- Begin function _Z6kernelI13subtract_leftLj256ELj32ELb0EJPaS1_jEEvDpT3_
	.globl	_Z6kernelI13subtract_leftLj256ELj32ELb0EJPaS1_jEEvDpT3_
	.p2align	8
	.type	_Z6kernelI13subtract_leftLj256ELj32ELb0EJPaS1_jEEvDpT3_,@function
_Z6kernelI13subtract_leftLj256ELj32ELb0EJPaS1_jEEvDpT3_: ; @_Z6kernelI13subtract_leftLj256ELj32ELb0EJPaS1_jEEvDpT3_
; %bb.0:
	s_load_b128 s[4:7], s[0:1], 0x0
	s_bfe_u32 s2, ttmp6, 0x4000c
	s_and_b32 s3, ttmp6, 15
	s_add_co_i32 s2, s2, 1
	s_getreg_b32 s8, hwreg(HW_REG_IB_STS2, 6, 4)
	s_mul_i32 s2, ttmp9, s2
	s_wait_xcnt 0x0
	s_load_b32 s0, s[0:1], 0x10
	s_add_co_i32 s3, s3, s2
	s_cmp_eq_u32 s8, 0
	v_mov_b32_e32 v1, 0
	s_cselect_b32 s2, ttmp9, s3
	s_mov_b32 s3, 0
	s_lshl_b32 s2, s2, 13
	s_wait_kmcnt 0x0
	s_add_nc_u64 s[4:5], s[4:5], s[2:3]
	s_clause 0x1f
	global_load_u8 v2, v0, s[4:5] offset:256
	global_load_u8 v3, v0, s[4:5] offset:768
	;; [unrolled: 1-line block ×7, first 2 shown]
	global_load_u8 v9, v0, s[4:5]
	global_load_u8 v10, v0, s[4:5] offset:2304
	global_load_u8 v11, v0, s[4:5] offset:2816
	;; [unrolled: 1-line block ×24, first 2 shown]
	s_cmp_eq_u32 s0, 0
	s_wait_loadcnt 0x1b
	v_perm_b32 v5, v6, v5, 0xc0c0004
	s_wait_loadcnt 0x1a
	v_perm_b32 v4, v7, v4, 0xc0c0004
	;; [unrolled: 2-line block ×4, first 2 shown]
	v_lshl_or_b32 v9, v5, 16, v4
	s_delay_alu instid0(VALU_DEP_2)
	v_lshl_or_b32 v8, v3, 16, v2
	s_wait_loadcnt 0x11
	v_perm_b32 v7, v16, v11, 0xc0c0004
	s_wait_loadcnt 0x10
	v_perm_b32 v6, v17, v10, 0xc0c0004
	v_perm_b32 v10, v15, v12, 0xc0c0004
	v_perm_b32 v11, v14, v13, 0xc0c0004
	s_wait_loadcnt 0xb
	v_perm_b32 v15, v22, v21, 0xc0c0004
	s_wait_loadcnt 0xa
	v_perm_b32 v14, v23, v20, 0xc0c0004
	;; [unrolled: 2-line block ×4, first 2 shown]
	v_lshl_or_b32 v6, v7, 16, v6
	v_lshl_or_b32 v7, v11, 16, v10
	;; [unrolled: 1-line block ×3, first 2 shown]
	s_wait_loadcnt 0x3
	v_perm_b32 v16, v30, v26, 0xc0c0004
	s_wait_loadcnt 0x2
	v_perm_b32 v17, v29, v31, 0xc0c0004
	;; [unrolled: 2-line block ×4, first 2 shown]
	v_lshl_or_b32 v4, v13, 16, v12
	v_lshl_or_b32 v2, v17, 16, v16
	s_delay_alu instid0(VALU_DEP_3)
	v_lshl_or_b32 v3, v19, 16, v18
	s_cbranch_scc1 .LBB17_5
; %bb.1:
	v_add_nc_u32_e32 v10, -1, v0
	v_cmp_ne_u32_e32 vcc_lo, 0, v0
	s_branch .LBB17_3
.LBB17_2:                               ;   in Loop: Header=BB17_3 Depth=1
	s_or_b32 exec_lo, exec_lo, s1
	v_lshrrev_b64 v[14:15], 24, v[8:9]
	v_lshrrev_b64 v[16:17], 24, v[2:3]
	v_dual_lshrrev_b32 v15, 24, v9 :: v_dual_lshrrev_b32 v37, 16, v8
	v_lshrrev_b64 v[18:19], 24, v[4:5]
	v_lshrrev_b64 v[20:21], 24, v[6:7]
	v_dual_lshrrev_b32 v13, 8, v9 :: v_dual_lshrrev_b32 v22, 16, v9
	v_lshlrev_b16 v17, 1, v14
	v_lshrrev_b32_e32 v38, 8, v8
	v_lshlrev_b16 v19, 1, v9
	v_lshlrev_b16 v21, 1, v37
	v_dual_lshrrev_b32 v33, 8, v4 :: v_dual_lshrrev_b32 v34, 24, v7
	v_sub_nc_u16 v17, v17, v37
	v_lshlrev_b16 v37, 1, v15
	v_sub_nc_u16 v14, v19, v14
	v_sub_nc_u16 v19, v21, v38
	v_lshlrev_b16 v21, 1, v13
	v_dual_lshrrev_b32 v35, 16, v6 :: v_dual_lshrrev_b32 v36, 8, v6
	v_sub_nc_u16 v37, v37, v22
	v_dual_lshrrev_b32 v23, 8, v7 :: v_dual_lshrrev_b32 v24, 16, v7
	s_delay_alu instid0(VALU_DEP_4) | instskip(SKIP_1) | instid1(VALU_DEP_4)
	v_sub_nc_u16 v9, v21, v9
	v_lshlrev_b16 v21, 1, v22
	v_lshlrev_b16 v22, 8, v37
	;; [unrolled: 1-line block ×3, first 2 shown]
	v_dual_lshrrev_b32 v31, 24, v5 :: v_dual_lshrrev_b32 v32, 16, v4
	s_delay_alu instid0(VALU_DEP_4) | instskip(NEXT) | instid1(VALU_DEP_4)
	v_sub_nc_u16 v13, v21, v13
	v_lshrrev_b32_e32 v21, 8, v22
	v_lshlrev_b16 v39, 1, v38
	v_lshlrev_b16 v38, 1, v6
	;; [unrolled: 1-line block ×3, first 2 shown]
	v_add_nc_u16 v12, v12, v8
	v_sub_nc_u16 v20, v37, v20
	v_sub_nc_u16 v8, v39, v8
	;; [unrolled: 1-line block ×3, first 2 shown]
	v_lshlrev_b16 v38, 1, v35
	v_sub_nc_u16 v22, v22, v35
	v_lshlrev_b16 v35, 1, v34
	v_lshlrev_b16 v39, 1, v36
	;; [unrolled: 1-line block ×3, first 2 shown]
	v_sub_nc_u16 v36, v38, v36
	v_lshlrev_b16 v38, 1, v4
	v_sub_nc_u16 v35, v35, v24
	v_lshlrev_b16 v24, 1, v24
	v_dual_lshrrev_b32 v25, 8, v5 :: v_dual_lshrrev_b32 v26, 16, v5
	s_delay_alu instid0(VALU_DEP_4) | instskip(SKIP_1) | instid1(VALU_DEP_4)
	v_sub_nc_u16 v34, v38, v34
	v_lshlrev_b16 v38, 1, v32
	v_sub_nc_u16 v23, v24, v23
	v_lshlrev_b16 v24, 1, v18
	;; [unrolled: 2-line block ×3, first 2 shown]
	v_lshlrev_b16 v8, 8, v8
	v_lshlrev_b16 v9, 8, v9
	v_sub_nc_u16 v24, v24, v32
	v_lshlrev_b16 v32, 1, v33
	v_sub_nc_u16 v18, v37, v18
	v_lshlrev_b16 v37, 1, v31
	v_sub_nc_u16 v6, v39, v6
	v_dual_lshrrev_b32 v29, 16, v2 :: v_dual_lshrrev_b32 v30, 8, v2
	v_sub_nc_u16 v4, v32, v4
	v_lshlrev_b16 v32, 1, v25
	v_lshrrev_b32_e32 v8, 8, v8
	v_sub_nc_u16 v37, v37, v26
	v_lshlrev_b16 v26, 1, v26
	v_lshlrev_b16 v6, 8, v6
	v_sub_nc_u16 v5, v32, v5
	v_lshlrev_b16 v8, 8, v8
	v_lshlrev_b16 v35, 8, v35
	v_lshrrev_b32_e32 v9, 8, v9
	v_sub_nc_u16 v33, v38, v33
	v_lshlrev_b16 v5, 8, v5
	v_lshlrev_b16 v38, 1, v2
	v_sub_nc_u16 v25, v26, v25
	v_lshlrev_b16 v26, 1, v16
	v_bitop3_b16 v8, v12, v8, 0xff bitop3:0xec
	v_lshrrev_b32_e32 v5, 8, v5
	v_lshlrev_b16 v12, 8, v21
	v_lshrrev_b32_e32 v35, 8, v35
	v_sub_nc_u16 v31, v38, v31
	v_lshlrev_b16 v38, 1, v29
	v_sub_nc_u16 v26, v26, v29
	v_lshlrev_b16 v29, 1, v30
	v_lshlrev_b16 v9, 8, v9
	v_bitop3_b16 v12, v13, v12, 0xff bitop3:0xec
	v_dual_lshrrev_b32 v6, 8, v6 :: v_dual_lshrrev_b32 v27, 8, v3
	v_lshrrev_b32_e32 v28, 16, v3
	v_sub_nc_u16 v2, v29, v2
	v_bitop3_b16 v9, v14, v9, 0xff bitop3:0xec
	v_lshlrev_b32_e32 v12, 16, v12
	v_lshlrev_b16 v6, 8, v6
	v_lshlrev_b16 v22, 8, v22
	;; [unrolled: 1-line block ×9, first 2 shown]
	v_and_b32_e32 v9, 0xffff, v9
	v_bitop3_b16 v6, v15, v6, 0xff bitop3:0xec
	v_lshlrev_b16 v13, 8, v35
	v_dual_lshrrev_b32 v7, 8, v7 :: v_dual_lshrrev_b32 v32, 8, v32
	v_sub_nc_u16 v16, v37, v16
	v_lshlrev_b16 v37, 1, v28
	v_sub_nc_u16 v3, v29, v3
	v_sub_nc_u16 v11, v11, v28
	v_perm_b32 v14, v36, v22, 0xc0c0104
	v_and_b32_e32 v6, 0xffff, v6
	v_bitop3_b16 v13, v23, v13, 0xff bitop3:0xec
	v_lshrrev_b32_e32 v4, 8, v4
	v_dual_lshrrev_b32 v2, 8, v2 :: v_dual_bitop2_b32 v9, v9, v12 bitop3:0x54
	v_sub_nc_u16 v27, v37, v27
	v_lshlrev_b16 v7, 8, v7
	v_lshl_or_b32 v6, v14, 16, v6
	v_lshlrev_b32_e32 v12, 16, v13
	v_lshlrev_b16 v4, 8, v4
	v_lshlrev_b16 v5, 8, v5
	;; [unrolled: 1-line block ×8, first 2 shown]
	v_sub_nc_u16 v30, v38, v30
	v_lshlrev_b16 v26, 8, v26
	v_bitop3_b16 v7, v20, v7, 0xff bitop3:0xec
	v_bitop3_b16 v4, v34, v4, 0xff bitop3:0xec
	;; [unrolled: 1-line block ×7, first 2 shown]
	v_perm_b32 v17, v19, v17, 0xc0c0104
	v_and_b32_e32 v8, 0xffff, v8
	v_and_b32_e32 v7, 0xffff, v7
	v_perm_b32 v13, v33, v24, 0xc0c0104
	v_and_b32_e32 v4, 0xffff, v4
	v_and_b32_e32 v5, 0xffff, v5
	v_dual_lshlrev_b32 v14, 16, v14 :: v_dual_lshlrev_b32 v11, 16, v11
	v_perm_b32 v15, v30, v26, 0xc0c0104
	v_and_b32_e32 v2, 0xffff, v2
	v_and_b32_e32 v3, 0xffff, v3
	v_lshl_or_b32 v8, v17, 16, v8
	v_or_b32_e32 v7, v7, v12
	v_lshl_or_b32 v4, v13, 16, v4
	v_or_b32_e32 v5, v5, v14
	;; [unrolled: 2-line block ×3, first 2 shown]
	s_add_co_i32 s0, s0, -1
	s_delay_alu instid0(SALU_CYCLE_1)
	s_cmp_lg_u32 s0, 0
	s_barrier_signal -1
	s_barrier_wait -1
	s_cbranch_scc0 .LBB17_5
.LBB17_3:                               ; =>This Inner Loop Header: Depth=1
	v_dual_mov_b32 v12, v8 :: v_dual_lshrrev_b32 v11, 24, v3
	ds_store_b8 v0, v11
	s_wait_dscnt 0x0
	s_barrier_signal -1
	s_barrier_wait -1
	s_and_saveexec_b32 s1, vcc_lo
	s_cbranch_execz .LBB17_2
; %bb.4:                                ;   in Loop: Header=BB17_3 Depth=1
	ds_load_u8 v12, v10
	s_wait_dscnt 0x0
	v_sub_nc_u16 v12, v8, v12
	s_branch .LBB17_2
.LBB17_5:
	s_add_nc_u64 s[0:1], s[6:7], s[2:3]
	v_dual_lshrrev_b32 v10, 8, v8 :: v_dual_lshrrev_b32 v11, 24, v8
	v_add_nc_u64_e32 v[0:1], s[0:1], v[0:1]
	v_dual_lshrrev_b32 v12, 8, v9 :: v_dual_lshrrev_b32 v13, 24, v9
	s_clause 0x7
	global_store_b8 v[0:1], v8, off
	global_store_b8 v[0:1], v10, off offset:256
	global_store_d16_hi_b8 v[0:1], v8, off offset:512
	global_store_b8 v[0:1], v11, off offset:768
	global_store_b8 v[0:1], v9, off offset:1024
	global_store_b8 v[0:1], v12, off offset:1280
	global_store_d16_hi_b8 v[0:1], v9, off offset:1536
	global_store_b8 v[0:1], v13, off offset:1792
	s_wait_xcnt 0x1
	v_dual_lshrrev_b32 v8, 8, v6 :: v_dual_lshrrev_b32 v9, 24, v6
	v_dual_lshrrev_b32 v10, 8, v7 :: v_dual_lshrrev_b32 v11, 24, v7
	s_clause 0x7
	global_store_b8 v[0:1], v6, off offset:2048
	global_store_b8 v[0:1], v8, off offset:2304
	global_store_d16_hi_b8 v[0:1], v6, off offset:2560
	global_store_b8 v[0:1], v9, off offset:2816
	global_store_b8 v[0:1], v7, off offset:3072
	global_store_b8 v[0:1], v10, off offset:3328
	global_store_d16_hi_b8 v[0:1], v7, off offset:3584
	global_store_b8 v[0:1], v11, off offset:3840
	s_wait_xcnt 0x1
	v_dual_lshrrev_b32 v6, 8, v4 :: v_dual_lshrrev_b32 v7, 24, v4
	v_dual_lshrrev_b32 v8, 8, v5 :: v_dual_lshrrev_b32 v9, 24, v5
	s_clause 0x7
	global_store_b8 v[0:1], v4, off offset:4096
	;; [unrolled: 12-line block ×3, first 2 shown]
	global_store_b8 v[0:1], v4, off offset:6400
	global_store_d16_hi_b8 v[0:1], v2, off offset:6656
	global_store_b8 v[0:1], v5, off offset:6912
	global_store_b8 v[0:1], v3, off offset:7168
	;; [unrolled: 1-line block ×3, first 2 shown]
	global_store_d16_hi_b8 v[0:1], v3, off offset:7680
	global_store_b8 v[0:1], v7, off offset:7936
	s_endpgm
	.section	.rodata,"a",@progbits
	.p2align	6, 0x0
	.amdhsa_kernel _Z6kernelI13subtract_leftLj256ELj32ELb0EJPaS1_jEEvDpT3_
		.amdhsa_group_segment_fixed_size 512
		.amdhsa_private_segment_fixed_size 0
		.amdhsa_kernarg_size 20
		.amdhsa_user_sgpr_count 2
		.amdhsa_user_sgpr_dispatch_ptr 0
		.amdhsa_user_sgpr_queue_ptr 0
		.amdhsa_user_sgpr_kernarg_segment_ptr 1
		.amdhsa_user_sgpr_dispatch_id 0
		.amdhsa_user_sgpr_kernarg_preload_length 0
		.amdhsa_user_sgpr_kernarg_preload_offset 0
		.amdhsa_user_sgpr_private_segment_size 0
		.amdhsa_wavefront_size32 1
		.amdhsa_uses_dynamic_stack 0
		.amdhsa_enable_private_segment 0
		.amdhsa_system_sgpr_workgroup_id_x 1
		.amdhsa_system_sgpr_workgroup_id_y 0
		.amdhsa_system_sgpr_workgroup_id_z 0
		.amdhsa_system_sgpr_workgroup_info 0
		.amdhsa_system_vgpr_workitem_id 0
		.amdhsa_next_free_vgpr 40
		.amdhsa_next_free_sgpr 9
		.amdhsa_named_barrier_count 0
		.amdhsa_reserve_vcc 1
		.amdhsa_float_round_mode_32 0
		.amdhsa_float_round_mode_16_64 0
		.amdhsa_float_denorm_mode_32 3
		.amdhsa_float_denorm_mode_16_64 3
		.amdhsa_fp16_overflow 0
		.amdhsa_memory_ordered 1
		.amdhsa_forward_progress 1
		.amdhsa_inst_pref_size 21
		.amdhsa_round_robin_scheduling 0
		.amdhsa_exception_fp_ieee_invalid_op 0
		.amdhsa_exception_fp_denorm_src 0
		.amdhsa_exception_fp_ieee_div_zero 0
		.amdhsa_exception_fp_ieee_overflow 0
		.amdhsa_exception_fp_ieee_underflow 0
		.amdhsa_exception_fp_ieee_inexact 0
		.amdhsa_exception_int_div_zero 0
	.end_amdhsa_kernel
	.section	.text._Z6kernelI13subtract_leftLj256ELj32ELb0EJPaS1_jEEvDpT3_,"axG",@progbits,_Z6kernelI13subtract_leftLj256ELj32ELb0EJPaS1_jEEvDpT3_,comdat
.Lfunc_end17:
	.size	_Z6kernelI13subtract_leftLj256ELj32ELb0EJPaS1_jEEvDpT3_, .Lfunc_end17-_Z6kernelI13subtract_leftLj256ELj32ELb0EJPaS1_jEEvDpT3_
                                        ; -- End function
	.set _Z6kernelI13subtract_leftLj256ELj32ELb0EJPaS1_jEEvDpT3_.num_vgpr, 40
	.set _Z6kernelI13subtract_leftLj256ELj32ELb0EJPaS1_jEEvDpT3_.num_agpr, 0
	.set _Z6kernelI13subtract_leftLj256ELj32ELb0EJPaS1_jEEvDpT3_.numbered_sgpr, 9
	.set _Z6kernelI13subtract_leftLj256ELj32ELb0EJPaS1_jEEvDpT3_.num_named_barrier, 0
	.set _Z6kernelI13subtract_leftLj256ELj32ELb0EJPaS1_jEEvDpT3_.private_seg_size, 0
	.set _Z6kernelI13subtract_leftLj256ELj32ELb0EJPaS1_jEEvDpT3_.uses_vcc, 1
	.set _Z6kernelI13subtract_leftLj256ELj32ELb0EJPaS1_jEEvDpT3_.uses_flat_scratch, 0
	.set _Z6kernelI13subtract_leftLj256ELj32ELb0EJPaS1_jEEvDpT3_.has_dyn_sized_stack, 0
	.set _Z6kernelI13subtract_leftLj256ELj32ELb0EJPaS1_jEEvDpT3_.has_recursion, 0
	.set _Z6kernelI13subtract_leftLj256ELj32ELb0EJPaS1_jEEvDpT3_.has_indirect_call, 0
	.section	.AMDGPU.csdata,"",@progbits
; Kernel info:
; codeLenInByte = 2652
; TotalNumSgprs: 11
; NumVgprs: 40
; ScratchSize: 0
; MemoryBound: 0
; FloatMode: 240
; IeeeMode: 1
; LDSByteSize: 512 bytes/workgroup (compile time only)
; SGPRBlocks: 0
; VGPRBlocks: 2
; NumSGPRsForWavesPerEU: 11
; NumVGPRsForWavesPerEU: 40
; NamedBarCnt: 0
; Occupancy: 16
; WaveLimiterHint : 1
; COMPUTE_PGM_RSRC2:SCRATCH_EN: 0
; COMPUTE_PGM_RSRC2:USER_SGPR: 2
; COMPUTE_PGM_RSRC2:TRAP_HANDLER: 0
; COMPUTE_PGM_RSRC2:TGID_X_EN: 1
; COMPUTE_PGM_RSRC2:TGID_Y_EN: 0
; COMPUTE_PGM_RSRC2:TGID_Z_EN: 0
; COMPUTE_PGM_RSRC2:TIDIG_COMP_CNT: 0
	.section	.text._Z6kernelI13subtract_leftLj256ELj1ELb0EJPxS1_jEEvDpT3_,"axG",@progbits,_Z6kernelI13subtract_leftLj256ELj1ELb0EJPxS1_jEEvDpT3_,comdat
	.protected	_Z6kernelI13subtract_leftLj256ELj1ELb0EJPxS1_jEEvDpT3_ ; -- Begin function _Z6kernelI13subtract_leftLj256ELj1ELb0EJPxS1_jEEvDpT3_
	.globl	_Z6kernelI13subtract_leftLj256ELj1ELb0EJPxS1_jEEvDpT3_
	.p2align	8
	.type	_Z6kernelI13subtract_leftLj256ELj1ELb0EJPxS1_jEEvDpT3_,@function
_Z6kernelI13subtract_leftLj256ELj1ELb0EJPxS1_jEEvDpT3_: ; @_Z6kernelI13subtract_leftLj256ELj1ELb0EJPxS1_jEEvDpT3_
; %bb.0:
	s_load_b128 s[4:7], s[0:1], 0x0
	s_bfe_u32 s2, ttmp6, 0x4000c
	s_and_b32 s3, ttmp6, 15
	s_add_co_i32 s2, s2, 1
	s_getreg_b32 s8, hwreg(HW_REG_IB_STS2, 6, 4)
	s_mul_i32 s2, ttmp9, s2
	s_wait_xcnt 0x0
	s_load_b32 s0, s[0:1], 0x10
	s_add_co_i32 s3, s3, s2
	s_cmp_eq_u32 s8, 0
	s_cselect_b32 s2, ttmp9, s3
	s_mov_b32 s3, 0
	s_lshl_b32 s2, s2, 8
	s_delay_alu instid0(SALU_CYCLE_1)
	s_lshl_b64 s[2:3], s[2:3], 3
	s_wait_kmcnt 0x0
	s_add_nc_u64 s[4:5], s[4:5], s[2:3]
	global_load_b64 v[2:3], v0, s[4:5] scale_offset
	s_cmp_eq_u32 s0, 0
	s_cbranch_scc1 .LBB18_5
; %bb.1:
	v_lshlrev_b32_e32 v1, 3, v0
	v_cmp_ne_u32_e32 vcc_lo, 0, v0
	s_delay_alu instid0(VALU_DEP_2)
	v_add_nc_u32_e32 v6, -8, v1
	s_branch .LBB18_3
.LBB18_2:                               ;   in Loop: Header=BB18_3 Depth=1
	s_or_b32 exec_lo, exec_lo, s1
	s_delay_alu instid0(VALU_DEP_1) | instskip(SKIP_1) | instid1(SALU_CYCLE_1)
	v_add_nc_u64_e32 v[2:3], v[4:5], v[2:3]
	s_add_co_i32 s0, s0, -1
	s_cmp_lg_u32 s0, 0
	s_barrier_signal -1
	s_barrier_wait -1
	s_cbranch_scc0 .LBB18_5
.LBB18_3:                               ; =>This Inner Loop Header: Depth=1
	s_wait_loadcnt 0x0
	v_mov_b64_e32 v[4:5], v[2:3]
	ds_store_b64 v1, v[2:3]
	s_wait_dscnt 0x0
	s_barrier_signal -1
	s_barrier_wait -1
	s_and_saveexec_b32 s1, vcc_lo
	s_cbranch_execz .LBB18_2
; %bb.4:                                ;   in Loop: Header=BB18_3 Depth=1
	ds_load_b64 v[4:5], v6
	s_wait_dscnt 0x0
	v_sub_nc_u64_e32 v[4:5], v[2:3], v[4:5]
	s_branch .LBB18_2
.LBB18_5:
	s_add_nc_u64 s[0:1], s[6:7], s[2:3]
	s_wait_loadcnt 0x0
	global_store_b64 v0, v[2:3], s[0:1] scale_offset
	s_endpgm
	.section	.rodata,"a",@progbits
	.p2align	6, 0x0
	.amdhsa_kernel _Z6kernelI13subtract_leftLj256ELj1ELb0EJPxS1_jEEvDpT3_
		.amdhsa_group_segment_fixed_size 4096
		.amdhsa_private_segment_fixed_size 0
		.amdhsa_kernarg_size 20
		.amdhsa_user_sgpr_count 2
		.amdhsa_user_sgpr_dispatch_ptr 0
		.amdhsa_user_sgpr_queue_ptr 0
		.amdhsa_user_sgpr_kernarg_segment_ptr 1
		.amdhsa_user_sgpr_dispatch_id 0
		.amdhsa_user_sgpr_kernarg_preload_length 0
		.amdhsa_user_sgpr_kernarg_preload_offset 0
		.amdhsa_user_sgpr_private_segment_size 0
		.amdhsa_wavefront_size32 1
		.amdhsa_uses_dynamic_stack 0
		.amdhsa_enable_private_segment 0
		.amdhsa_system_sgpr_workgroup_id_x 1
		.amdhsa_system_sgpr_workgroup_id_y 0
		.amdhsa_system_sgpr_workgroup_id_z 0
		.amdhsa_system_sgpr_workgroup_info 0
		.amdhsa_system_vgpr_workitem_id 0
		.amdhsa_next_free_vgpr 7
		.amdhsa_next_free_sgpr 9
		.amdhsa_named_barrier_count 0
		.amdhsa_reserve_vcc 1
		.amdhsa_float_round_mode_32 0
		.amdhsa_float_round_mode_16_64 0
		.amdhsa_float_denorm_mode_32 3
		.amdhsa_float_denorm_mode_16_64 3
		.amdhsa_fp16_overflow 0
		.amdhsa_memory_ordered 1
		.amdhsa_forward_progress 1
		.amdhsa_inst_pref_size 2
		.amdhsa_round_robin_scheduling 0
		.amdhsa_exception_fp_ieee_invalid_op 0
		.amdhsa_exception_fp_denorm_src 0
		.amdhsa_exception_fp_ieee_div_zero 0
		.amdhsa_exception_fp_ieee_overflow 0
		.amdhsa_exception_fp_ieee_underflow 0
		.amdhsa_exception_fp_ieee_inexact 0
		.amdhsa_exception_int_div_zero 0
	.end_amdhsa_kernel
	.section	.text._Z6kernelI13subtract_leftLj256ELj1ELb0EJPxS1_jEEvDpT3_,"axG",@progbits,_Z6kernelI13subtract_leftLj256ELj1ELb0EJPxS1_jEEvDpT3_,comdat
.Lfunc_end18:
	.size	_Z6kernelI13subtract_leftLj256ELj1ELb0EJPxS1_jEEvDpT3_, .Lfunc_end18-_Z6kernelI13subtract_leftLj256ELj1ELb0EJPxS1_jEEvDpT3_
                                        ; -- End function
	.set _Z6kernelI13subtract_leftLj256ELj1ELb0EJPxS1_jEEvDpT3_.num_vgpr, 7
	.set _Z6kernelI13subtract_leftLj256ELj1ELb0EJPxS1_jEEvDpT3_.num_agpr, 0
	.set _Z6kernelI13subtract_leftLj256ELj1ELb0EJPxS1_jEEvDpT3_.numbered_sgpr, 9
	.set _Z6kernelI13subtract_leftLj256ELj1ELb0EJPxS1_jEEvDpT3_.num_named_barrier, 0
	.set _Z6kernelI13subtract_leftLj256ELj1ELb0EJPxS1_jEEvDpT3_.private_seg_size, 0
	.set _Z6kernelI13subtract_leftLj256ELj1ELb0EJPxS1_jEEvDpT3_.uses_vcc, 1
	.set _Z6kernelI13subtract_leftLj256ELj1ELb0EJPxS1_jEEvDpT3_.uses_flat_scratch, 0
	.set _Z6kernelI13subtract_leftLj256ELj1ELb0EJPxS1_jEEvDpT3_.has_dyn_sized_stack, 0
	.set _Z6kernelI13subtract_leftLj256ELj1ELb0EJPxS1_jEEvDpT3_.has_recursion, 0
	.set _Z6kernelI13subtract_leftLj256ELj1ELb0EJPxS1_jEEvDpT3_.has_indirect_call, 0
	.section	.AMDGPU.csdata,"",@progbits
; Kernel info:
; codeLenInByte = 232
; TotalNumSgprs: 11
; NumVgprs: 7
; ScratchSize: 0
; MemoryBound: 0
; FloatMode: 240
; IeeeMode: 1
; LDSByteSize: 4096 bytes/workgroup (compile time only)
; SGPRBlocks: 0
; VGPRBlocks: 0
; NumSGPRsForWavesPerEU: 11
; NumVGPRsForWavesPerEU: 7
; NamedBarCnt: 0
; Occupancy: 16
; WaveLimiterHint : 0
; COMPUTE_PGM_RSRC2:SCRATCH_EN: 0
; COMPUTE_PGM_RSRC2:USER_SGPR: 2
; COMPUTE_PGM_RSRC2:TRAP_HANDLER: 0
; COMPUTE_PGM_RSRC2:TGID_X_EN: 1
; COMPUTE_PGM_RSRC2:TGID_Y_EN: 0
; COMPUTE_PGM_RSRC2:TGID_Z_EN: 0
; COMPUTE_PGM_RSRC2:TIDIG_COMP_CNT: 0
	.section	.text._Z6kernelI13subtract_leftLj256ELj3ELb0EJPxS1_jEEvDpT3_,"axG",@progbits,_Z6kernelI13subtract_leftLj256ELj3ELb0EJPxS1_jEEvDpT3_,comdat
	.protected	_Z6kernelI13subtract_leftLj256ELj3ELb0EJPxS1_jEEvDpT3_ ; -- Begin function _Z6kernelI13subtract_leftLj256ELj3ELb0EJPxS1_jEEvDpT3_
	.globl	_Z6kernelI13subtract_leftLj256ELj3ELb0EJPxS1_jEEvDpT3_
	.p2align	8
	.type	_Z6kernelI13subtract_leftLj256ELj3ELb0EJPxS1_jEEvDpT3_,@function
_Z6kernelI13subtract_leftLj256ELj3ELb0EJPxS1_jEEvDpT3_: ; @_Z6kernelI13subtract_leftLj256ELj3ELb0EJPxS1_jEEvDpT3_
; %bb.0:
	s_load_b128 s[4:7], s[0:1], 0x0
	s_bfe_u32 s2, ttmp6, 0x4000c
	s_and_b32 s3, ttmp6, 15
	s_add_co_i32 s2, s2, 1
	s_getreg_b32 s8, hwreg(HW_REG_IB_STS2, 6, 4)
	s_mul_i32 s2, ttmp9, s2
	s_wait_xcnt 0x0
	s_load_b32 s0, s[0:1], 0x10
	s_add_co_i32 s3, s3, s2
	s_cmp_eq_u32 s8, 0
	s_cselect_b32 s2, ttmp9, s3
	s_mov_b32 s3, 0
	s_mulk_i32 s2, 0x300
	s_delay_alu instid0(SALU_CYCLE_1)
	s_lshl_b64 s[2:3], s[2:3], 3
	s_wait_kmcnt 0x0
	s_add_nc_u64 s[4:5], s[4:5], s[2:3]
	s_clause 0x2
	global_load_b64 v[4:5], v0, s[4:5] scale_offset
	global_load_b64 v[6:7], v0, s[4:5] offset:2048 scale_offset
	global_load_b64 v[2:3], v0, s[4:5] offset:4096 scale_offset
	s_cmp_eq_u32 s0, 0
	s_cbranch_scc1 .LBB19_6
; %bb.1:
	v_lshlrev_b32_e32 v1, 3, v0
	v_cmp_ne_u32_e32 vcc_lo, 0, v0
	s_delay_alu instid0(VALU_DEP_2)
	v_add_nc_u32_e32 v12, -8, v1
.LBB19_2:                               ; =>This Inner Loop Header: Depth=1
	s_wait_loadcnt 0x2
	s_delay_alu instid0(VALU_DEP_2)
	v_mov_b64_e32 v[8:9], v[4:5]
	s_wait_loadcnt 0x0
	ds_store_b64 v1, v[2:3]
	s_wait_dscnt 0x0
	s_barrier_signal -1
	s_barrier_wait -1
	s_and_saveexec_b32 s1, vcc_lo
	s_cbranch_execz .LBB19_4
; %bb.3:                                ;   in Loop: Header=BB19_2 Depth=1
	ds_load_b64 v[8:9], v12
	s_wait_dscnt 0x0
	v_sub_nc_u64_e32 v[8:9], v[4:5], v[8:9]
.LBB19_4:                               ;   in Loop: Header=BB19_2 Depth=1
	s_or_b32 exec_lo, exec_lo, s1
	v_lshlrev_b64_e32 v[14:15], 1, v[6:7]
	v_lshlrev_b64_e32 v[2:3], 1, v[2:3]
	s_delay_alu instid0(VALU_DEP_3) | instskip(SKIP_1) | instid1(SALU_CYCLE_1)
	v_add_nc_u64_e32 v[10:11], v[8:9], v[4:5]
	s_add_co_i32 s0, s0, -1
	s_cmp_lg_u32 s0, 0
	s_barrier_signal -1
	s_delay_alu instid0(VALU_DEP_3) | instskip(NEXT) | instid1(VALU_DEP_3)
	v_sub_nc_u64_e32 v[8:9], v[14:15], v[4:5]
	v_sub_nc_u64_e32 v[2:3], v[2:3], v[6:7]
	s_barrier_wait -1
	s_cbranch_scc0 .LBB19_7
; %bb.5:                                ;   in Loop: Header=BB19_2 Depth=1
	v_mov_b64_e32 v[4:5], v[10:11]
	s_delay_alu instid0(VALU_DEP_3)
	v_mov_b64_e32 v[6:7], v[8:9]
	s_branch .LBB19_2
.LBB19_6:
	s_wait_loadcnt 0x1
	v_mov_b64_e32 v[8:9], v[6:7]
	v_mov_b64_e32 v[10:11], v[4:5]
.LBB19_7:
	s_add_nc_u64 s[0:1], s[6:7], s[2:3]
	s_clause 0x1
	global_store_b64 v0, v[10:11], s[0:1] scale_offset
	global_store_b64 v0, v[8:9], s[0:1] offset:2048 scale_offset
	s_wait_loadcnt 0x0
	global_store_b64 v0, v[2:3], s[0:1] offset:4096 scale_offset
	s_endpgm
	.section	.rodata,"a",@progbits
	.p2align	6, 0x0
	.amdhsa_kernel _Z6kernelI13subtract_leftLj256ELj3ELb0EJPxS1_jEEvDpT3_
		.amdhsa_group_segment_fixed_size 4096
		.amdhsa_private_segment_fixed_size 0
		.amdhsa_kernarg_size 20
		.amdhsa_user_sgpr_count 2
		.amdhsa_user_sgpr_dispatch_ptr 0
		.amdhsa_user_sgpr_queue_ptr 0
		.amdhsa_user_sgpr_kernarg_segment_ptr 1
		.amdhsa_user_sgpr_dispatch_id 0
		.amdhsa_user_sgpr_kernarg_preload_length 0
		.amdhsa_user_sgpr_kernarg_preload_offset 0
		.amdhsa_user_sgpr_private_segment_size 0
		.amdhsa_wavefront_size32 1
		.amdhsa_uses_dynamic_stack 0
		.amdhsa_enable_private_segment 0
		.amdhsa_system_sgpr_workgroup_id_x 1
		.amdhsa_system_sgpr_workgroup_id_y 0
		.amdhsa_system_sgpr_workgroup_id_z 0
		.amdhsa_system_sgpr_workgroup_info 0
		.amdhsa_system_vgpr_workitem_id 0
		.amdhsa_next_free_vgpr 16
		.amdhsa_next_free_sgpr 9
		.amdhsa_named_barrier_count 0
		.amdhsa_reserve_vcc 1
		.amdhsa_float_round_mode_32 0
		.amdhsa_float_round_mode_16_64 0
		.amdhsa_float_denorm_mode_32 3
		.amdhsa_float_denorm_mode_16_64 3
		.amdhsa_fp16_overflow 0
		.amdhsa_memory_ordered 1
		.amdhsa_forward_progress 1
		.amdhsa_inst_pref_size 3
		.amdhsa_round_robin_scheduling 0
		.amdhsa_exception_fp_ieee_invalid_op 0
		.amdhsa_exception_fp_denorm_src 0
		.amdhsa_exception_fp_ieee_div_zero 0
		.amdhsa_exception_fp_ieee_overflow 0
		.amdhsa_exception_fp_ieee_underflow 0
		.amdhsa_exception_fp_ieee_inexact 0
		.amdhsa_exception_int_div_zero 0
	.end_amdhsa_kernel
	.section	.text._Z6kernelI13subtract_leftLj256ELj3ELb0EJPxS1_jEEvDpT3_,"axG",@progbits,_Z6kernelI13subtract_leftLj256ELj3ELb0EJPxS1_jEEvDpT3_,comdat
.Lfunc_end19:
	.size	_Z6kernelI13subtract_leftLj256ELj3ELb0EJPxS1_jEEvDpT3_, .Lfunc_end19-_Z6kernelI13subtract_leftLj256ELj3ELb0EJPxS1_jEEvDpT3_
                                        ; -- End function
	.set _Z6kernelI13subtract_leftLj256ELj3ELb0EJPxS1_jEEvDpT3_.num_vgpr, 16
	.set _Z6kernelI13subtract_leftLj256ELj3ELb0EJPxS1_jEEvDpT3_.num_agpr, 0
	.set _Z6kernelI13subtract_leftLj256ELj3ELb0EJPxS1_jEEvDpT3_.numbered_sgpr, 9
	.set _Z6kernelI13subtract_leftLj256ELj3ELb0EJPxS1_jEEvDpT3_.num_named_barrier, 0
	.set _Z6kernelI13subtract_leftLj256ELj3ELb0EJPxS1_jEEvDpT3_.private_seg_size, 0
	.set _Z6kernelI13subtract_leftLj256ELj3ELb0EJPxS1_jEEvDpT3_.uses_vcc, 1
	.set _Z6kernelI13subtract_leftLj256ELj3ELb0EJPxS1_jEEvDpT3_.uses_flat_scratch, 0
	.set _Z6kernelI13subtract_leftLj256ELj3ELb0EJPxS1_jEEvDpT3_.has_dyn_sized_stack, 0
	.set _Z6kernelI13subtract_leftLj256ELj3ELb0EJPxS1_jEEvDpT3_.has_recursion, 0
	.set _Z6kernelI13subtract_leftLj256ELj3ELb0EJPxS1_jEEvDpT3_.has_indirect_call, 0
	.section	.AMDGPU.csdata,"",@progbits
; Kernel info:
; codeLenInByte = 336
; TotalNumSgprs: 11
; NumVgprs: 16
; ScratchSize: 0
; MemoryBound: 0
; FloatMode: 240
; IeeeMode: 1
; LDSByteSize: 4096 bytes/workgroup (compile time only)
; SGPRBlocks: 0
; VGPRBlocks: 0
; NumSGPRsForWavesPerEU: 11
; NumVGPRsForWavesPerEU: 16
; NamedBarCnt: 0
; Occupancy: 16
; WaveLimiterHint : 1
; COMPUTE_PGM_RSRC2:SCRATCH_EN: 0
; COMPUTE_PGM_RSRC2:USER_SGPR: 2
; COMPUTE_PGM_RSRC2:TRAP_HANDLER: 0
; COMPUTE_PGM_RSRC2:TGID_X_EN: 1
; COMPUTE_PGM_RSRC2:TGID_Y_EN: 0
; COMPUTE_PGM_RSRC2:TGID_Z_EN: 0
; COMPUTE_PGM_RSRC2:TIDIG_COMP_CNT: 0
	.section	.text._Z6kernelI13subtract_leftLj256ELj4ELb0EJPxS1_jEEvDpT3_,"axG",@progbits,_Z6kernelI13subtract_leftLj256ELj4ELb0EJPxS1_jEEvDpT3_,comdat
	.protected	_Z6kernelI13subtract_leftLj256ELj4ELb0EJPxS1_jEEvDpT3_ ; -- Begin function _Z6kernelI13subtract_leftLj256ELj4ELb0EJPxS1_jEEvDpT3_
	.globl	_Z6kernelI13subtract_leftLj256ELj4ELb0EJPxS1_jEEvDpT3_
	.p2align	8
	.type	_Z6kernelI13subtract_leftLj256ELj4ELb0EJPxS1_jEEvDpT3_,@function
_Z6kernelI13subtract_leftLj256ELj4ELb0EJPxS1_jEEvDpT3_: ; @_Z6kernelI13subtract_leftLj256ELj4ELb0EJPxS1_jEEvDpT3_
; %bb.0:
	s_load_b128 s[4:7], s[0:1], 0x0
	s_bfe_u32 s2, ttmp6, 0x4000c
	s_and_b32 s3, ttmp6, 15
	s_add_co_i32 s2, s2, 1
	s_getreg_b32 s8, hwreg(HW_REG_IB_STS2, 6, 4)
	s_mul_i32 s2, ttmp9, s2
	s_wait_xcnt 0x0
	s_load_b32 s0, s[0:1], 0x10
	s_add_co_i32 s3, s3, s2
	s_cmp_eq_u32 s8, 0
	s_cselect_b32 s2, ttmp9, s3
	s_mov_b32 s3, 0
	s_lshl_b32 s2, s2, 10
	s_delay_alu instid0(SALU_CYCLE_1)
	s_lshl_b64 s[2:3], s[2:3], 3
	s_wait_kmcnt 0x0
	s_add_nc_u64 s[4:5], s[4:5], s[2:3]
	s_clause 0x3
	global_load_b64 v[4:5], v0, s[4:5] scale_offset
	global_load_b64 v[6:7], v0, s[4:5] offset:2048 scale_offset
	global_load_b64 v[8:9], v0, s[4:5] offset:4096 scale_offset
	;; [unrolled: 1-line block ×3, first 2 shown]
	s_cmp_eq_u32 s0, 0
	s_cbranch_scc1 .LBB20_6
; %bb.1:
	v_lshlrev_b32_e32 v1, 3, v0
	v_cmp_ne_u32_e32 vcc_lo, 0, v0
	s_delay_alu instid0(VALU_DEP_2)
	v_add_nc_u32_e32 v16, -8, v1
.LBB20_2:                               ; =>This Inner Loop Header: Depth=1
	s_wait_loadcnt 0x3
	s_delay_alu instid0(VALU_DEP_3)
	v_mov_b64_e32 v[10:11], v[4:5]
	s_wait_loadcnt 0x0
	ds_store_b64 v1, v[2:3]
	s_wait_dscnt 0x0
	s_barrier_signal -1
	s_barrier_wait -1
	s_and_saveexec_b32 s1, vcc_lo
	s_cbranch_execz .LBB20_4
; %bb.3:                                ;   in Loop: Header=BB20_2 Depth=1
	ds_load_b64 v[10:11], v16
	s_wait_dscnt 0x0
	v_sub_nc_u64_e32 v[10:11], v[4:5], v[10:11]
.LBB20_4:                               ;   in Loop: Header=BB20_2 Depth=1
	s_or_b32 exec_lo, exec_lo, s1
	v_lshlrev_b64_e32 v[12:13], 1, v[6:7]
	v_lshlrev_b64_e32 v[18:19], 1, v[8:9]
	;; [unrolled: 1-line block ×3, first 2 shown]
	s_delay_alu instid0(VALU_DEP_4) | instskip(SKIP_1) | instid1(SALU_CYCLE_1)
	v_add_nc_u64_e32 v[14:15], v[10:11], v[4:5]
	s_add_co_i32 s0, s0, -1
	s_cmp_lg_u32 s0, 0
	s_delay_alu instid0(VALU_DEP_4) | instskip(NEXT) | instid1(VALU_DEP_4)
	v_sub_nc_u64_e32 v[12:13], v[12:13], v[4:5]
	v_sub_nc_u64_e32 v[10:11], v[18:19], v[6:7]
	s_delay_alu instid0(VALU_DEP_4)
	v_sub_nc_u64_e32 v[2:3], v[2:3], v[8:9]
	s_barrier_signal -1
	s_barrier_wait -1
	s_cbranch_scc0 .LBB20_7
; %bb.5:                                ;   in Loop: Header=BB20_2 Depth=1
	v_mov_b64_e32 v[4:5], v[14:15]
	v_mov_b64_e32 v[6:7], v[12:13]
	;; [unrolled: 1-line block ×3, first 2 shown]
	s_branch .LBB20_2
.LBB20_6:
	s_wait_loadcnt 0x1
	v_mov_b64_e32 v[10:11], v[8:9]
	v_mov_b64_e32 v[12:13], v[6:7]
	;; [unrolled: 1-line block ×3, first 2 shown]
.LBB20_7:
	s_add_nc_u64 s[0:1], s[6:7], s[2:3]
	s_clause 0x2
	global_store_b64 v0, v[14:15], s[0:1] scale_offset
	global_store_b64 v0, v[12:13], s[0:1] offset:2048 scale_offset
	global_store_b64 v0, v[10:11], s[0:1] offset:4096 scale_offset
	s_wait_loadcnt 0x0
	global_store_b64 v0, v[2:3], s[0:1] offset:6144 scale_offset
	s_endpgm
	.section	.rodata,"a",@progbits
	.p2align	6, 0x0
	.amdhsa_kernel _Z6kernelI13subtract_leftLj256ELj4ELb0EJPxS1_jEEvDpT3_
		.amdhsa_group_segment_fixed_size 4096
		.amdhsa_private_segment_fixed_size 0
		.amdhsa_kernarg_size 20
		.amdhsa_user_sgpr_count 2
		.amdhsa_user_sgpr_dispatch_ptr 0
		.amdhsa_user_sgpr_queue_ptr 0
		.amdhsa_user_sgpr_kernarg_segment_ptr 1
		.amdhsa_user_sgpr_dispatch_id 0
		.amdhsa_user_sgpr_kernarg_preload_length 0
		.amdhsa_user_sgpr_kernarg_preload_offset 0
		.amdhsa_user_sgpr_private_segment_size 0
		.amdhsa_wavefront_size32 1
		.amdhsa_uses_dynamic_stack 0
		.amdhsa_enable_private_segment 0
		.amdhsa_system_sgpr_workgroup_id_x 1
		.amdhsa_system_sgpr_workgroup_id_y 0
		.amdhsa_system_sgpr_workgroup_id_z 0
		.amdhsa_system_sgpr_workgroup_info 0
		.amdhsa_system_vgpr_workitem_id 0
		.amdhsa_next_free_vgpr 20
		.amdhsa_next_free_sgpr 9
		.amdhsa_named_barrier_count 0
		.amdhsa_reserve_vcc 1
		.amdhsa_float_round_mode_32 0
		.amdhsa_float_round_mode_16_64 0
		.amdhsa_float_denorm_mode_32 3
		.amdhsa_float_denorm_mode_16_64 3
		.amdhsa_fp16_overflow 0
		.amdhsa_memory_ordered 1
		.amdhsa_forward_progress 1
		.amdhsa_inst_pref_size 3
		.amdhsa_round_robin_scheduling 0
		.amdhsa_exception_fp_ieee_invalid_op 0
		.amdhsa_exception_fp_denorm_src 0
		.amdhsa_exception_fp_ieee_div_zero 0
		.amdhsa_exception_fp_ieee_overflow 0
		.amdhsa_exception_fp_ieee_underflow 0
		.amdhsa_exception_fp_ieee_inexact 0
		.amdhsa_exception_int_div_zero 0
	.end_amdhsa_kernel
	.section	.text._Z6kernelI13subtract_leftLj256ELj4ELb0EJPxS1_jEEvDpT3_,"axG",@progbits,_Z6kernelI13subtract_leftLj256ELj4ELb0EJPxS1_jEEvDpT3_,comdat
.Lfunc_end20:
	.size	_Z6kernelI13subtract_leftLj256ELj4ELb0EJPxS1_jEEvDpT3_, .Lfunc_end20-_Z6kernelI13subtract_leftLj256ELj4ELb0EJPxS1_jEEvDpT3_
                                        ; -- End function
	.set _Z6kernelI13subtract_leftLj256ELj4ELb0EJPxS1_jEEvDpT3_.num_vgpr, 20
	.set _Z6kernelI13subtract_leftLj256ELj4ELb0EJPxS1_jEEvDpT3_.num_agpr, 0
	.set _Z6kernelI13subtract_leftLj256ELj4ELb0EJPxS1_jEEvDpT3_.numbered_sgpr, 9
	.set _Z6kernelI13subtract_leftLj256ELj4ELb0EJPxS1_jEEvDpT3_.num_named_barrier, 0
	.set _Z6kernelI13subtract_leftLj256ELj4ELb0EJPxS1_jEEvDpT3_.private_seg_size, 0
	.set _Z6kernelI13subtract_leftLj256ELj4ELb0EJPxS1_jEEvDpT3_.uses_vcc, 1
	.set _Z6kernelI13subtract_leftLj256ELj4ELb0EJPxS1_jEEvDpT3_.uses_flat_scratch, 0
	.set _Z6kernelI13subtract_leftLj256ELj4ELb0EJPxS1_jEEvDpT3_.has_dyn_sized_stack, 0
	.set _Z6kernelI13subtract_leftLj256ELj4ELb0EJPxS1_jEEvDpT3_.has_recursion, 0
	.set _Z6kernelI13subtract_leftLj256ELj4ELb0EJPxS1_jEEvDpT3_.has_indirect_call, 0
	.section	.AMDGPU.csdata,"",@progbits
; Kernel info:
; codeLenInByte = 376
; TotalNumSgprs: 11
; NumVgprs: 20
; ScratchSize: 0
; MemoryBound: 0
; FloatMode: 240
; IeeeMode: 1
; LDSByteSize: 4096 bytes/workgroup (compile time only)
; SGPRBlocks: 0
; VGPRBlocks: 1
; NumSGPRsForWavesPerEU: 11
; NumVGPRsForWavesPerEU: 20
; NamedBarCnt: 0
; Occupancy: 16
; WaveLimiterHint : 1
; COMPUTE_PGM_RSRC2:SCRATCH_EN: 0
; COMPUTE_PGM_RSRC2:USER_SGPR: 2
; COMPUTE_PGM_RSRC2:TRAP_HANDLER: 0
; COMPUTE_PGM_RSRC2:TGID_X_EN: 1
; COMPUTE_PGM_RSRC2:TGID_Y_EN: 0
; COMPUTE_PGM_RSRC2:TGID_Z_EN: 0
; COMPUTE_PGM_RSRC2:TIDIG_COMP_CNT: 0
	.section	.text._Z6kernelI13subtract_leftLj256ELj8ELb0EJPxS1_jEEvDpT3_,"axG",@progbits,_Z6kernelI13subtract_leftLj256ELj8ELb0EJPxS1_jEEvDpT3_,comdat
	.protected	_Z6kernelI13subtract_leftLj256ELj8ELb0EJPxS1_jEEvDpT3_ ; -- Begin function _Z6kernelI13subtract_leftLj256ELj8ELb0EJPxS1_jEEvDpT3_
	.globl	_Z6kernelI13subtract_leftLj256ELj8ELb0EJPxS1_jEEvDpT3_
	.p2align	8
	.type	_Z6kernelI13subtract_leftLj256ELj8ELb0EJPxS1_jEEvDpT3_,@function
_Z6kernelI13subtract_leftLj256ELj8ELb0EJPxS1_jEEvDpT3_: ; @_Z6kernelI13subtract_leftLj256ELj8ELb0EJPxS1_jEEvDpT3_
; %bb.0:
	s_load_b128 s[4:7], s[0:1], 0x0
	s_bfe_u32 s2, ttmp6, 0x4000c
	s_and_b32 s3, ttmp6, 15
	s_add_co_i32 s2, s2, 1
	s_getreg_b32 s8, hwreg(HW_REG_IB_STS2, 6, 4)
	s_mul_i32 s2, ttmp9, s2
	s_wait_xcnt 0x0
	s_load_b32 s0, s[0:1], 0x10
	s_add_co_i32 s3, s3, s2
	s_cmp_eq_u32 s8, 0
	s_cselect_b32 s2, ttmp9, s3
	s_mov_b32 s3, 0
	s_lshl_b32 s2, s2, 11
	s_delay_alu instid0(SALU_CYCLE_1)
	s_lshl_b64 s[2:3], s[2:3], 3
	s_wait_kmcnt 0x0
	s_add_nc_u64 s[4:5], s[4:5], s[2:3]
	s_clause 0x7
	global_load_b64 v[16:17], v0, s[4:5] scale_offset
	global_load_b64 v[14:15], v0, s[4:5] offset:2048 scale_offset
	global_load_b64 v[12:13], v0, s[4:5] offset:4096 scale_offset
	;; [unrolled: 1-line block ×7, first 2 shown]
	s_cmp_eq_u32 s0, 0
	s_cbranch_scc1 .LBB21_5
; %bb.1:
	v_lshlrev_b32_e32 v1, 3, v0
	v_cmp_ne_u32_e32 vcc_lo, 0, v0
	s_delay_alu instid0(VALU_DEP_2)
	v_add_nc_u32_e32 v20, -8, v1
	s_branch .LBB21_3
.LBB21_2:                               ;   in Loop: Header=BB21_3 Depth=1
	s_or_b32 exec_lo, exec_lo, s1
	v_sub_nc_u64_e32 v[22:23], v[2:3], v[4:5]
	v_sub_nc_u64_e32 v[24:25], v[14:15], v[16:17]
	;; [unrolled: 1-line block ×7, first 2 shown]
	v_add_nc_u64_e32 v[16:17], v[18:19], v[16:17]
	v_add_nc_u64_e32 v[14:15], v[24:25], v[14:15]
	;; [unrolled: 1-line block ×8, first 2 shown]
	s_add_co_i32 s0, s0, -1
	s_delay_alu instid0(SALU_CYCLE_1)
	s_cmp_lg_u32 s0, 0
	s_barrier_signal -1
	s_barrier_wait -1
	s_cbranch_scc0 .LBB21_5
.LBB21_3:                               ; =>This Inner Loop Header: Depth=1
	s_wait_loadcnt 0x7
	v_mov_b64_e32 v[18:19], v[16:17]
	s_wait_loadcnt 0x0
	ds_store_b64 v1, v[2:3]
	s_wait_dscnt 0x0
	s_barrier_signal -1
	s_barrier_wait -1
	s_and_saveexec_b32 s1, vcc_lo
	s_cbranch_execz .LBB21_2
; %bb.4:                                ;   in Loop: Header=BB21_3 Depth=1
	ds_load_b64 v[18:19], v20
	s_wait_dscnt 0x0
	v_sub_nc_u64_e32 v[18:19], v[16:17], v[18:19]
	s_branch .LBB21_2
.LBB21_5:
	s_add_nc_u64 s[0:1], s[6:7], s[2:3]
	s_wait_loadcnt 0x7
	global_store_b64 v0, v[16:17], s[0:1] scale_offset
	s_wait_loadcnt 0x6
	global_store_b64 v0, v[14:15], s[0:1] offset:2048 scale_offset
	s_wait_loadcnt 0x5
	global_store_b64 v0, v[12:13], s[0:1] offset:4096 scale_offset
	;; [unrolled: 2-line block ×7, first 2 shown]
	s_endpgm
	.section	.rodata,"a",@progbits
	.p2align	6, 0x0
	.amdhsa_kernel _Z6kernelI13subtract_leftLj256ELj8ELb0EJPxS1_jEEvDpT3_
		.amdhsa_group_segment_fixed_size 4096
		.amdhsa_private_segment_fixed_size 0
		.amdhsa_kernarg_size 20
		.amdhsa_user_sgpr_count 2
		.amdhsa_user_sgpr_dispatch_ptr 0
		.amdhsa_user_sgpr_queue_ptr 0
		.amdhsa_user_sgpr_kernarg_segment_ptr 1
		.amdhsa_user_sgpr_dispatch_id 0
		.amdhsa_user_sgpr_kernarg_preload_length 0
		.amdhsa_user_sgpr_kernarg_preload_offset 0
		.amdhsa_user_sgpr_private_segment_size 0
		.amdhsa_wavefront_size32 1
		.amdhsa_uses_dynamic_stack 0
		.amdhsa_enable_private_segment 0
		.amdhsa_system_sgpr_workgroup_id_x 1
		.amdhsa_system_sgpr_workgroup_id_y 0
		.amdhsa_system_sgpr_workgroup_id_z 0
		.amdhsa_system_sgpr_workgroup_info 0
		.amdhsa_system_vgpr_workitem_id 0
		.amdhsa_next_free_vgpr 36
		.amdhsa_next_free_sgpr 9
		.amdhsa_named_barrier_count 0
		.amdhsa_reserve_vcc 1
		.amdhsa_float_round_mode_32 0
		.amdhsa_float_round_mode_16_64 0
		.amdhsa_float_denorm_mode_32 3
		.amdhsa_float_denorm_mode_16_64 3
		.amdhsa_fp16_overflow 0
		.amdhsa_memory_ordered 1
		.amdhsa_forward_progress 1
		.amdhsa_inst_pref_size 4
		.amdhsa_round_robin_scheduling 0
		.amdhsa_exception_fp_ieee_invalid_op 0
		.amdhsa_exception_fp_denorm_src 0
		.amdhsa_exception_fp_ieee_div_zero 0
		.amdhsa_exception_fp_ieee_overflow 0
		.amdhsa_exception_fp_ieee_underflow 0
		.amdhsa_exception_fp_ieee_inexact 0
		.amdhsa_exception_int_div_zero 0
	.end_amdhsa_kernel
	.section	.text._Z6kernelI13subtract_leftLj256ELj8ELb0EJPxS1_jEEvDpT3_,"axG",@progbits,_Z6kernelI13subtract_leftLj256ELj8ELb0EJPxS1_jEEvDpT3_,comdat
.Lfunc_end21:
	.size	_Z6kernelI13subtract_leftLj256ELj8ELb0EJPxS1_jEEvDpT3_, .Lfunc_end21-_Z6kernelI13subtract_leftLj256ELj8ELb0EJPxS1_jEEvDpT3_
                                        ; -- End function
	.set _Z6kernelI13subtract_leftLj256ELj8ELb0EJPxS1_jEEvDpT3_.num_vgpr, 36
	.set _Z6kernelI13subtract_leftLj256ELj8ELb0EJPxS1_jEEvDpT3_.num_agpr, 0
	.set _Z6kernelI13subtract_leftLj256ELj8ELb0EJPxS1_jEEvDpT3_.numbered_sgpr, 9
	.set _Z6kernelI13subtract_leftLj256ELj8ELb0EJPxS1_jEEvDpT3_.num_named_barrier, 0
	.set _Z6kernelI13subtract_leftLj256ELj8ELb0EJPxS1_jEEvDpT3_.private_seg_size, 0
	.set _Z6kernelI13subtract_leftLj256ELj8ELb0EJPxS1_jEEvDpT3_.uses_vcc, 1
	.set _Z6kernelI13subtract_leftLj256ELj8ELb0EJPxS1_jEEvDpT3_.uses_flat_scratch, 0
	.set _Z6kernelI13subtract_leftLj256ELj8ELb0EJPxS1_jEEvDpT3_.has_dyn_sized_stack, 0
	.set _Z6kernelI13subtract_leftLj256ELj8ELb0EJPxS1_jEEvDpT3_.has_recursion, 0
	.set _Z6kernelI13subtract_leftLj256ELj8ELb0EJPxS1_jEEvDpT3_.has_indirect_call, 0
	.section	.AMDGPU.csdata,"",@progbits
; Kernel info:
; codeLenInByte = 492
; TotalNumSgprs: 11
; NumVgprs: 36
; ScratchSize: 0
; MemoryBound: 0
; FloatMode: 240
; IeeeMode: 1
; LDSByteSize: 4096 bytes/workgroup (compile time only)
; SGPRBlocks: 0
; VGPRBlocks: 2
; NumSGPRsForWavesPerEU: 11
; NumVGPRsForWavesPerEU: 36
; NamedBarCnt: 0
; Occupancy: 16
; WaveLimiterHint : 1
; COMPUTE_PGM_RSRC2:SCRATCH_EN: 0
; COMPUTE_PGM_RSRC2:USER_SGPR: 2
; COMPUTE_PGM_RSRC2:TRAP_HANDLER: 0
; COMPUTE_PGM_RSRC2:TGID_X_EN: 1
; COMPUTE_PGM_RSRC2:TGID_Y_EN: 0
; COMPUTE_PGM_RSRC2:TGID_Z_EN: 0
; COMPUTE_PGM_RSRC2:TIDIG_COMP_CNT: 0
	.section	.text._Z6kernelI13subtract_leftLj256ELj16ELb0EJPxS1_jEEvDpT3_,"axG",@progbits,_Z6kernelI13subtract_leftLj256ELj16ELb0EJPxS1_jEEvDpT3_,comdat
	.protected	_Z6kernelI13subtract_leftLj256ELj16ELb0EJPxS1_jEEvDpT3_ ; -- Begin function _Z6kernelI13subtract_leftLj256ELj16ELb0EJPxS1_jEEvDpT3_
	.globl	_Z6kernelI13subtract_leftLj256ELj16ELb0EJPxS1_jEEvDpT3_
	.p2align	8
	.type	_Z6kernelI13subtract_leftLj256ELj16ELb0EJPxS1_jEEvDpT3_,@function
_Z6kernelI13subtract_leftLj256ELj16ELb0EJPxS1_jEEvDpT3_: ; @_Z6kernelI13subtract_leftLj256ELj16ELb0EJPxS1_jEEvDpT3_
; %bb.0:
	s_load_b128 s[4:7], s[0:1], 0x0
	s_bfe_u32 s2, ttmp6, 0x4000c
	s_and_b32 s3, ttmp6, 15
	s_add_co_i32 s2, s2, 1
	s_getreg_b32 s8, hwreg(HW_REG_IB_STS2, 6, 4)
	s_mul_i32 s2, ttmp9, s2
	s_wait_xcnt 0x0
	s_load_b32 s0, s[0:1], 0x10
	s_add_co_i32 s3, s3, s2
	s_cmp_eq_u32 s8, 0
	s_cselect_b32 s2, ttmp9, s3
	s_mov_b32 s3, 0
	s_lshl_b32 s2, s2, 12
	s_delay_alu instid0(SALU_CYCLE_1)
	s_lshl_b64 s[2:3], s[2:3], 3
	s_wait_kmcnt 0x0
	s_add_nc_u64 s[4:5], s[4:5], s[2:3]
	s_clause 0xf
	global_load_b64 v[32:33], v0, s[4:5] scale_offset
	global_load_b64 v[30:31], v0, s[4:5] offset:2048 scale_offset
	global_load_b64 v[28:29], v0, s[4:5] offset:4096 scale_offset
	;; [unrolled: 1-line block ×15, first 2 shown]
	s_cmp_eq_u32 s0, 0
	s_cbranch_scc1 .LBB22_5
; %bb.1:
	v_lshlrev_b32_e32 v1, 3, v0
	v_cmp_ne_u32_e32 vcc_lo, 0, v0
	s_delay_alu instid0(VALU_DEP_2)
	v_add_nc_u32_e32 v36, -8, v1
	s_branch .LBB22_3
.LBB22_2:                               ;   in Loop: Header=BB22_3 Depth=1
	s_or_b32 exec_lo, exec_lo, s1
	v_sub_nc_u64_e32 v[54:55], v[30:31], v[32:33]
	v_sub_nc_u64_e32 v[38:39], v[2:3], v[4:5]
	;; [unrolled: 1-line block ×13, first 2 shown]
	v_add_nc_u64_e32 v[32:33], v[34:35], v[32:33]
	v_sub_nc_u64_e32 v[34:35], v[20:21], v[22:23]
	v_add_nc_u64_e32 v[30:31], v[54:55], v[30:31]
	v_sub_nc_u64_e32 v[54:55], v[16:17], v[18:19]
	v_add_nc_u64_e32 v[28:29], v[58:59], v[28:29]
	v_add_nc_u64_e32 v[26:27], v[60:61], v[26:27]
	;; [unrolled: 1-line block ×14, first 2 shown]
	s_add_co_i32 s0, s0, -1
	s_delay_alu instid0(SALU_CYCLE_1)
	s_cmp_lg_u32 s0, 0
	s_barrier_signal -1
	s_barrier_wait -1
	s_cbranch_scc0 .LBB22_5
.LBB22_3:                               ; =>This Inner Loop Header: Depth=1
	s_wait_loadcnt 0xf
	v_mov_b64_e32 v[34:35], v[32:33]
	s_wait_loadcnt 0x0
	ds_store_b64 v1, v[2:3]
	s_wait_dscnt 0x0
	s_barrier_signal -1
	s_barrier_wait -1
	s_and_saveexec_b32 s1, vcc_lo
	s_cbranch_execz .LBB22_2
; %bb.4:                                ;   in Loop: Header=BB22_3 Depth=1
	ds_load_b64 v[34:35], v36
	s_wait_dscnt 0x0
	v_sub_nc_u64_e32 v[34:35], v[32:33], v[34:35]
	s_branch .LBB22_2
.LBB22_5:
	s_add_nc_u64 s[0:1], s[6:7], s[2:3]
	s_wait_loadcnt 0xf
	global_store_b64 v0, v[32:33], s[0:1] scale_offset
	s_wait_loadcnt 0xe
	global_store_b64 v0, v[30:31], s[0:1] offset:2048 scale_offset
	s_wait_loadcnt 0xd
	global_store_b64 v0, v[28:29], s[0:1] offset:4096 scale_offset
	;; [unrolled: 2-line block ×15, first 2 shown]
	s_endpgm
	.section	.rodata,"a",@progbits
	.p2align	6, 0x0
	.amdhsa_kernel _Z6kernelI13subtract_leftLj256ELj16ELb0EJPxS1_jEEvDpT3_
		.amdhsa_group_segment_fixed_size 4096
		.amdhsa_private_segment_fixed_size 0
		.amdhsa_kernarg_size 20
		.amdhsa_user_sgpr_count 2
		.amdhsa_user_sgpr_dispatch_ptr 0
		.amdhsa_user_sgpr_queue_ptr 0
		.amdhsa_user_sgpr_kernarg_segment_ptr 1
		.amdhsa_user_sgpr_dispatch_id 0
		.amdhsa_user_sgpr_kernarg_preload_length 0
		.amdhsa_user_sgpr_kernarg_preload_offset 0
		.amdhsa_user_sgpr_private_segment_size 0
		.amdhsa_wavefront_size32 1
		.amdhsa_uses_dynamic_stack 0
		.amdhsa_enable_private_segment 0
		.amdhsa_system_sgpr_workgroup_id_x 1
		.amdhsa_system_sgpr_workgroup_id_y 0
		.amdhsa_system_sgpr_workgroup_id_z 0
		.amdhsa_system_sgpr_workgroup_info 0
		.amdhsa_system_vgpr_workitem_id 0
		.amdhsa_next_free_vgpr 64
		.amdhsa_next_free_sgpr 9
		.amdhsa_named_barrier_count 0
		.amdhsa_reserve_vcc 1
		.amdhsa_float_round_mode_32 0
		.amdhsa_float_round_mode_16_64 0
		.amdhsa_float_denorm_mode_32 3
		.amdhsa_float_denorm_mode_16_64 3
		.amdhsa_fp16_overflow 0
		.amdhsa_memory_ordered 1
		.amdhsa_forward_progress 1
		.amdhsa_inst_pref_size 7
		.amdhsa_round_robin_scheduling 0
		.amdhsa_exception_fp_ieee_invalid_op 0
		.amdhsa_exception_fp_denorm_src 0
		.amdhsa_exception_fp_ieee_div_zero 0
		.amdhsa_exception_fp_ieee_overflow 0
		.amdhsa_exception_fp_ieee_underflow 0
		.amdhsa_exception_fp_ieee_inexact 0
		.amdhsa_exception_int_div_zero 0
	.end_amdhsa_kernel
	.section	.text._Z6kernelI13subtract_leftLj256ELj16ELb0EJPxS1_jEEvDpT3_,"axG",@progbits,_Z6kernelI13subtract_leftLj256ELj16ELb0EJPxS1_jEEvDpT3_,comdat
.Lfunc_end22:
	.size	_Z6kernelI13subtract_leftLj256ELj16ELb0EJPxS1_jEEvDpT3_, .Lfunc_end22-_Z6kernelI13subtract_leftLj256ELj16ELb0EJPxS1_jEEvDpT3_
                                        ; -- End function
	.set _Z6kernelI13subtract_leftLj256ELj16ELb0EJPxS1_jEEvDpT3_.num_vgpr, 64
	.set _Z6kernelI13subtract_leftLj256ELj16ELb0EJPxS1_jEEvDpT3_.num_agpr, 0
	.set _Z6kernelI13subtract_leftLj256ELj16ELb0EJPxS1_jEEvDpT3_.numbered_sgpr, 9
	.set _Z6kernelI13subtract_leftLj256ELj16ELb0EJPxS1_jEEvDpT3_.num_named_barrier, 0
	.set _Z6kernelI13subtract_leftLj256ELj16ELb0EJPxS1_jEEvDpT3_.private_seg_size, 0
	.set _Z6kernelI13subtract_leftLj256ELj16ELb0EJPxS1_jEEvDpT3_.uses_vcc, 1
	.set _Z6kernelI13subtract_leftLj256ELj16ELb0EJPxS1_jEEvDpT3_.uses_flat_scratch, 0
	.set _Z6kernelI13subtract_leftLj256ELj16ELb0EJPxS1_jEEvDpT3_.has_dyn_sized_stack, 0
	.set _Z6kernelI13subtract_leftLj256ELj16ELb0EJPxS1_jEEvDpT3_.has_recursion, 0
	.set _Z6kernelI13subtract_leftLj256ELj16ELb0EJPxS1_jEEvDpT3_.has_indirect_call, 0
	.section	.AMDGPU.csdata,"",@progbits
; Kernel info:
; codeLenInByte = 780
; TotalNumSgprs: 11
; NumVgprs: 64
; ScratchSize: 0
; MemoryBound: 0
; FloatMode: 240
; IeeeMode: 1
; LDSByteSize: 4096 bytes/workgroup (compile time only)
; SGPRBlocks: 0
; VGPRBlocks: 3
; NumSGPRsForWavesPerEU: 11
; NumVGPRsForWavesPerEU: 64
; NamedBarCnt: 0
; Occupancy: 16
; WaveLimiterHint : 1
; COMPUTE_PGM_RSRC2:SCRATCH_EN: 0
; COMPUTE_PGM_RSRC2:USER_SGPR: 2
; COMPUTE_PGM_RSRC2:TRAP_HANDLER: 0
; COMPUTE_PGM_RSRC2:TGID_X_EN: 1
; COMPUTE_PGM_RSRC2:TGID_Y_EN: 0
; COMPUTE_PGM_RSRC2:TGID_Z_EN: 0
; COMPUTE_PGM_RSRC2:TIDIG_COMP_CNT: 0
	.section	.text._Z6kernelI13subtract_leftLj256ELj32ELb0EJPxS1_jEEvDpT3_,"axG",@progbits,_Z6kernelI13subtract_leftLj256ELj32ELb0EJPxS1_jEEvDpT3_,comdat
	.protected	_Z6kernelI13subtract_leftLj256ELj32ELb0EJPxS1_jEEvDpT3_ ; -- Begin function _Z6kernelI13subtract_leftLj256ELj32ELb0EJPxS1_jEEvDpT3_
	.globl	_Z6kernelI13subtract_leftLj256ELj32ELb0EJPxS1_jEEvDpT3_
	.p2align	8
	.type	_Z6kernelI13subtract_leftLj256ELj32ELb0EJPxS1_jEEvDpT3_,@function
_Z6kernelI13subtract_leftLj256ELj32ELb0EJPxS1_jEEvDpT3_: ; @_Z6kernelI13subtract_leftLj256ELj32ELb0EJPxS1_jEEvDpT3_
; %bb.0:
	s_load_b128 s[4:7], s[0:1], 0x0
	s_bfe_u32 s2, ttmp6, 0x4000c
	s_and_b32 s3, ttmp6, 15
	s_add_co_i32 s2, s2, 1
	s_getreg_b32 s8, hwreg(HW_REG_IB_STS2, 6, 4)
	s_mul_i32 s2, ttmp9, s2
	s_wait_xcnt 0x0
	s_load_b32 s0, s[0:1], 0x10
	s_add_co_i32 s3, s3, s2
	s_cmp_eq_u32 s8, 0
	s_cselect_b32 s2, ttmp9, s3
	s_mov_b32 s3, 0
	s_lshl_b32 s2, s2, 13
	s_delay_alu instid0(SALU_CYCLE_1)
	s_lshl_b64 s[2:3], s[2:3], 3
	s_wait_kmcnt 0x0
	s_add_nc_u64 s[4:5], s[4:5], s[2:3]
	s_clause 0x1f
	global_load_b64 v[52:53], v0, s[4:5] scale_offset
	global_load_b64 v[50:51], v0, s[4:5] offset:2048 scale_offset
	global_load_b64 v[48:49], v0, s[4:5] offset:4096 scale_offset
	;; [unrolled: 1-line block ×31, first 2 shown]
	s_cmp_eq_u32 s0, 0
	s_cbranch_scc1 .LBB23_5
; %bb.1:
	v_lshlrev_b32_e32 v1, 3, v0
	v_cmp_ne_u32_e32 vcc_lo, 0, v0
	s_delay_alu instid0(VALU_DEP_2)
	v_add_nc_u32_e32 v68, -8, v1
	s_branch .LBB23_3
.LBB23_2:                               ;   in Loop: Header=BB23_3 Depth=1
	s_or_b32 exec_lo, exec_lo, s1
	v_sub_nc_u64_e32 v[70:71], v[50:51], v[52:53]
	v_sub_nc_u64_e32 v[74:75], v[48:49], v[50:51]
	;; [unrolled: 1-line block ×3, first 2 shown]
	s_delay_alu instid0(VALU_DEP_4)
	v_add_nc_u64_e32 v[52:53], v[66:67], v[52:53]
	v_sub_nc_u64_e32 v[66:67], v[44:45], v[46:47]
	v_sub_nc_u64_e32 v[72:73], v[56:57], v[58:59]
	;; [unrolled: 1-line block ×3, first 2 shown]
	v_add_nc_u64_e32 v[50:51], v[70:71], v[50:51]
	v_sub_nc_u64_e32 v[70:71], v[42:43], v[44:45]
	v_add_nc_u64_e32 v[48:49], v[74:75], v[48:49]
	v_sub_nc_u64_e32 v[74:75], v[40:41], v[42:43]
	;; [unrolled: 2-line block ×25, first 2 shown]
	v_add_nc_u64_e32 v[64:65], v[74:75], v[64:65]
	v_add_nc_u64_e32 v[60:61], v[76:77], v[60:61]
	;; [unrolled: 1-line block ×5, first 2 shown]
	s_add_co_i32 s0, s0, -1
	v_add_nc_u64_e32 v[54:55], v[70:71], v[54:55]
	s_cmp_lg_u32 s0, 0
	s_barrier_signal -1
	s_barrier_wait -1
	s_cbranch_scc0 .LBB23_5
.LBB23_3:                               ; =>This Inner Loop Header: Depth=1
	s_wait_loadcnt 0x1f
	v_mov_b64_e32 v[66:67], v[52:53]
	s_wait_loadcnt 0x0
	ds_store_b64 v1, v[54:55]
	s_wait_dscnt 0x0
	s_barrier_signal -1
	s_barrier_wait -1
	s_and_saveexec_b32 s1, vcc_lo
	s_cbranch_execz .LBB23_2
; %bb.4:                                ;   in Loop: Header=BB23_3 Depth=1
	ds_load_b64 v[66:67], v68
	s_wait_dscnt 0x0
	v_sub_nc_u64_e32 v[66:67], v[52:53], v[66:67]
	s_branch .LBB23_2
.LBB23_5:
	s_add_nc_u64 s[0:1], s[6:7], s[2:3]
	s_wait_loadcnt 0x1f
	global_store_b64 v0, v[52:53], s[0:1] scale_offset
	s_wait_loadcnt 0x1e
	global_store_b64 v0, v[50:51], s[0:1] offset:2048 scale_offset
	s_wait_loadcnt 0x1d
	global_store_b64 v0, v[48:49], s[0:1] offset:4096 scale_offset
	;; [unrolled: 2-line block ×31, first 2 shown]
	s_sendmsg sendmsg(MSG_DEALLOC_VGPRS)
	s_endpgm
	.section	.rodata,"a",@progbits
	.p2align	6, 0x0
	.amdhsa_kernel _Z6kernelI13subtract_leftLj256ELj32ELb0EJPxS1_jEEvDpT3_
		.amdhsa_group_segment_fixed_size 4096
		.amdhsa_private_segment_fixed_size 0
		.amdhsa_kernarg_size 20
		.amdhsa_user_sgpr_count 2
		.amdhsa_user_sgpr_dispatch_ptr 0
		.amdhsa_user_sgpr_queue_ptr 0
		.amdhsa_user_sgpr_kernarg_segment_ptr 1
		.amdhsa_user_sgpr_dispatch_id 0
		.amdhsa_user_sgpr_kernarg_preload_length 0
		.amdhsa_user_sgpr_kernarg_preload_offset 0
		.amdhsa_user_sgpr_private_segment_size 0
		.amdhsa_wavefront_size32 1
		.amdhsa_uses_dynamic_stack 0
		.amdhsa_enable_private_segment 0
		.amdhsa_system_sgpr_workgroup_id_x 1
		.amdhsa_system_sgpr_workgroup_id_y 0
		.amdhsa_system_sgpr_workgroup_id_z 0
		.amdhsa_system_sgpr_workgroup_info 0
		.amdhsa_system_vgpr_workitem_id 0
		.amdhsa_next_free_vgpr 80
		.amdhsa_next_free_sgpr 9
		.amdhsa_named_barrier_count 0
		.amdhsa_reserve_vcc 1
		.amdhsa_float_round_mode_32 0
		.amdhsa_float_round_mode_16_64 0
		.amdhsa_float_denorm_mode_32 3
		.amdhsa_float_denorm_mode_16_64 3
		.amdhsa_fp16_overflow 0
		.amdhsa_memory_ordered 1
		.amdhsa_forward_progress 1
		.amdhsa_inst_pref_size 11
		.amdhsa_round_robin_scheduling 0
		.amdhsa_exception_fp_ieee_invalid_op 0
		.amdhsa_exception_fp_denorm_src 0
		.amdhsa_exception_fp_ieee_div_zero 0
		.amdhsa_exception_fp_ieee_overflow 0
		.amdhsa_exception_fp_ieee_underflow 0
		.amdhsa_exception_fp_ieee_inexact 0
		.amdhsa_exception_int_div_zero 0
	.end_amdhsa_kernel
	.section	.text._Z6kernelI13subtract_leftLj256ELj32ELb0EJPxS1_jEEvDpT3_,"axG",@progbits,_Z6kernelI13subtract_leftLj256ELj32ELb0EJPxS1_jEEvDpT3_,comdat
.Lfunc_end23:
	.size	_Z6kernelI13subtract_leftLj256ELj32ELb0EJPxS1_jEEvDpT3_, .Lfunc_end23-_Z6kernelI13subtract_leftLj256ELj32ELb0EJPxS1_jEEvDpT3_
                                        ; -- End function
	.set _Z6kernelI13subtract_leftLj256ELj32ELb0EJPxS1_jEEvDpT3_.num_vgpr, 80
	.set _Z6kernelI13subtract_leftLj256ELj32ELb0EJPxS1_jEEvDpT3_.num_agpr, 0
	.set _Z6kernelI13subtract_leftLj256ELj32ELb0EJPxS1_jEEvDpT3_.numbered_sgpr, 9
	.set _Z6kernelI13subtract_leftLj256ELj32ELb0EJPxS1_jEEvDpT3_.num_named_barrier, 0
	.set _Z6kernelI13subtract_leftLj256ELj32ELb0EJPxS1_jEEvDpT3_.private_seg_size, 0
	.set _Z6kernelI13subtract_leftLj256ELj32ELb0EJPxS1_jEEvDpT3_.uses_vcc, 1
	.set _Z6kernelI13subtract_leftLj256ELj32ELb0EJPxS1_jEEvDpT3_.uses_flat_scratch, 0
	.set _Z6kernelI13subtract_leftLj256ELj32ELb0EJPxS1_jEEvDpT3_.has_dyn_sized_stack, 0
	.set _Z6kernelI13subtract_leftLj256ELj32ELb0EJPxS1_jEEvDpT3_.has_recursion, 0
	.set _Z6kernelI13subtract_leftLj256ELj32ELb0EJPxS1_jEEvDpT3_.has_indirect_call, 0
	.section	.AMDGPU.csdata,"",@progbits
; Kernel info:
; codeLenInByte = 1360
; TotalNumSgprs: 11
; NumVgprs: 80
; ScratchSize: 0
; MemoryBound: 0
; FloatMode: 240
; IeeeMode: 1
; LDSByteSize: 4096 bytes/workgroup (compile time only)
; SGPRBlocks: 0
; VGPRBlocks: 4
; NumSGPRsForWavesPerEU: 11
; NumVGPRsForWavesPerEU: 80
; NamedBarCnt: 0
; Occupancy: 12
; WaveLimiterHint : 1
; COMPUTE_PGM_RSRC2:SCRATCH_EN: 0
; COMPUTE_PGM_RSRC2:USER_SGPR: 2
; COMPUTE_PGM_RSRC2:TRAP_HANDLER: 0
; COMPUTE_PGM_RSRC2:TGID_X_EN: 1
; COMPUTE_PGM_RSRC2:TGID_Y_EN: 0
; COMPUTE_PGM_RSRC2:TGID_Z_EN: 0
; COMPUTE_PGM_RSRC2:TIDIG_COMP_CNT: 0
	.section	.text._Z6kernelI13subtract_leftLj256ELj1ELb0EJPdS1_jEEvDpT3_,"axG",@progbits,_Z6kernelI13subtract_leftLj256ELj1ELb0EJPdS1_jEEvDpT3_,comdat
	.protected	_Z6kernelI13subtract_leftLj256ELj1ELb0EJPdS1_jEEvDpT3_ ; -- Begin function _Z6kernelI13subtract_leftLj256ELj1ELb0EJPdS1_jEEvDpT3_
	.globl	_Z6kernelI13subtract_leftLj256ELj1ELb0EJPdS1_jEEvDpT3_
	.p2align	8
	.type	_Z6kernelI13subtract_leftLj256ELj1ELb0EJPdS1_jEEvDpT3_,@function
_Z6kernelI13subtract_leftLj256ELj1ELb0EJPdS1_jEEvDpT3_: ; @_Z6kernelI13subtract_leftLj256ELj1ELb0EJPdS1_jEEvDpT3_
; %bb.0:
	s_load_b128 s[4:7], s[0:1], 0x0
	s_bfe_u32 s2, ttmp6, 0x4000c
	s_and_b32 s3, ttmp6, 15
	s_add_co_i32 s2, s2, 1
	s_getreg_b32 s8, hwreg(HW_REG_IB_STS2, 6, 4)
	s_mul_i32 s2, ttmp9, s2
	s_wait_xcnt 0x0
	s_load_b32 s0, s[0:1], 0x10
	s_add_co_i32 s3, s3, s2
	s_cmp_eq_u32 s8, 0
	s_cselect_b32 s2, ttmp9, s3
	s_mov_b32 s3, 0
	s_lshl_b32 s2, s2, 8
	s_delay_alu instid0(SALU_CYCLE_1)
	s_lshl_b64 s[2:3], s[2:3], 3
	s_wait_kmcnt 0x0
	s_add_nc_u64 s[4:5], s[4:5], s[2:3]
	global_load_b64 v[2:3], v0, s[4:5] scale_offset
	s_cmp_eq_u32 s0, 0
	s_cbranch_scc1 .LBB24_5
; %bb.1:
	v_lshlrev_b32_e32 v1, 3, v0
	v_cmp_ne_u32_e32 vcc_lo, 0, v0
	s_delay_alu instid0(VALU_DEP_2)
	v_add_nc_u32_e32 v6, -8, v1
	s_branch .LBB24_3
.LBB24_2:                               ;   in Loop: Header=BB24_3 Depth=1
	s_or_b32 exec_lo, exec_lo, s1
	s_delay_alu instid0(VALU_DEP_1) | instskip(SKIP_1) | instid1(SALU_CYCLE_1)
	v_add_f64_e32 v[2:3], v[2:3], v[4:5]
	s_add_co_i32 s0, s0, -1
	s_cmp_lg_u32 s0, 0
	s_barrier_signal -1
	s_barrier_wait -1
	s_cbranch_scc0 .LBB24_5
.LBB24_3:                               ; =>This Inner Loop Header: Depth=1
	s_wait_loadcnt 0x0
	s_delay_alu instid0(VALU_DEP_1)
	v_mov_b64_e32 v[4:5], v[2:3]
	ds_store_b64 v1, v[2:3]
	s_wait_dscnt 0x0
	s_barrier_signal -1
	s_barrier_wait -1
	s_and_saveexec_b32 s1, vcc_lo
	s_cbranch_execz .LBB24_2
; %bb.4:                                ;   in Loop: Header=BB24_3 Depth=1
	ds_load_b64 v[4:5], v6
	s_wait_dscnt 0x0
	v_add_f64_e64 v[4:5], v[2:3], -v[4:5]
	s_branch .LBB24_2
.LBB24_5:
	s_add_nc_u64 s[0:1], s[6:7], s[2:3]
	s_wait_loadcnt 0x0
	global_store_b64 v0, v[2:3], s[0:1] scale_offset
	s_endpgm
	.section	.rodata,"a",@progbits
	.p2align	6, 0x0
	.amdhsa_kernel _Z6kernelI13subtract_leftLj256ELj1ELb0EJPdS1_jEEvDpT3_
		.amdhsa_group_segment_fixed_size 4096
		.amdhsa_private_segment_fixed_size 0
		.amdhsa_kernarg_size 20
		.amdhsa_user_sgpr_count 2
		.amdhsa_user_sgpr_dispatch_ptr 0
		.amdhsa_user_sgpr_queue_ptr 0
		.amdhsa_user_sgpr_kernarg_segment_ptr 1
		.amdhsa_user_sgpr_dispatch_id 0
		.amdhsa_user_sgpr_kernarg_preload_length 0
		.amdhsa_user_sgpr_kernarg_preload_offset 0
		.amdhsa_user_sgpr_private_segment_size 0
		.amdhsa_wavefront_size32 1
		.amdhsa_uses_dynamic_stack 0
		.amdhsa_enable_private_segment 0
		.amdhsa_system_sgpr_workgroup_id_x 1
		.amdhsa_system_sgpr_workgroup_id_y 0
		.amdhsa_system_sgpr_workgroup_id_z 0
		.amdhsa_system_sgpr_workgroup_info 0
		.amdhsa_system_vgpr_workitem_id 0
		.amdhsa_next_free_vgpr 7
		.amdhsa_next_free_sgpr 9
		.amdhsa_named_barrier_count 0
		.amdhsa_reserve_vcc 1
		.amdhsa_float_round_mode_32 0
		.amdhsa_float_round_mode_16_64 0
		.amdhsa_float_denorm_mode_32 3
		.amdhsa_float_denorm_mode_16_64 3
		.amdhsa_fp16_overflow 0
		.amdhsa_memory_ordered 1
		.amdhsa_forward_progress 1
		.amdhsa_inst_pref_size 2
		.amdhsa_round_robin_scheduling 0
		.amdhsa_exception_fp_ieee_invalid_op 0
		.amdhsa_exception_fp_denorm_src 0
		.amdhsa_exception_fp_ieee_div_zero 0
		.amdhsa_exception_fp_ieee_overflow 0
		.amdhsa_exception_fp_ieee_underflow 0
		.amdhsa_exception_fp_ieee_inexact 0
		.amdhsa_exception_int_div_zero 0
	.end_amdhsa_kernel
	.section	.text._Z6kernelI13subtract_leftLj256ELj1ELb0EJPdS1_jEEvDpT3_,"axG",@progbits,_Z6kernelI13subtract_leftLj256ELj1ELb0EJPdS1_jEEvDpT3_,comdat
.Lfunc_end24:
	.size	_Z6kernelI13subtract_leftLj256ELj1ELb0EJPdS1_jEEvDpT3_, .Lfunc_end24-_Z6kernelI13subtract_leftLj256ELj1ELb0EJPdS1_jEEvDpT3_
                                        ; -- End function
	.set _Z6kernelI13subtract_leftLj256ELj1ELb0EJPdS1_jEEvDpT3_.num_vgpr, 7
	.set _Z6kernelI13subtract_leftLj256ELj1ELb0EJPdS1_jEEvDpT3_.num_agpr, 0
	.set _Z6kernelI13subtract_leftLj256ELj1ELb0EJPdS1_jEEvDpT3_.numbered_sgpr, 9
	.set _Z6kernelI13subtract_leftLj256ELj1ELb0EJPdS1_jEEvDpT3_.num_named_barrier, 0
	.set _Z6kernelI13subtract_leftLj256ELj1ELb0EJPdS1_jEEvDpT3_.private_seg_size, 0
	.set _Z6kernelI13subtract_leftLj256ELj1ELb0EJPdS1_jEEvDpT3_.uses_vcc, 1
	.set _Z6kernelI13subtract_leftLj256ELj1ELb0EJPdS1_jEEvDpT3_.uses_flat_scratch, 0
	.set _Z6kernelI13subtract_leftLj256ELj1ELb0EJPdS1_jEEvDpT3_.has_dyn_sized_stack, 0
	.set _Z6kernelI13subtract_leftLj256ELj1ELb0EJPdS1_jEEvDpT3_.has_recursion, 0
	.set _Z6kernelI13subtract_leftLj256ELj1ELb0EJPdS1_jEEvDpT3_.has_indirect_call, 0
	.section	.AMDGPU.csdata,"",@progbits
; Kernel info:
; codeLenInByte = 240
; TotalNumSgprs: 11
; NumVgprs: 7
; ScratchSize: 0
; MemoryBound: 0
; FloatMode: 240
; IeeeMode: 1
; LDSByteSize: 4096 bytes/workgroup (compile time only)
; SGPRBlocks: 0
; VGPRBlocks: 0
; NumSGPRsForWavesPerEU: 11
; NumVGPRsForWavesPerEU: 7
; NamedBarCnt: 0
; Occupancy: 16
; WaveLimiterHint : 0
; COMPUTE_PGM_RSRC2:SCRATCH_EN: 0
; COMPUTE_PGM_RSRC2:USER_SGPR: 2
; COMPUTE_PGM_RSRC2:TRAP_HANDLER: 0
; COMPUTE_PGM_RSRC2:TGID_X_EN: 1
; COMPUTE_PGM_RSRC2:TGID_Y_EN: 0
; COMPUTE_PGM_RSRC2:TGID_Z_EN: 0
; COMPUTE_PGM_RSRC2:TIDIG_COMP_CNT: 0
	.section	.text._Z6kernelI13subtract_leftLj256ELj3ELb0EJPdS1_jEEvDpT3_,"axG",@progbits,_Z6kernelI13subtract_leftLj256ELj3ELb0EJPdS1_jEEvDpT3_,comdat
	.protected	_Z6kernelI13subtract_leftLj256ELj3ELb0EJPdS1_jEEvDpT3_ ; -- Begin function _Z6kernelI13subtract_leftLj256ELj3ELb0EJPdS1_jEEvDpT3_
	.globl	_Z6kernelI13subtract_leftLj256ELj3ELb0EJPdS1_jEEvDpT3_
	.p2align	8
	.type	_Z6kernelI13subtract_leftLj256ELj3ELb0EJPdS1_jEEvDpT3_,@function
_Z6kernelI13subtract_leftLj256ELj3ELb0EJPdS1_jEEvDpT3_: ; @_Z6kernelI13subtract_leftLj256ELj3ELb0EJPdS1_jEEvDpT3_
; %bb.0:
	s_load_b128 s[4:7], s[0:1], 0x0
	s_bfe_u32 s2, ttmp6, 0x4000c
	s_and_b32 s3, ttmp6, 15
	s_add_co_i32 s2, s2, 1
	s_getreg_b32 s8, hwreg(HW_REG_IB_STS2, 6, 4)
	s_mul_i32 s2, ttmp9, s2
	s_wait_xcnt 0x0
	s_load_b32 s0, s[0:1], 0x10
	s_add_co_i32 s3, s3, s2
	s_cmp_eq_u32 s8, 0
	s_cselect_b32 s2, ttmp9, s3
	s_mov_b32 s3, 0
	s_mulk_i32 s2, 0x300
	s_delay_alu instid0(SALU_CYCLE_1)
	s_lshl_b64 s[2:3], s[2:3], 3
	s_wait_kmcnt 0x0
	s_add_nc_u64 s[4:5], s[4:5], s[2:3]
	s_clause 0x2
	global_load_b64 v[6:7], v0, s[4:5] scale_offset
	global_load_b64 v[4:5], v0, s[4:5] offset:2048 scale_offset
	global_load_b64 v[2:3], v0, s[4:5] offset:4096 scale_offset
	s_cmp_eq_u32 s0, 0
	s_cbranch_scc1 .LBB25_5
; %bb.1:
	v_lshlrev_b32_e32 v1, 3, v0
	v_cmp_ne_u32_e32 vcc_lo, 0, v0
	s_delay_alu instid0(VALU_DEP_2)
	v_add_nc_u32_e32 v10, -8, v1
	s_branch .LBB25_3
.LBB25_2:                               ;   in Loop: Header=BB25_3 Depth=1
	s_or_b32 exec_lo, exec_lo, s1
	v_add_f64_e64 v[12:13], v[4:5], -v[6:7]
	v_add_f64_e64 v[14:15], v[2:3], -v[4:5]
	s_delay_alu instid0(VALU_DEP_3) | instskip(SKIP_1) | instid1(SALU_CYCLE_1)
	v_add_f64_e32 v[6:7], v[6:7], v[8:9]
	s_add_co_i32 s0, s0, -1
	s_cmp_lg_u32 s0, 0
	s_barrier_signal -1
	s_barrier_wait -1
	s_delay_alu instid0(VALU_DEP_3) | instskip(NEXT) | instid1(VALU_DEP_3)
	v_add_f64_e32 v[4:5], v[4:5], v[12:13]
	v_add_f64_e32 v[2:3], v[2:3], v[14:15]
	s_cbranch_scc0 .LBB25_5
.LBB25_3:                               ; =>This Inner Loop Header: Depth=1
	s_wait_loadcnt 0x2
	s_delay_alu instid0(VALU_DEP_3)
	v_mov_b64_e32 v[8:9], v[6:7]
	s_wait_loadcnt 0x0
	ds_store_b64 v1, v[2:3]
	s_wait_dscnt 0x0
	s_barrier_signal -1
	s_barrier_wait -1
	s_and_saveexec_b32 s1, vcc_lo
	s_cbranch_execz .LBB25_2
; %bb.4:                                ;   in Loop: Header=BB25_3 Depth=1
	ds_load_b64 v[8:9], v10
	s_wait_dscnt 0x0
	v_add_f64_e64 v[8:9], v[6:7], -v[8:9]
	s_branch .LBB25_2
.LBB25_5:
	s_add_nc_u64 s[0:1], s[6:7], s[2:3]
	s_wait_loadcnt 0x2
	global_store_b64 v0, v[6:7], s[0:1] scale_offset
	s_wait_loadcnt 0x1
	global_store_b64 v0, v[4:5], s[0:1] offset:2048 scale_offset
	s_wait_loadcnt 0x0
	global_store_b64 v0, v[2:3], s[0:1] offset:4096 scale_offset
	s_endpgm
	.section	.rodata,"a",@progbits
	.p2align	6, 0x0
	.amdhsa_kernel _Z6kernelI13subtract_leftLj256ELj3ELb0EJPdS1_jEEvDpT3_
		.amdhsa_group_segment_fixed_size 4096
		.amdhsa_private_segment_fixed_size 0
		.amdhsa_kernarg_size 20
		.amdhsa_user_sgpr_count 2
		.amdhsa_user_sgpr_dispatch_ptr 0
		.amdhsa_user_sgpr_queue_ptr 0
		.amdhsa_user_sgpr_kernarg_segment_ptr 1
		.amdhsa_user_sgpr_dispatch_id 0
		.amdhsa_user_sgpr_kernarg_preload_length 0
		.amdhsa_user_sgpr_kernarg_preload_offset 0
		.amdhsa_user_sgpr_private_segment_size 0
		.amdhsa_wavefront_size32 1
		.amdhsa_uses_dynamic_stack 0
		.amdhsa_enable_private_segment 0
		.amdhsa_system_sgpr_workgroup_id_x 1
		.amdhsa_system_sgpr_workgroup_id_y 0
		.amdhsa_system_sgpr_workgroup_id_z 0
		.amdhsa_system_sgpr_workgroup_info 0
		.amdhsa_system_vgpr_workitem_id 0
		.amdhsa_next_free_vgpr 16
		.amdhsa_next_free_sgpr 9
		.amdhsa_named_barrier_count 0
		.amdhsa_reserve_vcc 1
		.amdhsa_float_round_mode_32 0
		.amdhsa_float_round_mode_16_64 0
		.amdhsa_float_denorm_mode_32 3
		.amdhsa_float_denorm_mode_16_64 3
		.amdhsa_fp16_overflow 0
		.amdhsa_memory_ordered 1
		.amdhsa_forward_progress 1
		.amdhsa_inst_pref_size 3
		.amdhsa_round_robin_scheduling 0
		.amdhsa_exception_fp_ieee_invalid_op 0
		.amdhsa_exception_fp_denorm_src 0
		.amdhsa_exception_fp_ieee_div_zero 0
		.amdhsa_exception_fp_ieee_overflow 0
		.amdhsa_exception_fp_ieee_underflow 0
		.amdhsa_exception_fp_ieee_inexact 0
		.amdhsa_exception_int_div_zero 0
	.end_amdhsa_kernel
	.section	.text._Z6kernelI13subtract_leftLj256ELj3ELb0EJPdS1_jEEvDpT3_,"axG",@progbits,_Z6kernelI13subtract_leftLj256ELj3ELb0EJPdS1_jEEvDpT3_,comdat
.Lfunc_end25:
	.size	_Z6kernelI13subtract_leftLj256ELj3ELb0EJPdS1_jEEvDpT3_, .Lfunc_end25-_Z6kernelI13subtract_leftLj256ELj3ELb0EJPdS1_jEEvDpT3_
                                        ; -- End function
	.set _Z6kernelI13subtract_leftLj256ELj3ELb0EJPdS1_jEEvDpT3_.num_vgpr, 16
	.set _Z6kernelI13subtract_leftLj256ELj3ELb0EJPdS1_jEEvDpT3_.num_agpr, 0
	.set _Z6kernelI13subtract_leftLj256ELj3ELb0EJPdS1_jEEvDpT3_.numbered_sgpr, 9
	.set _Z6kernelI13subtract_leftLj256ELj3ELb0EJPdS1_jEEvDpT3_.num_named_barrier, 0
	.set _Z6kernelI13subtract_leftLj256ELj3ELb0EJPdS1_jEEvDpT3_.private_seg_size, 0
	.set _Z6kernelI13subtract_leftLj256ELj3ELb0EJPdS1_jEEvDpT3_.uses_vcc, 1
	.set _Z6kernelI13subtract_leftLj256ELj3ELb0EJPdS1_jEEvDpT3_.uses_flat_scratch, 0
	.set _Z6kernelI13subtract_leftLj256ELj3ELb0EJPdS1_jEEvDpT3_.has_dyn_sized_stack, 0
	.set _Z6kernelI13subtract_leftLj256ELj3ELb0EJPdS1_jEEvDpT3_.has_recursion, 0
	.set _Z6kernelI13subtract_leftLj256ELj3ELb0EJPdS1_jEEvDpT3_.has_indirect_call, 0
	.section	.AMDGPU.csdata,"",@progbits
; Kernel info:
; codeLenInByte = 332
; TotalNumSgprs: 11
; NumVgprs: 16
; ScratchSize: 0
; MemoryBound: 0
; FloatMode: 240
; IeeeMode: 1
; LDSByteSize: 4096 bytes/workgroup (compile time only)
; SGPRBlocks: 0
; VGPRBlocks: 0
; NumSGPRsForWavesPerEU: 11
; NumVGPRsForWavesPerEU: 16
; NamedBarCnt: 0
; Occupancy: 16
; WaveLimiterHint : 1
; COMPUTE_PGM_RSRC2:SCRATCH_EN: 0
; COMPUTE_PGM_RSRC2:USER_SGPR: 2
; COMPUTE_PGM_RSRC2:TRAP_HANDLER: 0
; COMPUTE_PGM_RSRC2:TGID_X_EN: 1
; COMPUTE_PGM_RSRC2:TGID_Y_EN: 0
; COMPUTE_PGM_RSRC2:TGID_Z_EN: 0
; COMPUTE_PGM_RSRC2:TIDIG_COMP_CNT: 0
	.section	.text._Z6kernelI13subtract_leftLj256ELj4ELb0EJPdS1_jEEvDpT3_,"axG",@progbits,_Z6kernelI13subtract_leftLj256ELj4ELb0EJPdS1_jEEvDpT3_,comdat
	.protected	_Z6kernelI13subtract_leftLj256ELj4ELb0EJPdS1_jEEvDpT3_ ; -- Begin function _Z6kernelI13subtract_leftLj256ELj4ELb0EJPdS1_jEEvDpT3_
	.globl	_Z6kernelI13subtract_leftLj256ELj4ELb0EJPdS1_jEEvDpT3_
	.p2align	8
	.type	_Z6kernelI13subtract_leftLj256ELj4ELb0EJPdS1_jEEvDpT3_,@function
_Z6kernelI13subtract_leftLj256ELj4ELb0EJPdS1_jEEvDpT3_: ; @_Z6kernelI13subtract_leftLj256ELj4ELb0EJPdS1_jEEvDpT3_
; %bb.0:
	s_load_b128 s[4:7], s[0:1], 0x0
	s_bfe_u32 s2, ttmp6, 0x4000c
	s_and_b32 s3, ttmp6, 15
	s_add_co_i32 s2, s2, 1
	s_getreg_b32 s8, hwreg(HW_REG_IB_STS2, 6, 4)
	s_mul_i32 s2, ttmp9, s2
	s_wait_xcnt 0x0
	s_load_b32 s0, s[0:1], 0x10
	s_add_co_i32 s3, s3, s2
	s_cmp_eq_u32 s8, 0
	s_cselect_b32 s2, ttmp9, s3
	s_mov_b32 s3, 0
	s_lshl_b32 s2, s2, 10
	s_delay_alu instid0(SALU_CYCLE_1)
	s_lshl_b64 s[2:3], s[2:3], 3
	s_wait_kmcnt 0x0
	s_add_nc_u64 s[4:5], s[4:5], s[2:3]
	s_clause 0x3
	global_load_b64 v[8:9], v0, s[4:5] scale_offset
	global_load_b64 v[6:7], v0, s[4:5] offset:2048 scale_offset
	global_load_b64 v[4:5], v0, s[4:5] offset:4096 scale_offset
	;; [unrolled: 1-line block ×3, first 2 shown]
	s_cmp_eq_u32 s0, 0
	s_cbranch_scc1 .LBB26_5
; %bb.1:
	v_lshlrev_b32_e32 v1, 3, v0
	v_cmp_ne_u32_e32 vcc_lo, 0, v0
	s_delay_alu instid0(VALU_DEP_2)
	v_add_nc_u32_e32 v12, -8, v1
	s_branch .LBB26_3
.LBB26_2:                               ;   in Loop: Header=BB26_3 Depth=1
	s_or_b32 exec_lo, exec_lo, s1
	v_add_f64_e64 v[14:15], v[6:7], -v[8:9]
	v_add_f64_e64 v[16:17], v[4:5], -v[6:7]
	;; [unrolled: 1-line block ×3, first 2 shown]
	s_delay_alu instid0(VALU_DEP_4) | instskip(SKIP_1) | instid1(SALU_CYCLE_1)
	v_add_f64_e32 v[8:9], v[8:9], v[10:11]
	s_add_co_i32 s0, s0, -1
	s_cmp_lg_u32 s0, 0
	s_barrier_signal -1
	s_barrier_wait -1
	s_delay_alu instid0(VALU_DEP_4) | instskip(NEXT) | instid1(VALU_DEP_4)
	v_add_f64_e32 v[6:7], v[6:7], v[14:15]
	v_add_f64_e32 v[4:5], v[4:5], v[16:17]
	s_delay_alu instid0(VALU_DEP_4)
	v_add_f64_e32 v[2:3], v[2:3], v[18:19]
	s_cbranch_scc0 .LBB26_5
.LBB26_3:                               ; =>This Inner Loop Header: Depth=1
	s_wait_loadcnt 0x3
	s_delay_alu instid0(VALU_DEP_4)
	v_mov_b64_e32 v[10:11], v[8:9]
	s_wait_loadcnt 0x0
	ds_store_b64 v1, v[2:3]
	s_wait_dscnt 0x0
	s_barrier_signal -1
	s_barrier_wait -1
	s_and_saveexec_b32 s1, vcc_lo
	s_cbranch_execz .LBB26_2
; %bb.4:                                ;   in Loop: Header=BB26_3 Depth=1
	ds_load_b64 v[10:11], v12
	s_wait_dscnt 0x0
	v_add_f64_e64 v[10:11], v[8:9], -v[10:11]
	s_branch .LBB26_2
.LBB26_5:
	s_add_nc_u64 s[0:1], s[6:7], s[2:3]
	s_wait_loadcnt 0x3
	global_store_b64 v0, v[8:9], s[0:1] scale_offset
	s_wait_loadcnt 0x2
	global_store_b64 v0, v[6:7], s[0:1] offset:2048 scale_offset
	s_wait_loadcnt 0x1
	global_store_b64 v0, v[4:5], s[0:1] offset:4096 scale_offset
	;; [unrolled: 2-line block ×3, first 2 shown]
	s_endpgm
	.section	.rodata,"a",@progbits
	.p2align	6, 0x0
	.amdhsa_kernel _Z6kernelI13subtract_leftLj256ELj4ELb0EJPdS1_jEEvDpT3_
		.amdhsa_group_segment_fixed_size 4096
		.amdhsa_private_segment_fixed_size 0
		.amdhsa_kernarg_size 20
		.amdhsa_user_sgpr_count 2
		.amdhsa_user_sgpr_dispatch_ptr 0
		.amdhsa_user_sgpr_queue_ptr 0
		.amdhsa_user_sgpr_kernarg_segment_ptr 1
		.amdhsa_user_sgpr_dispatch_id 0
		.amdhsa_user_sgpr_kernarg_preload_length 0
		.amdhsa_user_sgpr_kernarg_preload_offset 0
		.amdhsa_user_sgpr_private_segment_size 0
		.amdhsa_wavefront_size32 1
		.amdhsa_uses_dynamic_stack 0
		.amdhsa_enable_private_segment 0
		.amdhsa_system_sgpr_workgroup_id_x 1
		.amdhsa_system_sgpr_workgroup_id_y 0
		.amdhsa_system_sgpr_workgroup_id_z 0
		.amdhsa_system_sgpr_workgroup_info 0
		.amdhsa_system_vgpr_workitem_id 0
		.amdhsa_next_free_vgpr 20
		.amdhsa_next_free_sgpr 9
		.amdhsa_named_barrier_count 0
		.amdhsa_reserve_vcc 1
		.amdhsa_float_round_mode_32 0
		.amdhsa_float_round_mode_16_64 0
		.amdhsa_float_denorm_mode_32 3
		.amdhsa_float_denorm_mode_16_64 3
		.amdhsa_fp16_overflow 0
		.amdhsa_memory_ordered 1
		.amdhsa_forward_progress 1
		.amdhsa_inst_pref_size 3
		.amdhsa_round_robin_scheduling 0
		.amdhsa_exception_fp_ieee_invalid_op 0
		.amdhsa_exception_fp_denorm_src 0
		.amdhsa_exception_fp_ieee_div_zero 0
		.amdhsa_exception_fp_ieee_overflow 0
		.amdhsa_exception_fp_ieee_underflow 0
		.amdhsa_exception_fp_ieee_inexact 0
		.amdhsa_exception_int_div_zero 0
	.end_amdhsa_kernel
	.section	.text._Z6kernelI13subtract_leftLj256ELj4ELb0EJPdS1_jEEvDpT3_,"axG",@progbits,_Z6kernelI13subtract_leftLj256ELj4ELb0EJPdS1_jEEvDpT3_,comdat
.Lfunc_end26:
	.size	_Z6kernelI13subtract_leftLj256ELj4ELb0EJPdS1_jEEvDpT3_, .Lfunc_end26-_Z6kernelI13subtract_leftLj256ELj4ELb0EJPdS1_jEEvDpT3_
                                        ; -- End function
	.set _Z6kernelI13subtract_leftLj256ELj4ELb0EJPdS1_jEEvDpT3_.num_vgpr, 20
	.set _Z6kernelI13subtract_leftLj256ELj4ELb0EJPdS1_jEEvDpT3_.num_agpr, 0
	.set _Z6kernelI13subtract_leftLj256ELj4ELb0EJPdS1_jEEvDpT3_.numbered_sgpr, 9
	.set _Z6kernelI13subtract_leftLj256ELj4ELb0EJPdS1_jEEvDpT3_.num_named_barrier, 0
	.set _Z6kernelI13subtract_leftLj256ELj4ELb0EJPdS1_jEEvDpT3_.private_seg_size, 0
	.set _Z6kernelI13subtract_leftLj256ELj4ELb0EJPdS1_jEEvDpT3_.uses_vcc, 1
	.set _Z6kernelI13subtract_leftLj256ELj4ELb0EJPdS1_jEEvDpT3_.uses_flat_scratch, 0
	.set _Z6kernelI13subtract_leftLj256ELj4ELb0EJPdS1_jEEvDpT3_.has_dyn_sized_stack, 0
	.set _Z6kernelI13subtract_leftLj256ELj4ELb0EJPdS1_jEEvDpT3_.has_recursion, 0
	.set _Z6kernelI13subtract_leftLj256ELj4ELb0EJPdS1_jEEvDpT3_.has_indirect_call, 0
	.section	.AMDGPU.csdata,"",@progbits
; Kernel info:
; codeLenInByte = 376
; TotalNumSgprs: 11
; NumVgprs: 20
; ScratchSize: 0
; MemoryBound: 0
; FloatMode: 240
; IeeeMode: 1
; LDSByteSize: 4096 bytes/workgroup (compile time only)
; SGPRBlocks: 0
; VGPRBlocks: 1
; NumSGPRsForWavesPerEU: 11
; NumVGPRsForWavesPerEU: 20
; NamedBarCnt: 0
; Occupancy: 16
; WaveLimiterHint : 1
; COMPUTE_PGM_RSRC2:SCRATCH_EN: 0
; COMPUTE_PGM_RSRC2:USER_SGPR: 2
; COMPUTE_PGM_RSRC2:TRAP_HANDLER: 0
; COMPUTE_PGM_RSRC2:TGID_X_EN: 1
; COMPUTE_PGM_RSRC2:TGID_Y_EN: 0
; COMPUTE_PGM_RSRC2:TGID_Z_EN: 0
; COMPUTE_PGM_RSRC2:TIDIG_COMP_CNT: 0
	.section	.text._Z6kernelI13subtract_leftLj256ELj8ELb0EJPdS1_jEEvDpT3_,"axG",@progbits,_Z6kernelI13subtract_leftLj256ELj8ELb0EJPdS1_jEEvDpT3_,comdat
	.protected	_Z6kernelI13subtract_leftLj256ELj8ELb0EJPdS1_jEEvDpT3_ ; -- Begin function _Z6kernelI13subtract_leftLj256ELj8ELb0EJPdS1_jEEvDpT3_
	.globl	_Z6kernelI13subtract_leftLj256ELj8ELb0EJPdS1_jEEvDpT3_
	.p2align	8
	.type	_Z6kernelI13subtract_leftLj256ELj8ELb0EJPdS1_jEEvDpT3_,@function
_Z6kernelI13subtract_leftLj256ELj8ELb0EJPdS1_jEEvDpT3_: ; @_Z6kernelI13subtract_leftLj256ELj8ELb0EJPdS1_jEEvDpT3_
; %bb.0:
	s_load_b128 s[4:7], s[0:1], 0x0
	s_bfe_u32 s2, ttmp6, 0x4000c
	s_and_b32 s3, ttmp6, 15
	s_add_co_i32 s2, s2, 1
	s_getreg_b32 s8, hwreg(HW_REG_IB_STS2, 6, 4)
	s_mul_i32 s2, ttmp9, s2
	s_wait_xcnt 0x0
	s_load_b32 s0, s[0:1], 0x10
	s_add_co_i32 s3, s3, s2
	s_cmp_eq_u32 s8, 0
	s_cselect_b32 s2, ttmp9, s3
	s_mov_b32 s3, 0
	s_lshl_b32 s2, s2, 11
	s_delay_alu instid0(SALU_CYCLE_1)
	s_lshl_b64 s[2:3], s[2:3], 3
	s_wait_kmcnt 0x0
	s_add_nc_u64 s[4:5], s[4:5], s[2:3]
	s_clause 0x7
	global_load_b64 v[16:17], v0, s[4:5] scale_offset
	global_load_b64 v[14:15], v0, s[4:5] offset:2048 scale_offset
	global_load_b64 v[12:13], v0, s[4:5] offset:4096 scale_offset
	global_load_b64 v[10:11], v0, s[4:5] offset:6144 scale_offset
	global_load_b64 v[8:9], v0, s[4:5] offset:8192 scale_offset
	global_load_b64 v[6:7], v0, s[4:5] offset:10240 scale_offset
	global_load_b64 v[4:5], v0, s[4:5] offset:12288 scale_offset
	global_load_b64 v[2:3], v0, s[4:5] offset:14336 scale_offset
	s_cmp_eq_u32 s0, 0
	s_cbranch_scc1 .LBB27_5
; %bb.1:
	v_lshlrev_b32_e32 v1, 3, v0
	v_cmp_ne_u32_e32 vcc_lo, 0, v0
	s_delay_alu instid0(VALU_DEP_2)
	v_add_nc_u32_e32 v20, -8, v1
	s_branch .LBB27_3
.LBB27_2:                               ;   in Loop: Header=BB27_3 Depth=1
	s_or_b32 exec_lo, exec_lo, s1
	v_add_f64_e64 v[22:23], v[14:15], -v[16:17]
	v_add_f64_e64 v[24:25], v[12:13], -v[14:15]
	v_add_f64_e64 v[26:27], v[10:11], -v[12:13]
	v_add_f64_e64 v[28:29], v[8:9], -v[10:11]
	v_add_f64_e64 v[30:31], v[6:7], -v[8:9]
	v_add_f64_e64 v[32:33], v[4:5], -v[6:7]
	v_add_f64_e64 v[34:35], v[2:3], -v[4:5]
	v_add_f64_e32 v[16:17], v[16:17], v[18:19]
	s_add_co_i32 s0, s0, -1
	s_delay_alu instid0(SALU_CYCLE_1)
	s_cmp_lg_u32 s0, 0
	s_barrier_signal -1
	s_barrier_wait -1
	v_add_f64_e32 v[14:15], v[14:15], v[22:23]
	v_add_f64_e32 v[12:13], v[12:13], v[24:25]
	;; [unrolled: 1-line block ×7, first 2 shown]
	s_cbranch_scc0 .LBB27_5
.LBB27_3:                               ; =>This Inner Loop Header: Depth=1
	s_wait_loadcnt 0x7
	v_mov_b64_e32 v[18:19], v[16:17]
	s_wait_loadcnt 0x0
	ds_store_b64 v1, v[2:3]
	s_wait_dscnt 0x0
	s_barrier_signal -1
	s_barrier_wait -1
	s_and_saveexec_b32 s1, vcc_lo
	s_cbranch_execz .LBB27_2
; %bb.4:                                ;   in Loop: Header=BB27_3 Depth=1
	ds_load_b64 v[18:19], v20
	s_wait_dscnt 0x0
	v_add_f64_e64 v[18:19], v[16:17], -v[18:19]
	s_branch .LBB27_2
.LBB27_5:
	s_add_nc_u64 s[0:1], s[6:7], s[2:3]
	s_wait_loadcnt 0x7
	global_store_b64 v0, v[16:17], s[0:1] scale_offset
	s_wait_loadcnt 0x6
	global_store_b64 v0, v[14:15], s[0:1] offset:2048 scale_offset
	s_wait_loadcnt 0x5
	global_store_b64 v0, v[12:13], s[0:1] offset:4096 scale_offset
	s_wait_loadcnt 0x4
	global_store_b64 v0, v[10:11], s[0:1] offset:6144 scale_offset
	s_wait_loadcnt 0x3
	global_store_b64 v0, v[8:9], s[0:1] offset:8192 scale_offset
	s_wait_loadcnt 0x2
	global_store_b64 v0, v[6:7], s[0:1] offset:10240 scale_offset
	s_wait_loadcnt 0x1
	global_store_b64 v0, v[4:5], s[0:1] offset:12288 scale_offset
	s_wait_loadcnt 0x0
	global_store_b64 v0, v[2:3], s[0:1] offset:14336 scale_offset
	s_endpgm
	.section	.rodata,"a",@progbits
	.p2align	6, 0x0
	.amdhsa_kernel _Z6kernelI13subtract_leftLj256ELj8ELb0EJPdS1_jEEvDpT3_
		.amdhsa_group_segment_fixed_size 4096
		.amdhsa_private_segment_fixed_size 0
		.amdhsa_kernarg_size 20
		.amdhsa_user_sgpr_count 2
		.amdhsa_user_sgpr_dispatch_ptr 0
		.amdhsa_user_sgpr_queue_ptr 0
		.amdhsa_user_sgpr_kernarg_segment_ptr 1
		.amdhsa_user_sgpr_dispatch_id 0
		.amdhsa_user_sgpr_kernarg_preload_length 0
		.amdhsa_user_sgpr_kernarg_preload_offset 0
		.amdhsa_user_sgpr_private_segment_size 0
		.amdhsa_wavefront_size32 1
		.amdhsa_uses_dynamic_stack 0
		.amdhsa_enable_private_segment 0
		.amdhsa_system_sgpr_workgroup_id_x 1
		.amdhsa_system_sgpr_workgroup_id_y 0
		.amdhsa_system_sgpr_workgroup_id_z 0
		.amdhsa_system_sgpr_workgroup_info 0
		.amdhsa_system_vgpr_workitem_id 0
		.amdhsa_next_free_vgpr 36
		.amdhsa_next_free_sgpr 9
		.amdhsa_named_barrier_count 0
		.amdhsa_reserve_vcc 1
		.amdhsa_float_round_mode_32 0
		.amdhsa_float_round_mode_16_64 0
		.amdhsa_float_denorm_mode_32 3
		.amdhsa_float_denorm_mode_16_64 3
		.amdhsa_fp16_overflow 0
		.amdhsa_memory_ordered 1
		.amdhsa_forward_progress 1
		.amdhsa_inst_pref_size 5
		.amdhsa_round_robin_scheduling 0
		.amdhsa_exception_fp_ieee_invalid_op 0
		.amdhsa_exception_fp_denorm_src 0
		.amdhsa_exception_fp_ieee_div_zero 0
		.amdhsa_exception_fp_ieee_overflow 0
		.amdhsa_exception_fp_ieee_underflow 0
		.amdhsa_exception_fp_ieee_inexact 0
		.amdhsa_exception_int_div_zero 0
	.end_amdhsa_kernel
	.section	.text._Z6kernelI13subtract_leftLj256ELj8ELb0EJPdS1_jEEvDpT3_,"axG",@progbits,_Z6kernelI13subtract_leftLj256ELj8ELb0EJPdS1_jEEvDpT3_,comdat
.Lfunc_end27:
	.size	_Z6kernelI13subtract_leftLj256ELj8ELb0EJPdS1_jEEvDpT3_, .Lfunc_end27-_Z6kernelI13subtract_leftLj256ELj8ELb0EJPdS1_jEEvDpT3_
                                        ; -- End function
	.set _Z6kernelI13subtract_leftLj256ELj8ELb0EJPdS1_jEEvDpT3_.num_vgpr, 36
	.set _Z6kernelI13subtract_leftLj256ELj8ELb0EJPdS1_jEEvDpT3_.num_agpr, 0
	.set _Z6kernelI13subtract_leftLj256ELj8ELb0EJPdS1_jEEvDpT3_.numbered_sgpr, 9
	.set _Z6kernelI13subtract_leftLj256ELj8ELb0EJPdS1_jEEvDpT3_.num_named_barrier, 0
	.set _Z6kernelI13subtract_leftLj256ELj8ELb0EJPdS1_jEEvDpT3_.private_seg_size, 0
	.set _Z6kernelI13subtract_leftLj256ELj8ELb0EJPdS1_jEEvDpT3_.uses_vcc, 1
	.set _Z6kernelI13subtract_leftLj256ELj8ELb0EJPdS1_jEEvDpT3_.uses_flat_scratch, 0
	.set _Z6kernelI13subtract_leftLj256ELj8ELb0EJPdS1_jEEvDpT3_.has_dyn_sized_stack, 0
	.set _Z6kernelI13subtract_leftLj256ELj8ELb0EJPdS1_jEEvDpT3_.has_recursion, 0
	.set _Z6kernelI13subtract_leftLj256ELj8ELb0EJPdS1_jEEvDpT3_.has_indirect_call, 0
	.section	.AMDGPU.csdata,"",@progbits
; Kernel info:
; codeLenInByte = 524
; TotalNumSgprs: 11
; NumVgprs: 36
; ScratchSize: 0
; MemoryBound: 0
; FloatMode: 240
; IeeeMode: 1
; LDSByteSize: 4096 bytes/workgroup (compile time only)
; SGPRBlocks: 0
; VGPRBlocks: 2
; NumSGPRsForWavesPerEU: 11
; NumVGPRsForWavesPerEU: 36
; NamedBarCnt: 0
; Occupancy: 16
; WaveLimiterHint : 1
; COMPUTE_PGM_RSRC2:SCRATCH_EN: 0
; COMPUTE_PGM_RSRC2:USER_SGPR: 2
; COMPUTE_PGM_RSRC2:TRAP_HANDLER: 0
; COMPUTE_PGM_RSRC2:TGID_X_EN: 1
; COMPUTE_PGM_RSRC2:TGID_Y_EN: 0
; COMPUTE_PGM_RSRC2:TGID_Z_EN: 0
; COMPUTE_PGM_RSRC2:TIDIG_COMP_CNT: 0
	.section	.text._Z6kernelI13subtract_leftLj256ELj16ELb0EJPdS1_jEEvDpT3_,"axG",@progbits,_Z6kernelI13subtract_leftLj256ELj16ELb0EJPdS1_jEEvDpT3_,comdat
	.protected	_Z6kernelI13subtract_leftLj256ELj16ELb0EJPdS1_jEEvDpT3_ ; -- Begin function _Z6kernelI13subtract_leftLj256ELj16ELb0EJPdS1_jEEvDpT3_
	.globl	_Z6kernelI13subtract_leftLj256ELj16ELb0EJPdS1_jEEvDpT3_
	.p2align	8
	.type	_Z6kernelI13subtract_leftLj256ELj16ELb0EJPdS1_jEEvDpT3_,@function
_Z6kernelI13subtract_leftLj256ELj16ELb0EJPdS1_jEEvDpT3_: ; @_Z6kernelI13subtract_leftLj256ELj16ELb0EJPdS1_jEEvDpT3_
; %bb.0:
	s_load_b128 s[4:7], s[0:1], 0x0
	s_bfe_u32 s2, ttmp6, 0x4000c
	s_and_b32 s3, ttmp6, 15
	s_add_co_i32 s2, s2, 1
	s_getreg_b32 s8, hwreg(HW_REG_IB_STS2, 6, 4)
	s_mul_i32 s2, ttmp9, s2
	s_wait_xcnt 0x0
	s_load_b32 s0, s[0:1], 0x10
	s_add_co_i32 s3, s3, s2
	s_cmp_eq_u32 s8, 0
	s_cselect_b32 s2, ttmp9, s3
	s_mov_b32 s3, 0
	s_lshl_b32 s2, s2, 12
	s_delay_alu instid0(SALU_CYCLE_1)
	s_lshl_b64 s[2:3], s[2:3], 3
	s_wait_kmcnt 0x0
	s_add_nc_u64 s[4:5], s[4:5], s[2:3]
	s_clause 0xf
	global_load_b64 v[32:33], v0, s[4:5] scale_offset
	global_load_b64 v[30:31], v0, s[4:5] offset:2048 scale_offset
	global_load_b64 v[28:29], v0, s[4:5] offset:4096 scale_offset
	global_load_b64 v[26:27], v0, s[4:5] offset:6144 scale_offset
	global_load_b64 v[24:25], v0, s[4:5] offset:8192 scale_offset
	global_load_b64 v[22:23], v0, s[4:5] offset:10240 scale_offset
	global_load_b64 v[20:21], v0, s[4:5] offset:12288 scale_offset
	global_load_b64 v[18:19], v0, s[4:5] offset:14336 scale_offset
	global_load_b64 v[16:17], v0, s[4:5] offset:16384 scale_offset
	global_load_b64 v[14:15], v0, s[4:5] offset:18432 scale_offset
	global_load_b64 v[12:13], v0, s[4:5] offset:20480 scale_offset
	global_load_b64 v[10:11], v0, s[4:5] offset:22528 scale_offset
	global_load_b64 v[8:9], v0, s[4:5] offset:24576 scale_offset
	global_load_b64 v[6:7], v0, s[4:5] offset:26624 scale_offset
	global_load_b64 v[4:5], v0, s[4:5] offset:28672 scale_offset
	global_load_b64 v[2:3], v0, s[4:5] offset:30720 scale_offset
	s_cmp_eq_u32 s0, 0
	s_cbranch_scc1 .LBB28_5
; %bb.1:
	v_lshlrev_b32_e32 v1, 3, v0
	v_cmp_ne_u32_e32 vcc_lo, 0, v0
	s_delay_alu instid0(VALU_DEP_2)
	v_add_nc_u32_e32 v36, -8, v1
	s_branch .LBB28_3
.LBB28_2:                               ;   in Loop: Header=BB28_3 Depth=1
	s_or_b32 exec_lo, exec_lo, s1
	v_add_f64_e64 v[38:39], v[30:31], -v[32:33]
	v_add_f64_e64 v[40:41], v[4:5], -v[6:7]
	;; [unrolled: 1-line block ×13, first 2 shown]
	v_add_f64_e32 v[32:33], v[32:33], v[34:35]
	v_add_f64_e64 v[34:35], v[6:7], -v[8:9]
	s_add_co_i32 s0, s0, -1
	s_delay_alu instid0(SALU_CYCLE_1)
	s_cmp_lg_u32 s0, 0
	s_barrier_signal -1
	s_barrier_wait -1
	v_add_f64_e32 v[30:31], v[30:31], v[38:39]
	v_add_f64_e64 v[38:39], v[2:3], -v[4:5]
	v_add_f64_e32 v[8:9], v[8:9], v[42:43]
	v_add_f64_e32 v[28:29], v[28:29], v[44:45]
	;; [unrolled: 1-line block ×14, first 2 shown]
	s_cbranch_scc0 .LBB28_5
.LBB28_3:                               ; =>This Inner Loop Header: Depth=1
	s_wait_loadcnt 0xf
	v_mov_b64_e32 v[34:35], v[32:33]
	s_wait_loadcnt 0x0
	ds_store_b64 v1, v[2:3]
	s_wait_dscnt 0x0
	s_barrier_signal -1
	s_barrier_wait -1
	s_and_saveexec_b32 s1, vcc_lo
	s_cbranch_execz .LBB28_2
; %bb.4:                                ;   in Loop: Header=BB28_3 Depth=1
	ds_load_b64 v[34:35], v36
	s_wait_dscnt 0x0
	v_add_f64_e64 v[34:35], v[32:33], -v[34:35]
	s_branch .LBB28_2
.LBB28_5:
	s_add_nc_u64 s[0:1], s[6:7], s[2:3]
	s_wait_loadcnt 0xf
	global_store_b64 v0, v[32:33], s[0:1] scale_offset
	s_wait_loadcnt 0xe
	global_store_b64 v0, v[30:31], s[0:1] offset:2048 scale_offset
	s_wait_loadcnt 0xd
	global_store_b64 v0, v[28:29], s[0:1] offset:4096 scale_offset
	;; [unrolled: 2-line block ×15, first 2 shown]
	s_endpgm
	.section	.rodata,"a",@progbits
	.p2align	6, 0x0
	.amdhsa_kernel _Z6kernelI13subtract_leftLj256ELj16ELb0EJPdS1_jEEvDpT3_
		.amdhsa_group_segment_fixed_size 4096
		.amdhsa_private_segment_fixed_size 0
		.amdhsa_kernarg_size 20
		.amdhsa_user_sgpr_count 2
		.amdhsa_user_sgpr_dispatch_ptr 0
		.amdhsa_user_sgpr_queue_ptr 0
		.amdhsa_user_sgpr_kernarg_segment_ptr 1
		.amdhsa_user_sgpr_dispatch_id 0
		.amdhsa_user_sgpr_kernarg_preload_length 0
		.amdhsa_user_sgpr_kernarg_preload_offset 0
		.amdhsa_user_sgpr_private_segment_size 0
		.amdhsa_wavefront_size32 1
		.amdhsa_uses_dynamic_stack 0
		.amdhsa_enable_private_segment 0
		.amdhsa_system_sgpr_workgroup_id_x 1
		.amdhsa_system_sgpr_workgroup_id_y 0
		.amdhsa_system_sgpr_workgroup_id_z 0
		.amdhsa_system_sgpr_workgroup_info 0
		.amdhsa_system_vgpr_workitem_id 0
		.amdhsa_next_free_vgpr 64
		.amdhsa_next_free_sgpr 9
		.amdhsa_named_barrier_count 0
		.amdhsa_reserve_vcc 1
		.amdhsa_float_round_mode_32 0
		.amdhsa_float_round_mode_16_64 0
		.amdhsa_float_denorm_mode_32 3
		.amdhsa_float_denorm_mode_16_64 3
		.amdhsa_fp16_overflow 0
		.amdhsa_memory_ordered 1
		.amdhsa_forward_progress 1
		.amdhsa_inst_pref_size 7
		.amdhsa_round_robin_scheduling 0
		.amdhsa_exception_fp_ieee_invalid_op 0
		.amdhsa_exception_fp_denorm_src 0
		.amdhsa_exception_fp_ieee_div_zero 0
		.amdhsa_exception_fp_ieee_overflow 0
		.amdhsa_exception_fp_ieee_underflow 0
		.amdhsa_exception_fp_ieee_inexact 0
		.amdhsa_exception_int_div_zero 0
	.end_amdhsa_kernel
	.section	.text._Z6kernelI13subtract_leftLj256ELj16ELb0EJPdS1_jEEvDpT3_,"axG",@progbits,_Z6kernelI13subtract_leftLj256ELj16ELb0EJPdS1_jEEvDpT3_,comdat
.Lfunc_end28:
	.size	_Z6kernelI13subtract_leftLj256ELj16ELb0EJPdS1_jEEvDpT3_, .Lfunc_end28-_Z6kernelI13subtract_leftLj256ELj16ELb0EJPdS1_jEEvDpT3_
                                        ; -- End function
	.set _Z6kernelI13subtract_leftLj256ELj16ELb0EJPdS1_jEEvDpT3_.num_vgpr, 64
	.set _Z6kernelI13subtract_leftLj256ELj16ELb0EJPdS1_jEEvDpT3_.num_agpr, 0
	.set _Z6kernelI13subtract_leftLj256ELj16ELb0EJPdS1_jEEvDpT3_.numbered_sgpr, 9
	.set _Z6kernelI13subtract_leftLj256ELj16ELb0EJPdS1_jEEvDpT3_.num_named_barrier, 0
	.set _Z6kernelI13subtract_leftLj256ELj16ELb0EJPdS1_jEEvDpT3_.private_seg_size, 0
	.set _Z6kernelI13subtract_leftLj256ELj16ELb0EJPdS1_jEEvDpT3_.uses_vcc, 1
	.set _Z6kernelI13subtract_leftLj256ELj16ELb0EJPdS1_jEEvDpT3_.uses_flat_scratch, 0
	.set _Z6kernelI13subtract_leftLj256ELj16ELb0EJPdS1_jEEvDpT3_.has_dyn_sized_stack, 0
	.set _Z6kernelI13subtract_leftLj256ELj16ELb0EJPdS1_jEEvDpT3_.has_recursion, 0
	.set _Z6kernelI13subtract_leftLj256ELj16ELb0EJPdS1_jEEvDpT3_.has_indirect_call, 0
	.section	.AMDGPU.csdata,"",@progbits
; Kernel info:
; codeLenInByte = 844
; TotalNumSgprs: 11
; NumVgprs: 64
; ScratchSize: 0
; MemoryBound: 0
; FloatMode: 240
; IeeeMode: 1
; LDSByteSize: 4096 bytes/workgroup (compile time only)
; SGPRBlocks: 0
; VGPRBlocks: 3
; NumSGPRsForWavesPerEU: 11
; NumVGPRsForWavesPerEU: 64
; NamedBarCnt: 0
; Occupancy: 16
; WaveLimiterHint : 1
; COMPUTE_PGM_RSRC2:SCRATCH_EN: 0
; COMPUTE_PGM_RSRC2:USER_SGPR: 2
; COMPUTE_PGM_RSRC2:TRAP_HANDLER: 0
; COMPUTE_PGM_RSRC2:TGID_X_EN: 1
; COMPUTE_PGM_RSRC2:TGID_Y_EN: 0
; COMPUTE_PGM_RSRC2:TGID_Z_EN: 0
; COMPUTE_PGM_RSRC2:TIDIG_COMP_CNT: 0
	.section	.text._Z6kernelI13subtract_leftLj256ELj32ELb0EJPdS1_jEEvDpT3_,"axG",@progbits,_Z6kernelI13subtract_leftLj256ELj32ELb0EJPdS1_jEEvDpT3_,comdat
	.protected	_Z6kernelI13subtract_leftLj256ELj32ELb0EJPdS1_jEEvDpT3_ ; -- Begin function _Z6kernelI13subtract_leftLj256ELj32ELb0EJPdS1_jEEvDpT3_
	.globl	_Z6kernelI13subtract_leftLj256ELj32ELb0EJPdS1_jEEvDpT3_
	.p2align	8
	.type	_Z6kernelI13subtract_leftLj256ELj32ELb0EJPdS1_jEEvDpT3_,@function
_Z6kernelI13subtract_leftLj256ELj32ELb0EJPdS1_jEEvDpT3_: ; @_Z6kernelI13subtract_leftLj256ELj32ELb0EJPdS1_jEEvDpT3_
; %bb.0:
	s_load_b128 s[4:7], s[0:1], 0x0
	s_bfe_u32 s2, ttmp6, 0x4000c
	s_and_b32 s3, ttmp6, 15
	s_add_co_i32 s2, s2, 1
	s_getreg_b32 s8, hwreg(HW_REG_IB_STS2, 6, 4)
	s_mul_i32 s2, ttmp9, s2
	s_wait_xcnt 0x0
	s_load_b32 s0, s[0:1], 0x10
	s_add_co_i32 s3, s3, s2
	s_cmp_eq_u32 s8, 0
	s_cselect_b32 s2, ttmp9, s3
	s_mov_b32 s3, 0
	s_lshl_b32 s2, s2, 13
	s_delay_alu instid0(SALU_CYCLE_1)
	s_lshl_b64 s[2:3], s[2:3], 3
	s_wait_kmcnt 0x0
	s_add_nc_u64 s[4:5], s[4:5], s[2:3]
	s_clause 0x1f
	global_load_b64 v[52:53], v0, s[4:5] scale_offset
	global_load_b64 v[50:51], v0, s[4:5] offset:2048 scale_offset
	global_load_b64 v[48:49], v0, s[4:5] offset:4096 scale_offset
	;; [unrolled: 1-line block ×31, first 2 shown]
	s_cmp_eq_u32 s0, 0
	s_cbranch_scc1 .LBB29_5
; %bb.1:
	v_lshlrev_b32_e32 v1, 3, v0
	v_cmp_ne_u32_e32 vcc_lo, 0, v0
	s_delay_alu instid0(VALU_DEP_2)
	v_add_nc_u32_e32 v68, -8, v1
	s_branch .LBB29_3
.LBB29_2:                               ;   in Loop: Header=BB29_3 Depth=1
	s_or_b32 exec_lo, exec_lo, s1
	v_add_f64_e64 v[70:71], v[50:51], -v[52:53]
	v_add_f64_e64 v[72:73], v[48:49], -v[50:51]
	;; [unrolled: 1-line block ×5, first 2 shown]
	v_add_f64_e32 v[52:53], v[52:53], v[66:67]
	v_add_f64_e64 v[66:67], v[40:41], -v[42:43]
	s_add_co_i32 s0, s0, -1
	s_delay_alu instid0(SALU_CYCLE_1)
	s_cmp_lg_u32 s0, 0
	s_barrier_signal -1
	s_barrier_wait -1
	v_add_f64_e32 v[50:51], v[50:51], v[70:71]
	v_add_f64_e64 v[70:71], v[38:39], -v[40:41]
	v_add_f64_e32 v[48:49], v[48:49], v[72:73]
	v_add_f64_e64 v[72:73], v[36:37], -v[38:39]
	;; [unrolled: 2-line block ×25, first 2 shown]
	v_add_f64_e32 v[56:57], v[56:57], v[72:73]
	v_add_f64_e32 v[60:61], v[60:61], v[74:75]
	;; [unrolled: 1-line block ×6, first 2 shown]
	s_cbranch_scc0 .LBB29_5
.LBB29_3:                               ; =>This Inner Loop Header: Depth=1
	s_wait_loadcnt 0x1f
	v_mov_b64_e32 v[66:67], v[52:53]
	s_wait_loadcnt 0x0
	ds_store_b64 v1, v[54:55]
	s_wait_dscnt 0x0
	s_barrier_signal -1
	s_barrier_wait -1
	s_and_saveexec_b32 s1, vcc_lo
	s_cbranch_execz .LBB29_2
; %bb.4:                                ;   in Loop: Header=BB29_3 Depth=1
	ds_load_b64 v[66:67], v68
	s_wait_dscnt 0x0
	v_add_f64_e64 v[66:67], v[52:53], -v[66:67]
	s_branch .LBB29_2
.LBB29_5:
	s_add_nc_u64 s[0:1], s[6:7], s[2:3]
	s_wait_loadcnt 0x1f
	global_store_b64 v0, v[52:53], s[0:1] scale_offset
	s_wait_loadcnt 0x1e
	global_store_b64 v0, v[50:51], s[0:1] offset:2048 scale_offset
	s_wait_loadcnt 0x1d
	global_store_b64 v0, v[48:49], s[0:1] offset:4096 scale_offset
	;; [unrolled: 2-line block ×31, first 2 shown]
	s_sendmsg sendmsg(MSG_DEALLOC_VGPRS)
	s_endpgm
	.section	.rodata,"a",@progbits
	.p2align	6, 0x0
	.amdhsa_kernel _Z6kernelI13subtract_leftLj256ELj32ELb0EJPdS1_jEEvDpT3_
		.amdhsa_group_segment_fixed_size 4096
		.amdhsa_private_segment_fixed_size 0
		.amdhsa_kernarg_size 20
		.amdhsa_user_sgpr_count 2
		.amdhsa_user_sgpr_dispatch_ptr 0
		.amdhsa_user_sgpr_queue_ptr 0
		.amdhsa_user_sgpr_kernarg_segment_ptr 1
		.amdhsa_user_sgpr_dispatch_id 0
		.amdhsa_user_sgpr_kernarg_preload_length 0
		.amdhsa_user_sgpr_kernarg_preload_offset 0
		.amdhsa_user_sgpr_private_segment_size 0
		.amdhsa_wavefront_size32 1
		.amdhsa_uses_dynamic_stack 0
		.amdhsa_enable_private_segment 0
		.amdhsa_system_sgpr_workgroup_id_x 1
		.amdhsa_system_sgpr_workgroup_id_y 0
		.amdhsa_system_sgpr_workgroup_id_z 0
		.amdhsa_system_sgpr_workgroup_info 0
		.amdhsa_system_vgpr_workitem_id 0
		.amdhsa_next_free_vgpr 80
		.amdhsa_next_free_sgpr 9
		.amdhsa_named_barrier_count 0
		.amdhsa_reserve_vcc 1
		.amdhsa_float_round_mode_32 0
		.amdhsa_float_round_mode_16_64 0
		.amdhsa_float_denorm_mode_32 3
		.amdhsa_float_denorm_mode_16_64 3
		.amdhsa_fp16_overflow 0
		.amdhsa_memory_ordered 1
		.amdhsa_forward_progress 1
		.amdhsa_inst_pref_size 12
		.amdhsa_round_robin_scheduling 0
		.amdhsa_exception_fp_ieee_invalid_op 0
		.amdhsa_exception_fp_denorm_src 0
		.amdhsa_exception_fp_ieee_div_zero 0
		.amdhsa_exception_fp_ieee_overflow 0
		.amdhsa_exception_fp_ieee_underflow 0
		.amdhsa_exception_fp_ieee_inexact 0
		.amdhsa_exception_int_div_zero 0
	.end_amdhsa_kernel
	.section	.text._Z6kernelI13subtract_leftLj256ELj32ELb0EJPdS1_jEEvDpT3_,"axG",@progbits,_Z6kernelI13subtract_leftLj256ELj32ELb0EJPdS1_jEEvDpT3_,comdat
.Lfunc_end29:
	.size	_Z6kernelI13subtract_leftLj256ELj32ELb0EJPdS1_jEEvDpT3_, .Lfunc_end29-_Z6kernelI13subtract_leftLj256ELj32ELb0EJPdS1_jEEvDpT3_
                                        ; -- End function
	.set _Z6kernelI13subtract_leftLj256ELj32ELb0EJPdS1_jEEvDpT3_.num_vgpr, 80
	.set _Z6kernelI13subtract_leftLj256ELj32ELb0EJPdS1_jEEvDpT3_.num_agpr, 0
	.set _Z6kernelI13subtract_leftLj256ELj32ELb0EJPdS1_jEEvDpT3_.numbered_sgpr, 9
	.set _Z6kernelI13subtract_leftLj256ELj32ELb0EJPdS1_jEEvDpT3_.num_named_barrier, 0
	.set _Z6kernelI13subtract_leftLj256ELj32ELb0EJPdS1_jEEvDpT3_.private_seg_size, 0
	.set _Z6kernelI13subtract_leftLj256ELj32ELb0EJPdS1_jEEvDpT3_.uses_vcc, 1
	.set _Z6kernelI13subtract_leftLj256ELj32ELb0EJPdS1_jEEvDpT3_.uses_flat_scratch, 0
	.set _Z6kernelI13subtract_leftLj256ELj32ELb0EJPdS1_jEEvDpT3_.has_dyn_sized_stack, 0
	.set _Z6kernelI13subtract_leftLj256ELj32ELb0EJPdS1_jEEvDpT3_.has_recursion, 0
	.set _Z6kernelI13subtract_leftLj256ELj32ELb0EJPdS1_jEEvDpT3_.has_indirect_call, 0
	.section	.AMDGPU.csdata,"",@progbits
; Kernel info:
; codeLenInByte = 1488
; TotalNumSgprs: 11
; NumVgprs: 80
; ScratchSize: 0
; MemoryBound: 0
; FloatMode: 240
; IeeeMode: 1
; LDSByteSize: 4096 bytes/workgroup (compile time only)
; SGPRBlocks: 0
; VGPRBlocks: 4
; NumSGPRsForWavesPerEU: 11
; NumVGPRsForWavesPerEU: 80
; NamedBarCnt: 0
; Occupancy: 12
; WaveLimiterHint : 1
; COMPUTE_PGM_RSRC2:SCRATCH_EN: 0
; COMPUTE_PGM_RSRC2:USER_SGPR: 2
; COMPUTE_PGM_RSRC2:TRAP_HANDLER: 0
; COMPUTE_PGM_RSRC2:TGID_X_EN: 1
; COMPUTE_PGM_RSRC2:TGID_Y_EN: 0
; COMPUTE_PGM_RSRC2:TGID_Z_EN: 0
; COMPUTE_PGM_RSRC2:TIDIG_COMP_CNT: 0
	.section	.text._Z6kernelI13subtract_leftLj256ELj1ELb1EJPiS1_jEEvDpT3_,"axG",@progbits,_Z6kernelI13subtract_leftLj256ELj1ELb1EJPiS1_jEEvDpT3_,comdat
	.protected	_Z6kernelI13subtract_leftLj256ELj1ELb1EJPiS1_jEEvDpT3_ ; -- Begin function _Z6kernelI13subtract_leftLj256ELj1ELb1EJPiS1_jEEvDpT3_
	.globl	_Z6kernelI13subtract_leftLj256ELj1ELb1EJPiS1_jEEvDpT3_
	.p2align	8
	.type	_Z6kernelI13subtract_leftLj256ELj1ELb1EJPiS1_jEEvDpT3_,@function
_Z6kernelI13subtract_leftLj256ELj1ELb1EJPiS1_jEEvDpT3_: ; @_Z6kernelI13subtract_leftLj256ELj1ELb1EJPiS1_jEEvDpT3_
; %bb.0:
	s_load_b128 s[4:7], s[0:1], 0x0
	s_bfe_u32 s2, ttmp6, 0x4000c
	s_and_b32 s3, ttmp6, 15
	s_add_co_i32 s2, s2, 1
	s_getreg_b32 s8, hwreg(HW_REG_IB_STS2, 6, 4)
	s_mul_i32 s2, ttmp9, s2
	s_wait_xcnt 0x0
	s_load_b32 s0, s[0:1], 0x10
	s_add_co_i32 s3, s3, s2
	s_cmp_eq_u32 s8, 0
	s_cselect_b32 s2, ttmp9, s3
	s_mov_b32 s3, 0
	s_lshl_b32 s2, s2, 8
	s_delay_alu instid0(SALU_CYCLE_1)
	s_lshl_b64 s[2:3], s[2:3], 2
	s_wait_kmcnt 0x0
	s_add_nc_u64 s[4:5], s[4:5], s[2:3]
	global_load_b32 v1, v0, s[4:5] scale_offset
	s_cmp_eq_u32 s0, 0
	s_cbranch_scc1 .LBB30_5
; %bb.1:
	v_lshlrev_b32_e32 v2, 2, v0
	v_cmp_ne_u32_e32 vcc_lo, 0, v0
	s_delay_alu instid0(VALU_DEP_2)
	v_add_nc_u32_e32 v3, -4, v2
	s_branch .LBB30_3
.LBB30_2:                               ;   in Loop: Header=BB30_3 Depth=1
	s_or_b32 exec_lo, exec_lo, s1
	v_lshlrev_b32_e32 v1, 1, v1
	s_add_co_i32 s0, s0, -1
	s_wait_dscnt 0x0
	s_cmp_lg_u32 s0, 0
	s_barrier_signal -1
	v_sub_nc_u32_e32 v1, v1, v4
	s_barrier_wait -1
	s_cbranch_scc0 .LBB30_5
.LBB30_3:                               ; =>This Inner Loop Header: Depth=1
	v_mov_b32_e32 v4, 0x7b
	s_wait_loadcnt 0x0
	ds_store_b32 v2, v1
	s_wait_dscnt 0x0
	s_barrier_signal -1
	s_barrier_wait -1
	s_and_saveexec_b32 s1, vcc_lo
	s_cbranch_execz .LBB30_2
; %bb.4:                                ;   in Loop: Header=BB30_3 Depth=1
	ds_load_b32 v4, v3
	s_branch .LBB30_2
.LBB30_5:
	s_add_nc_u64 s[0:1], s[6:7], s[2:3]
	s_wait_loadcnt 0x0
	global_store_b32 v0, v1, s[0:1] scale_offset
	s_endpgm
	.section	.rodata,"a",@progbits
	.p2align	6, 0x0
	.amdhsa_kernel _Z6kernelI13subtract_leftLj256ELj1ELb1EJPiS1_jEEvDpT3_
		.amdhsa_group_segment_fixed_size 2048
		.amdhsa_private_segment_fixed_size 0
		.amdhsa_kernarg_size 20
		.amdhsa_user_sgpr_count 2
		.amdhsa_user_sgpr_dispatch_ptr 0
		.amdhsa_user_sgpr_queue_ptr 0
		.amdhsa_user_sgpr_kernarg_segment_ptr 1
		.amdhsa_user_sgpr_dispatch_id 0
		.amdhsa_user_sgpr_kernarg_preload_length 0
		.amdhsa_user_sgpr_kernarg_preload_offset 0
		.amdhsa_user_sgpr_private_segment_size 0
		.amdhsa_wavefront_size32 1
		.amdhsa_uses_dynamic_stack 0
		.amdhsa_enable_private_segment 0
		.amdhsa_system_sgpr_workgroup_id_x 1
		.amdhsa_system_sgpr_workgroup_id_y 0
		.amdhsa_system_sgpr_workgroup_id_z 0
		.amdhsa_system_sgpr_workgroup_info 0
		.amdhsa_system_vgpr_workitem_id 0
		.amdhsa_next_free_vgpr 5
		.amdhsa_next_free_sgpr 9
		.amdhsa_named_barrier_count 0
		.amdhsa_reserve_vcc 1
		.amdhsa_float_round_mode_32 0
		.amdhsa_float_round_mode_16_64 0
		.amdhsa_float_denorm_mode_32 3
		.amdhsa_float_denorm_mode_16_64 3
		.amdhsa_fp16_overflow 0
		.amdhsa_memory_ordered 1
		.amdhsa_forward_progress 1
		.amdhsa_inst_pref_size 2
		.amdhsa_round_robin_scheduling 0
		.amdhsa_exception_fp_ieee_invalid_op 0
		.amdhsa_exception_fp_denorm_src 0
		.amdhsa_exception_fp_ieee_div_zero 0
		.amdhsa_exception_fp_ieee_overflow 0
		.amdhsa_exception_fp_ieee_underflow 0
		.amdhsa_exception_fp_ieee_inexact 0
		.amdhsa_exception_int_div_zero 0
	.end_amdhsa_kernel
	.section	.text._Z6kernelI13subtract_leftLj256ELj1ELb1EJPiS1_jEEvDpT3_,"axG",@progbits,_Z6kernelI13subtract_leftLj256ELj1ELb1EJPiS1_jEEvDpT3_,comdat
.Lfunc_end30:
	.size	_Z6kernelI13subtract_leftLj256ELj1ELb1EJPiS1_jEEvDpT3_, .Lfunc_end30-_Z6kernelI13subtract_leftLj256ELj1ELb1EJPiS1_jEEvDpT3_
                                        ; -- End function
	.set _Z6kernelI13subtract_leftLj256ELj1ELb1EJPiS1_jEEvDpT3_.num_vgpr, 5
	.set _Z6kernelI13subtract_leftLj256ELj1ELb1EJPiS1_jEEvDpT3_.num_agpr, 0
	.set _Z6kernelI13subtract_leftLj256ELj1ELb1EJPiS1_jEEvDpT3_.numbered_sgpr, 9
	.set _Z6kernelI13subtract_leftLj256ELj1ELb1EJPiS1_jEEvDpT3_.num_named_barrier, 0
	.set _Z6kernelI13subtract_leftLj256ELj1ELb1EJPiS1_jEEvDpT3_.private_seg_size, 0
	.set _Z6kernelI13subtract_leftLj256ELj1ELb1EJPiS1_jEEvDpT3_.uses_vcc, 1
	.set _Z6kernelI13subtract_leftLj256ELj1ELb1EJPiS1_jEEvDpT3_.uses_flat_scratch, 0
	.set _Z6kernelI13subtract_leftLj256ELj1ELb1EJPiS1_jEEvDpT3_.has_dyn_sized_stack, 0
	.set _Z6kernelI13subtract_leftLj256ELj1ELb1EJPiS1_jEEvDpT3_.has_recursion, 0
	.set _Z6kernelI13subtract_leftLj256ELj1ELb1EJPiS1_jEEvDpT3_.has_indirect_call, 0
	.section	.AMDGPU.csdata,"",@progbits
; Kernel info:
; codeLenInByte = 232
; TotalNumSgprs: 11
; NumVgprs: 5
; ScratchSize: 0
; MemoryBound: 0
; FloatMode: 240
; IeeeMode: 1
; LDSByteSize: 2048 bytes/workgroup (compile time only)
; SGPRBlocks: 0
; VGPRBlocks: 0
; NumSGPRsForWavesPerEU: 11
; NumVGPRsForWavesPerEU: 5
; NamedBarCnt: 0
; Occupancy: 16
; WaveLimiterHint : 0
; COMPUTE_PGM_RSRC2:SCRATCH_EN: 0
; COMPUTE_PGM_RSRC2:USER_SGPR: 2
; COMPUTE_PGM_RSRC2:TRAP_HANDLER: 0
; COMPUTE_PGM_RSRC2:TGID_X_EN: 1
; COMPUTE_PGM_RSRC2:TGID_Y_EN: 0
; COMPUTE_PGM_RSRC2:TGID_Z_EN: 0
; COMPUTE_PGM_RSRC2:TIDIG_COMP_CNT: 0
	.section	.text._Z6kernelI13subtract_leftLj256ELj3ELb1EJPiS1_jEEvDpT3_,"axG",@progbits,_Z6kernelI13subtract_leftLj256ELj3ELb1EJPiS1_jEEvDpT3_,comdat
	.protected	_Z6kernelI13subtract_leftLj256ELj3ELb1EJPiS1_jEEvDpT3_ ; -- Begin function _Z6kernelI13subtract_leftLj256ELj3ELb1EJPiS1_jEEvDpT3_
	.globl	_Z6kernelI13subtract_leftLj256ELj3ELb1EJPiS1_jEEvDpT3_
	.p2align	8
	.type	_Z6kernelI13subtract_leftLj256ELj3ELb1EJPiS1_jEEvDpT3_,@function
_Z6kernelI13subtract_leftLj256ELj3ELb1EJPiS1_jEEvDpT3_: ; @_Z6kernelI13subtract_leftLj256ELj3ELb1EJPiS1_jEEvDpT3_
; %bb.0:
	s_load_b128 s[4:7], s[0:1], 0x0
	s_bfe_u32 s2, ttmp6, 0x4000c
	s_and_b32 s3, ttmp6, 15
	s_add_co_i32 s2, s2, 1
	s_getreg_b32 s8, hwreg(HW_REG_IB_STS2, 6, 4)
	s_mul_i32 s2, ttmp9, s2
	s_wait_xcnt 0x0
	s_load_b32 s0, s[0:1], 0x10
	s_add_co_i32 s3, s3, s2
	s_cmp_eq_u32 s8, 0
	s_cselect_b32 s2, ttmp9, s3
	s_mov_b32 s3, 0
	s_mulk_i32 s2, 0x300
	s_delay_alu instid0(SALU_CYCLE_1)
	s_lshl_b64 s[2:3], s[2:3], 2
	s_wait_kmcnt 0x0
	s_add_nc_u64 s[4:5], s[4:5], s[2:3]
	s_clause 0x2
	global_load_b32 v4, v0, s[4:5] scale_offset
	global_load_b32 v5, v0, s[4:5] offset:1024 scale_offset
	global_load_b32 v1, v0, s[4:5] offset:2048 scale_offset
	s_cmp_eq_u32 s0, 0
	s_cbranch_scc1 .LBB31_6
; %bb.1:
	v_lshlrev_b32_e32 v2, 2, v0
	v_cmp_ne_u32_e32 vcc_lo, 0, v0
	s_delay_alu instid0(VALU_DEP_2)
	v_add_nc_u32_e32 v3, -4, v2
.LBB31_2:                               ; =>This Inner Loop Header: Depth=1
	v_mov_b32_e32 v6, 0x7b
	s_wait_loadcnt 0x0
	ds_store_b32 v2, v1
	s_wait_dscnt 0x0
	s_barrier_signal -1
	s_barrier_wait -1
	s_and_saveexec_b32 s1, vcc_lo
; %bb.3:                                ;   in Loop: Header=BB31_2 Depth=1
	ds_load_b32 v6, v3
; %bb.4:                                ;   in Loop: Header=BB31_2 Depth=1
	s_or_b32 exec_lo, exec_lo, s1
	v_dual_lshlrev_b32 v7, 1, v4 :: v_dual_lshlrev_b32 v8, 1, v5
	v_lshlrev_b32_e32 v1, 1, v1
	s_add_co_i32 s0, s0, -1
	s_wait_dscnt 0x0
	s_delay_alu instid0(VALU_DEP_2) | instskip(NEXT) | instid1(VALU_DEP_2)
	v_dual_sub_nc_u32 v7, v7, v6 :: v_dual_sub_nc_u32 v6, v8, v4
	v_sub_nc_u32_e32 v1, v1, v5
	s_cmp_lg_u32 s0, 0
	s_barrier_signal -1
	s_barrier_wait -1
	s_cbranch_scc0 .LBB31_7
; %bb.5:                                ;   in Loop: Header=BB31_2 Depth=1
	v_dual_mov_b32 v4, v7 :: v_dual_mov_b32 v5, v6
	s_branch .LBB31_2
.LBB31_6:
	s_wait_loadcnt 0x1
	v_dual_mov_b32 v6, v5 :: v_dual_mov_b32 v7, v4
.LBB31_7:
	s_add_nc_u64 s[0:1], s[6:7], s[2:3]
	s_clause 0x1
	global_store_b32 v0, v7, s[0:1] scale_offset
	global_store_b32 v0, v6, s[0:1] offset:1024 scale_offset
	s_wait_loadcnt 0x0
	global_store_b32 v0, v1, s[0:1] offset:2048 scale_offset
	s_endpgm
	.section	.rodata,"a",@progbits
	.p2align	6, 0x0
	.amdhsa_kernel _Z6kernelI13subtract_leftLj256ELj3ELb1EJPiS1_jEEvDpT3_
		.amdhsa_group_segment_fixed_size 2048
		.amdhsa_private_segment_fixed_size 0
		.amdhsa_kernarg_size 20
		.amdhsa_user_sgpr_count 2
		.amdhsa_user_sgpr_dispatch_ptr 0
		.amdhsa_user_sgpr_queue_ptr 0
		.amdhsa_user_sgpr_kernarg_segment_ptr 1
		.amdhsa_user_sgpr_dispatch_id 0
		.amdhsa_user_sgpr_kernarg_preload_length 0
		.amdhsa_user_sgpr_kernarg_preload_offset 0
		.amdhsa_user_sgpr_private_segment_size 0
		.amdhsa_wavefront_size32 1
		.amdhsa_uses_dynamic_stack 0
		.amdhsa_enable_private_segment 0
		.amdhsa_system_sgpr_workgroup_id_x 1
		.amdhsa_system_sgpr_workgroup_id_y 0
		.amdhsa_system_sgpr_workgroup_id_z 0
		.amdhsa_system_sgpr_workgroup_info 0
		.amdhsa_system_vgpr_workitem_id 0
		.amdhsa_next_free_vgpr 9
		.amdhsa_next_free_sgpr 9
		.amdhsa_named_barrier_count 0
		.amdhsa_reserve_vcc 1
		.amdhsa_float_round_mode_32 0
		.amdhsa_float_round_mode_16_64 0
		.amdhsa_float_denorm_mode_32 3
		.amdhsa_float_denorm_mode_16_64 3
		.amdhsa_fp16_overflow 0
		.amdhsa_memory_ordered 1
		.amdhsa_forward_progress 1
		.amdhsa_inst_pref_size 3
		.amdhsa_round_robin_scheduling 0
		.amdhsa_exception_fp_ieee_invalid_op 0
		.amdhsa_exception_fp_denorm_src 0
		.amdhsa_exception_fp_ieee_div_zero 0
		.amdhsa_exception_fp_ieee_overflow 0
		.amdhsa_exception_fp_ieee_underflow 0
		.amdhsa_exception_fp_ieee_inexact 0
		.amdhsa_exception_int_div_zero 0
	.end_amdhsa_kernel
	.section	.text._Z6kernelI13subtract_leftLj256ELj3ELb1EJPiS1_jEEvDpT3_,"axG",@progbits,_Z6kernelI13subtract_leftLj256ELj3ELb1EJPiS1_jEEvDpT3_,comdat
.Lfunc_end31:
	.size	_Z6kernelI13subtract_leftLj256ELj3ELb1EJPiS1_jEEvDpT3_, .Lfunc_end31-_Z6kernelI13subtract_leftLj256ELj3ELb1EJPiS1_jEEvDpT3_
                                        ; -- End function
	.set _Z6kernelI13subtract_leftLj256ELj3ELb1EJPiS1_jEEvDpT3_.num_vgpr, 9
	.set _Z6kernelI13subtract_leftLj256ELj3ELb1EJPiS1_jEEvDpT3_.num_agpr, 0
	.set _Z6kernelI13subtract_leftLj256ELj3ELb1EJPiS1_jEEvDpT3_.numbered_sgpr, 9
	.set _Z6kernelI13subtract_leftLj256ELj3ELb1EJPiS1_jEEvDpT3_.num_named_barrier, 0
	.set _Z6kernelI13subtract_leftLj256ELj3ELb1EJPiS1_jEEvDpT3_.private_seg_size, 0
	.set _Z6kernelI13subtract_leftLj256ELj3ELb1EJPiS1_jEEvDpT3_.uses_vcc, 1
	.set _Z6kernelI13subtract_leftLj256ELj3ELb1EJPiS1_jEEvDpT3_.uses_flat_scratch, 0
	.set _Z6kernelI13subtract_leftLj256ELj3ELb1EJPiS1_jEEvDpT3_.has_dyn_sized_stack, 0
	.set _Z6kernelI13subtract_leftLj256ELj3ELb1EJPiS1_jEEvDpT3_.has_recursion, 0
	.set _Z6kernelI13subtract_leftLj256ELj3ELb1EJPiS1_jEEvDpT3_.has_indirect_call, 0
	.section	.AMDGPU.csdata,"",@progbits
; Kernel info:
; codeLenInByte = 328
; TotalNumSgprs: 11
; NumVgprs: 9
; ScratchSize: 0
; MemoryBound: 0
; FloatMode: 240
; IeeeMode: 1
; LDSByteSize: 2048 bytes/workgroup (compile time only)
; SGPRBlocks: 0
; VGPRBlocks: 0
; NumSGPRsForWavesPerEU: 11
; NumVGPRsForWavesPerEU: 9
; NamedBarCnt: 0
; Occupancy: 16
; WaveLimiterHint : 1
; COMPUTE_PGM_RSRC2:SCRATCH_EN: 0
; COMPUTE_PGM_RSRC2:USER_SGPR: 2
; COMPUTE_PGM_RSRC2:TRAP_HANDLER: 0
; COMPUTE_PGM_RSRC2:TGID_X_EN: 1
; COMPUTE_PGM_RSRC2:TGID_Y_EN: 0
; COMPUTE_PGM_RSRC2:TGID_Z_EN: 0
; COMPUTE_PGM_RSRC2:TIDIG_COMP_CNT: 0
	.section	.text._Z6kernelI13subtract_leftLj256ELj4ELb1EJPiS1_jEEvDpT3_,"axG",@progbits,_Z6kernelI13subtract_leftLj256ELj4ELb1EJPiS1_jEEvDpT3_,comdat
	.protected	_Z6kernelI13subtract_leftLj256ELj4ELb1EJPiS1_jEEvDpT3_ ; -- Begin function _Z6kernelI13subtract_leftLj256ELj4ELb1EJPiS1_jEEvDpT3_
	.globl	_Z6kernelI13subtract_leftLj256ELj4ELb1EJPiS1_jEEvDpT3_
	.p2align	8
	.type	_Z6kernelI13subtract_leftLj256ELj4ELb1EJPiS1_jEEvDpT3_,@function
_Z6kernelI13subtract_leftLj256ELj4ELb1EJPiS1_jEEvDpT3_: ; @_Z6kernelI13subtract_leftLj256ELj4ELb1EJPiS1_jEEvDpT3_
; %bb.0:
	s_load_b128 s[4:7], s[0:1], 0x0
	s_bfe_u32 s2, ttmp6, 0x4000c
	s_and_b32 s3, ttmp6, 15
	s_add_co_i32 s2, s2, 1
	s_getreg_b32 s8, hwreg(HW_REG_IB_STS2, 6, 4)
	s_mul_i32 s2, ttmp9, s2
	s_wait_xcnt 0x0
	s_load_b32 s0, s[0:1], 0x10
	s_add_co_i32 s3, s3, s2
	s_cmp_eq_u32 s8, 0
	s_cselect_b32 s2, ttmp9, s3
	s_mov_b32 s3, 0
	s_lshl_b32 s2, s2, 10
	s_delay_alu instid0(SALU_CYCLE_1)
	s_lshl_b64 s[2:3], s[2:3], 2
	s_wait_kmcnt 0x0
	s_add_nc_u64 s[4:5], s[4:5], s[2:3]
	s_clause 0x3
	global_load_b32 v3, v0, s[4:5] scale_offset
	global_load_b32 v5, v0, s[4:5] offset:1024 scale_offset
	global_load_b32 v6, v0, s[4:5] offset:2048 scale_offset
	;; [unrolled: 1-line block ×3, first 2 shown]
	s_cmp_eq_u32 s0, 0
	s_cbranch_scc1 .LBB32_6
; %bb.1:
	v_lshlrev_b32_e32 v2, 2, v0
	v_cmp_ne_u32_e32 vcc_lo, 0, v0
	s_delay_alu instid0(VALU_DEP_2)
	v_add_nc_u32_e32 v4, -4, v2
.LBB32_2:                               ; =>This Inner Loop Header: Depth=1
	v_mov_b32_e32 v7, 0x7b
	s_wait_loadcnt 0x0
	ds_store_b32 v2, v1
	s_wait_dscnt 0x0
	s_barrier_signal -1
	s_barrier_wait -1
	s_and_saveexec_b32 s1, vcc_lo
; %bb.3:                                ;   in Loop: Header=BB32_2 Depth=1
	ds_load_b32 v7, v4
; %bb.4:                                ;   in Loop: Header=BB32_2 Depth=1
	s_or_b32 exec_lo, exec_lo, s1
	v_dual_lshlrev_b32 v8, 1, v3 :: v_dual_lshlrev_b32 v10, 1, v5
	v_dual_lshlrev_b32 v11, 1, v6 :: v_dual_lshlrev_b32 v1, 1, v1
	s_add_co_i32 s0, s0, -1
	s_wait_dscnt 0x0
	s_delay_alu instid0(VALU_DEP_2) | instskip(NEXT) | instid1(VALU_DEP_2)
	v_sub_nc_u32_e32 v9, v8, v7
	v_dual_sub_nc_u32 v8, v10, v3 :: v_dual_sub_nc_u32 v7, v11, v5
	v_sub_nc_u32_e32 v1, v1, v6
	s_cmp_lg_u32 s0, 0
	s_barrier_signal -1
	s_barrier_wait -1
	s_cbranch_scc0 .LBB32_7
; %bb.5:                                ;   in Loop: Header=BB32_2 Depth=1
	v_dual_mov_b32 v3, v9 :: v_dual_mov_b32 v5, v8
	v_mov_b32_e32 v6, v7
	s_branch .LBB32_2
.LBB32_6:
	s_wait_loadcnt 0x1
	v_dual_mov_b32 v7, v6 :: v_dual_mov_b32 v8, v5
	v_mov_b32_e32 v9, v3
.LBB32_7:
	s_add_nc_u64 s[0:1], s[6:7], s[2:3]
	s_clause 0x2
	global_store_b32 v0, v9, s[0:1] scale_offset
	global_store_b32 v0, v8, s[0:1] offset:1024 scale_offset
	global_store_b32 v0, v7, s[0:1] offset:2048 scale_offset
	s_wait_loadcnt 0x0
	global_store_b32 v0, v1, s[0:1] offset:3072 scale_offset
	s_endpgm
	.section	.rodata,"a",@progbits
	.p2align	6, 0x0
	.amdhsa_kernel _Z6kernelI13subtract_leftLj256ELj4ELb1EJPiS1_jEEvDpT3_
		.amdhsa_group_segment_fixed_size 2048
		.amdhsa_private_segment_fixed_size 0
		.amdhsa_kernarg_size 20
		.amdhsa_user_sgpr_count 2
		.amdhsa_user_sgpr_dispatch_ptr 0
		.amdhsa_user_sgpr_queue_ptr 0
		.amdhsa_user_sgpr_kernarg_segment_ptr 1
		.amdhsa_user_sgpr_dispatch_id 0
		.amdhsa_user_sgpr_kernarg_preload_length 0
		.amdhsa_user_sgpr_kernarg_preload_offset 0
		.amdhsa_user_sgpr_private_segment_size 0
		.amdhsa_wavefront_size32 1
		.amdhsa_uses_dynamic_stack 0
		.amdhsa_enable_private_segment 0
		.amdhsa_system_sgpr_workgroup_id_x 1
		.amdhsa_system_sgpr_workgroup_id_y 0
		.amdhsa_system_sgpr_workgroup_id_z 0
		.amdhsa_system_sgpr_workgroup_info 0
		.amdhsa_system_vgpr_workitem_id 0
		.amdhsa_next_free_vgpr 12
		.amdhsa_next_free_sgpr 9
		.amdhsa_named_barrier_count 0
		.amdhsa_reserve_vcc 1
		.amdhsa_float_round_mode_32 0
		.amdhsa_float_round_mode_16_64 0
		.amdhsa_float_denorm_mode_32 3
		.amdhsa_float_denorm_mode_16_64 3
		.amdhsa_fp16_overflow 0
		.amdhsa_memory_ordered 1
		.amdhsa_forward_progress 1
		.amdhsa_inst_pref_size 3
		.amdhsa_round_robin_scheduling 0
		.amdhsa_exception_fp_ieee_invalid_op 0
		.amdhsa_exception_fp_denorm_src 0
		.amdhsa_exception_fp_ieee_div_zero 0
		.amdhsa_exception_fp_ieee_overflow 0
		.amdhsa_exception_fp_ieee_underflow 0
		.amdhsa_exception_fp_ieee_inexact 0
		.amdhsa_exception_int_div_zero 0
	.end_amdhsa_kernel
	.section	.text._Z6kernelI13subtract_leftLj256ELj4ELb1EJPiS1_jEEvDpT3_,"axG",@progbits,_Z6kernelI13subtract_leftLj256ELj4ELb1EJPiS1_jEEvDpT3_,comdat
.Lfunc_end32:
	.size	_Z6kernelI13subtract_leftLj256ELj4ELb1EJPiS1_jEEvDpT3_, .Lfunc_end32-_Z6kernelI13subtract_leftLj256ELj4ELb1EJPiS1_jEEvDpT3_
                                        ; -- End function
	.set _Z6kernelI13subtract_leftLj256ELj4ELb1EJPiS1_jEEvDpT3_.num_vgpr, 12
	.set _Z6kernelI13subtract_leftLj256ELj4ELb1EJPiS1_jEEvDpT3_.num_agpr, 0
	.set _Z6kernelI13subtract_leftLj256ELj4ELb1EJPiS1_jEEvDpT3_.numbered_sgpr, 9
	.set _Z6kernelI13subtract_leftLj256ELj4ELb1EJPiS1_jEEvDpT3_.num_named_barrier, 0
	.set _Z6kernelI13subtract_leftLj256ELj4ELb1EJPiS1_jEEvDpT3_.private_seg_size, 0
	.set _Z6kernelI13subtract_leftLj256ELj4ELb1EJPiS1_jEEvDpT3_.uses_vcc, 1
	.set _Z6kernelI13subtract_leftLj256ELj4ELb1EJPiS1_jEEvDpT3_.uses_flat_scratch, 0
	.set _Z6kernelI13subtract_leftLj256ELj4ELb1EJPiS1_jEEvDpT3_.has_dyn_sized_stack, 0
	.set _Z6kernelI13subtract_leftLj256ELj4ELb1EJPiS1_jEEvDpT3_.has_recursion, 0
	.set _Z6kernelI13subtract_leftLj256ELj4ELb1EJPiS1_jEEvDpT3_.has_indirect_call, 0
	.section	.AMDGPU.csdata,"",@progbits
; Kernel info:
; codeLenInByte = 376
; TotalNumSgprs: 11
; NumVgprs: 12
; ScratchSize: 0
; MemoryBound: 0
; FloatMode: 240
; IeeeMode: 1
; LDSByteSize: 2048 bytes/workgroup (compile time only)
; SGPRBlocks: 0
; VGPRBlocks: 0
; NumSGPRsForWavesPerEU: 11
; NumVGPRsForWavesPerEU: 12
; NamedBarCnt: 0
; Occupancy: 16
; WaveLimiterHint : 1
; COMPUTE_PGM_RSRC2:SCRATCH_EN: 0
; COMPUTE_PGM_RSRC2:USER_SGPR: 2
; COMPUTE_PGM_RSRC2:TRAP_HANDLER: 0
; COMPUTE_PGM_RSRC2:TGID_X_EN: 1
; COMPUTE_PGM_RSRC2:TGID_Y_EN: 0
; COMPUTE_PGM_RSRC2:TGID_Z_EN: 0
; COMPUTE_PGM_RSRC2:TIDIG_COMP_CNT: 0
	.section	.text._Z6kernelI13subtract_leftLj256ELj8ELb1EJPiS1_jEEvDpT3_,"axG",@progbits,_Z6kernelI13subtract_leftLj256ELj8ELb1EJPiS1_jEEvDpT3_,comdat
	.protected	_Z6kernelI13subtract_leftLj256ELj8ELb1EJPiS1_jEEvDpT3_ ; -- Begin function _Z6kernelI13subtract_leftLj256ELj8ELb1EJPiS1_jEEvDpT3_
	.globl	_Z6kernelI13subtract_leftLj256ELj8ELb1EJPiS1_jEEvDpT3_
	.p2align	8
	.type	_Z6kernelI13subtract_leftLj256ELj8ELb1EJPiS1_jEEvDpT3_,@function
_Z6kernelI13subtract_leftLj256ELj8ELb1EJPiS1_jEEvDpT3_: ; @_Z6kernelI13subtract_leftLj256ELj8ELb1EJPiS1_jEEvDpT3_
; %bb.0:
	s_load_b128 s[4:7], s[0:1], 0x0
	s_bfe_u32 s2, ttmp6, 0x4000c
	s_and_b32 s3, ttmp6, 15
	s_add_co_i32 s2, s2, 1
	s_getreg_b32 s8, hwreg(HW_REG_IB_STS2, 6, 4)
	s_mul_i32 s2, ttmp9, s2
	s_wait_xcnt 0x0
	s_load_b32 s0, s[0:1], 0x10
	s_add_co_i32 s3, s3, s2
	s_cmp_eq_u32 s8, 0
	s_cselect_b32 s2, ttmp9, s3
	s_mov_b32 s3, 0
	s_lshl_b32 s2, s2, 11
	s_delay_alu instid0(SALU_CYCLE_1)
	s_lshl_b64 s[2:3], s[2:3], 2
	s_wait_kmcnt 0x0
	s_add_nc_u64 s[4:5], s[4:5], s[2:3]
	s_clause 0x7
	global_load_b32 v7, v0, s[4:5] scale_offset
	global_load_b32 v9, v0, s[4:5] offset:1024 scale_offset
	global_load_b32 v3, v0, s[4:5] offset:2048 scale_offset
	global_load_b32 v5, v0, s[4:5] offset:3072 scale_offset
	global_load_b32 v6, v0, s[4:5] offset:4096 scale_offset
	global_load_b32 v8, v0, s[4:5] offset:5120 scale_offset
	global_load_b32 v10, v0, s[4:5] offset:6144 scale_offset
	global_load_b32 v1, v0, s[4:5] offset:7168 scale_offset
	s_cmp_eq_u32 s0, 0
	s_cbranch_scc1 .LBB33_6
; %bb.1:
	v_lshlrev_b32_e32 v2, 2, v0
	v_cmp_ne_u32_e32 vcc_lo, 0, v0
	s_delay_alu instid0(VALU_DEP_2)
	v_add_nc_u32_e32 v4, -4, v2
.LBB33_2:                               ; =>This Inner Loop Header: Depth=1
	v_mov_b32_e32 v11, 0x7b
	s_wait_loadcnt 0x0
	ds_store_b32 v2, v1
	s_wait_dscnt 0x0
	s_barrier_signal -1
	s_barrier_wait -1
	s_and_saveexec_b32 s1, vcc_lo
; %bb.3:                                ;   in Loop: Header=BB33_2 Depth=1
	ds_load_b32 v11, v4
; %bb.4:                                ;   in Loop: Header=BB33_2 Depth=1
	s_or_b32 exec_lo, exec_lo, s1
	v_dual_lshlrev_b32 v12, 1, v7 :: v_dual_lshlrev_b32 v13, 1, v9
	v_lshlrev_b32_e32 v14, 1, v3
	s_add_co_i32 s0, s0, -1
	s_wait_dscnt 0x0
	s_delay_alu instid0(VALU_DEP_2) | instskip(SKIP_3) | instid1(VALU_DEP_3)
	v_dual_lshlrev_b32 v18, 1, v10 :: v_dual_sub_nc_u32 v13, v13, v7
	v_dual_lshlrev_b32 v7, 1, v5 :: v_dual_sub_nc_u32 v15, v12, v11
	v_dual_sub_nc_u32 v11, v14, v9 :: v_dual_lshlrev_b32 v9, 1, v6
	v_dual_lshlrev_b32 v12, 1, v8 :: v_dual_lshlrev_b32 v1, 1, v1
	v_sub_nc_u32_e32 v17, v7, v3
	s_cmp_lg_u32 s0, 0
	s_delay_alu instid0(VALU_DEP_2) | instskip(NEXT) | instid1(VALU_DEP_3)
	v_dual_sub_nc_u32 v16, v9, v5 :: v_dual_sub_nc_u32 v14, v12, v6
	v_dual_sub_nc_u32 v12, v18, v8 :: v_dual_sub_nc_u32 v1, v1, v10
	s_barrier_signal -1
	s_barrier_wait -1
	s_cbranch_scc0 .LBB33_7
; %bb.5:                                ;   in Loop: Header=BB33_2 Depth=1
	v_dual_mov_b32 v7, v15 :: v_dual_mov_b32 v9, v13
	v_dual_mov_b32 v3, v11 :: v_dual_mov_b32 v5, v17
	;; [unrolled: 1-line block ×3, first 2 shown]
	v_mov_b32_e32 v10, v12
	s_branch .LBB33_2
.LBB33_6:
	s_wait_loadcnt 0x1
	v_dual_mov_b32 v12, v10 :: v_dual_mov_b32 v14, v8
	v_dual_mov_b32 v16, v6 :: v_dual_mov_b32 v17, v5
	;; [unrolled: 1-line block ×3, first 2 shown]
	v_mov_b32_e32 v15, v7
.LBB33_7:
	s_add_nc_u64 s[0:1], s[6:7], s[2:3]
	s_clause 0x6
	global_store_b32 v0, v15, s[0:1] scale_offset
	global_store_b32 v0, v13, s[0:1] offset:1024 scale_offset
	global_store_b32 v0, v11, s[0:1] offset:2048 scale_offset
	;; [unrolled: 1-line block ×6, first 2 shown]
	s_wait_loadcnt 0x0
	global_store_b32 v0, v1, s[0:1] offset:7168 scale_offset
	s_endpgm
	.section	.rodata,"a",@progbits
	.p2align	6, 0x0
	.amdhsa_kernel _Z6kernelI13subtract_leftLj256ELj8ELb1EJPiS1_jEEvDpT3_
		.amdhsa_group_segment_fixed_size 2048
		.amdhsa_private_segment_fixed_size 0
		.amdhsa_kernarg_size 20
		.amdhsa_user_sgpr_count 2
		.amdhsa_user_sgpr_dispatch_ptr 0
		.amdhsa_user_sgpr_queue_ptr 0
		.amdhsa_user_sgpr_kernarg_segment_ptr 1
		.amdhsa_user_sgpr_dispatch_id 0
		.amdhsa_user_sgpr_kernarg_preload_length 0
		.amdhsa_user_sgpr_kernarg_preload_offset 0
		.amdhsa_user_sgpr_private_segment_size 0
		.amdhsa_wavefront_size32 1
		.amdhsa_uses_dynamic_stack 0
		.amdhsa_enable_private_segment 0
		.amdhsa_system_sgpr_workgroup_id_x 1
		.amdhsa_system_sgpr_workgroup_id_y 0
		.amdhsa_system_sgpr_workgroup_id_z 0
		.amdhsa_system_sgpr_workgroup_info 0
		.amdhsa_system_vgpr_workitem_id 0
		.amdhsa_next_free_vgpr 19
		.amdhsa_next_free_sgpr 9
		.amdhsa_named_barrier_count 0
		.amdhsa_reserve_vcc 1
		.amdhsa_float_round_mode_32 0
		.amdhsa_float_round_mode_16_64 0
		.amdhsa_float_denorm_mode_32 3
		.amdhsa_float_denorm_mode_16_64 3
		.amdhsa_fp16_overflow 0
		.amdhsa_memory_ordered 1
		.amdhsa_forward_progress 1
		.amdhsa_inst_pref_size 5
		.amdhsa_round_robin_scheduling 0
		.amdhsa_exception_fp_ieee_invalid_op 0
		.amdhsa_exception_fp_denorm_src 0
		.amdhsa_exception_fp_ieee_div_zero 0
		.amdhsa_exception_fp_ieee_overflow 0
		.amdhsa_exception_fp_ieee_underflow 0
		.amdhsa_exception_fp_ieee_inexact 0
		.amdhsa_exception_int_div_zero 0
	.end_amdhsa_kernel
	.section	.text._Z6kernelI13subtract_leftLj256ELj8ELb1EJPiS1_jEEvDpT3_,"axG",@progbits,_Z6kernelI13subtract_leftLj256ELj8ELb1EJPiS1_jEEvDpT3_,comdat
.Lfunc_end33:
	.size	_Z6kernelI13subtract_leftLj256ELj8ELb1EJPiS1_jEEvDpT3_, .Lfunc_end33-_Z6kernelI13subtract_leftLj256ELj8ELb1EJPiS1_jEEvDpT3_
                                        ; -- End function
	.set _Z6kernelI13subtract_leftLj256ELj8ELb1EJPiS1_jEEvDpT3_.num_vgpr, 19
	.set _Z6kernelI13subtract_leftLj256ELj8ELb1EJPiS1_jEEvDpT3_.num_agpr, 0
	.set _Z6kernelI13subtract_leftLj256ELj8ELb1EJPiS1_jEEvDpT3_.numbered_sgpr, 9
	.set _Z6kernelI13subtract_leftLj256ELj8ELb1EJPiS1_jEEvDpT3_.num_named_barrier, 0
	.set _Z6kernelI13subtract_leftLj256ELj8ELb1EJPiS1_jEEvDpT3_.private_seg_size, 0
	.set _Z6kernelI13subtract_leftLj256ELj8ELb1EJPiS1_jEEvDpT3_.uses_vcc, 1
	.set _Z6kernelI13subtract_leftLj256ELj8ELb1EJPiS1_jEEvDpT3_.uses_flat_scratch, 0
	.set _Z6kernelI13subtract_leftLj256ELj8ELb1EJPiS1_jEEvDpT3_.has_dyn_sized_stack, 0
	.set _Z6kernelI13subtract_leftLj256ELj8ELb1EJPiS1_jEEvDpT3_.has_recursion, 0
	.set _Z6kernelI13subtract_leftLj256ELj8ELb1EJPiS1_jEEvDpT3_.has_indirect_call, 0
	.section	.AMDGPU.csdata,"",@progbits
; Kernel info:
; codeLenInByte = 572
; TotalNumSgprs: 11
; NumVgprs: 19
; ScratchSize: 0
; MemoryBound: 0
; FloatMode: 240
; IeeeMode: 1
; LDSByteSize: 2048 bytes/workgroup (compile time only)
; SGPRBlocks: 0
; VGPRBlocks: 1
; NumSGPRsForWavesPerEU: 11
; NumVGPRsForWavesPerEU: 19
; NamedBarCnt: 0
; Occupancy: 16
; WaveLimiterHint : 1
; COMPUTE_PGM_RSRC2:SCRATCH_EN: 0
; COMPUTE_PGM_RSRC2:USER_SGPR: 2
; COMPUTE_PGM_RSRC2:TRAP_HANDLER: 0
; COMPUTE_PGM_RSRC2:TGID_X_EN: 1
; COMPUTE_PGM_RSRC2:TGID_Y_EN: 0
; COMPUTE_PGM_RSRC2:TGID_Z_EN: 0
; COMPUTE_PGM_RSRC2:TIDIG_COMP_CNT: 0
	.section	.text._Z6kernelI13subtract_leftLj256ELj16ELb1EJPiS1_jEEvDpT3_,"axG",@progbits,_Z6kernelI13subtract_leftLj256ELj16ELb1EJPiS1_jEEvDpT3_,comdat
	.protected	_Z6kernelI13subtract_leftLj256ELj16ELb1EJPiS1_jEEvDpT3_ ; -- Begin function _Z6kernelI13subtract_leftLj256ELj16ELb1EJPiS1_jEEvDpT3_
	.globl	_Z6kernelI13subtract_leftLj256ELj16ELb1EJPiS1_jEEvDpT3_
	.p2align	8
	.type	_Z6kernelI13subtract_leftLj256ELj16ELb1EJPiS1_jEEvDpT3_,@function
_Z6kernelI13subtract_leftLj256ELj16ELb1EJPiS1_jEEvDpT3_: ; @_Z6kernelI13subtract_leftLj256ELj16ELb1EJPiS1_jEEvDpT3_
; %bb.0:
	s_load_b128 s[4:7], s[0:1], 0x0
	s_bfe_u32 s2, ttmp6, 0x4000c
	s_and_b32 s3, ttmp6, 15
	s_add_co_i32 s2, s2, 1
	s_getreg_b32 s8, hwreg(HW_REG_IB_STS2, 6, 4)
	s_mul_i32 s2, ttmp9, s2
	s_wait_xcnt 0x0
	s_load_b32 s0, s[0:1], 0x10
	s_add_co_i32 s3, s3, s2
	s_cmp_eq_u32 s8, 0
	s_cselect_b32 s2, ttmp9, s3
	s_mov_b32 s3, 0
	s_lshl_b32 s2, s2, 12
	s_delay_alu instid0(SALU_CYCLE_1)
	s_lshl_b64 s[2:3], s[2:3], 2
	s_wait_kmcnt 0x0
	s_add_nc_u64 s[4:5], s[4:5], s[2:3]
	s_clause 0xf
	global_load_b32 v16, v0, s[4:5] scale_offset
	global_load_b32 v15, v0, s[4:5] offset:1024 scale_offset
	global_load_b32 v14, v0, s[4:5] offset:2048 scale_offset
	;; [unrolled: 1-line block ×15, first 2 shown]
	s_cmp_eq_u32 s0, 0
	s_cbranch_scc1 .LBB34_5
; %bb.1:
	v_lshlrev_b32_e32 v17, 2, v0
	v_cmp_ne_u32_e32 vcc_lo, 0, v0
	s_delay_alu instid0(VALU_DEP_2)
	v_add_nc_u32_e32 v18, -4, v17
	s_branch .LBB34_3
.LBB34_2:                               ;   in Loop: Header=BB34_3 Depth=1
	s_or_b32 exec_lo, exec_lo, s1
	v_dual_sub_nc_u32 v20, v1, v2 :: v_dual_sub_nc_u32 v21, v2, v3
	v_dual_sub_nc_u32 v22, v3, v4 :: v_dual_sub_nc_u32 v23, v4, v5
	;; [unrolled: 1-line block ×5, first 2 shown]
	s_wait_dscnt 0x0
	v_dual_sub_nc_u32 v30, v11, v12 :: v_dual_sub_nc_u32 v19, v16, v19
	v_dual_sub_nc_u32 v31, v15, v16 :: v_dual_sub_nc_u32 v32, v14, v15
	v_dual_sub_nc_u32 v33, v13, v14 :: v_dual_sub_nc_u32 v34, v12, v13
	s_delay_alu instid0(VALU_DEP_3) | instskip(NEXT) | instid1(VALU_DEP_3)
	v_add_nc_u32_e32 v16, v19, v16
	v_dual_add_nc_u32 v15, v31, v15 :: v_dual_add_nc_u32 v14, v32, v14
	s_delay_alu instid0(VALU_DEP_3)
	v_dual_add_nc_u32 v13, v33, v13 :: v_dual_add_nc_u32 v12, v34, v12
	v_dual_add_nc_u32 v10, v29, v10 :: v_dual_add_nc_u32 v11, v30, v11
	;; [unrolled: 1-line block ×6, first 2 shown]
	v_add_nc_u32_e32 v1, v20, v1
	s_add_co_i32 s0, s0, -1
	s_delay_alu instid0(SALU_CYCLE_1)
	s_cmp_lg_u32 s0, 0
	s_barrier_signal -1
	s_barrier_wait -1
	s_cbranch_scc0 .LBB34_5
.LBB34_3:                               ; =>This Inner Loop Header: Depth=1
	v_mov_b32_e32 v19, 0x7b
	s_wait_loadcnt 0x0
	ds_store_b32 v17, v1
	s_wait_dscnt 0x0
	s_barrier_signal -1
	s_barrier_wait -1
	s_and_saveexec_b32 s1, vcc_lo
	s_cbranch_execz .LBB34_2
; %bb.4:                                ;   in Loop: Header=BB34_3 Depth=1
	ds_load_b32 v19, v18
	s_branch .LBB34_2
.LBB34_5:
	s_add_nc_u64 s[0:1], s[6:7], s[2:3]
	s_wait_loadcnt 0xf
	global_store_b32 v0, v16, s[0:1] scale_offset
	s_wait_loadcnt 0xe
	global_store_b32 v0, v15, s[0:1] offset:1024 scale_offset
	s_wait_loadcnt 0xd
	global_store_b32 v0, v14, s[0:1] offset:2048 scale_offset
	;; [unrolled: 2-line block ×15, first 2 shown]
	s_endpgm
	.section	.rodata,"a",@progbits
	.p2align	6, 0x0
	.amdhsa_kernel _Z6kernelI13subtract_leftLj256ELj16ELb1EJPiS1_jEEvDpT3_
		.amdhsa_group_segment_fixed_size 2048
		.amdhsa_private_segment_fixed_size 0
		.amdhsa_kernarg_size 20
		.amdhsa_user_sgpr_count 2
		.amdhsa_user_sgpr_dispatch_ptr 0
		.amdhsa_user_sgpr_queue_ptr 0
		.amdhsa_user_sgpr_kernarg_segment_ptr 1
		.amdhsa_user_sgpr_dispatch_id 0
		.amdhsa_user_sgpr_kernarg_preload_length 0
		.amdhsa_user_sgpr_kernarg_preload_offset 0
		.amdhsa_user_sgpr_private_segment_size 0
		.amdhsa_wavefront_size32 1
		.amdhsa_uses_dynamic_stack 0
		.amdhsa_enable_private_segment 0
		.amdhsa_system_sgpr_workgroup_id_x 1
		.amdhsa_system_sgpr_workgroup_id_y 0
		.amdhsa_system_sgpr_workgroup_id_z 0
		.amdhsa_system_sgpr_workgroup_info 0
		.amdhsa_system_vgpr_workitem_id 0
		.amdhsa_next_free_vgpr 35
		.amdhsa_next_free_sgpr 9
		.amdhsa_named_barrier_count 0
		.amdhsa_reserve_vcc 1
		.amdhsa_float_round_mode_32 0
		.amdhsa_float_round_mode_16_64 0
		.amdhsa_float_denorm_mode_32 3
		.amdhsa_float_denorm_mode_16_64 3
		.amdhsa_fp16_overflow 0
		.amdhsa_memory_ordered 1
		.amdhsa_forward_progress 1
		.amdhsa_inst_pref_size 7
		.amdhsa_round_robin_scheduling 0
		.amdhsa_exception_fp_ieee_invalid_op 0
		.amdhsa_exception_fp_denorm_src 0
		.amdhsa_exception_fp_ieee_div_zero 0
		.amdhsa_exception_fp_ieee_overflow 0
		.amdhsa_exception_fp_ieee_underflow 0
		.amdhsa_exception_fp_ieee_inexact 0
		.amdhsa_exception_int_div_zero 0
	.end_amdhsa_kernel
	.section	.text._Z6kernelI13subtract_leftLj256ELj16ELb1EJPiS1_jEEvDpT3_,"axG",@progbits,_Z6kernelI13subtract_leftLj256ELj16ELb1EJPiS1_jEEvDpT3_,comdat
.Lfunc_end34:
	.size	_Z6kernelI13subtract_leftLj256ELj16ELb1EJPiS1_jEEvDpT3_, .Lfunc_end34-_Z6kernelI13subtract_leftLj256ELj16ELb1EJPiS1_jEEvDpT3_
                                        ; -- End function
	.set _Z6kernelI13subtract_leftLj256ELj16ELb1EJPiS1_jEEvDpT3_.num_vgpr, 35
	.set _Z6kernelI13subtract_leftLj256ELj16ELb1EJPiS1_jEEvDpT3_.num_agpr, 0
	.set _Z6kernelI13subtract_leftLj256ELj16ELb1EJPiS1_jEEvDpT3_.numbered_sgpr, 9
	.set _Z6kernelI13subtract_leftLj256ELj16ELb1EJPiS1_jEEvDpT3_.num_named_barrier, 0
	.set _Z6kernelI13subtract_leftLj256ELj16ELb1EJPiS1_jEEvDpT3_.private_seg_size, 0
	.set _Z6kernelI13subtract_leftLj256ELj16ELb1EJPiS1_jEEvDpT3_.uses_vcc, 1
	.set _Z6kernelI13subtract_leftLj256ELj16ELb1EJPiS1_jEEvDpT3_.uses_flat_scratch, 0
	.set _Z6kernelI13subtract_leftLj256ELj16ELb1EJPiS1_jEEvDpT3_.has_dyn_sized_stack, 0
	.set _Z6kernelI13subtract_leftLj256ELj16ELb1EJPiS1_jEEvDpT3_.has_recursion, 0
	.set _Z6kernelI13subtract_leftLj256ELj16ELb1EJPiS1_jEEvDpT3_.has_indirect_call, 0
	.section	.AMDGPU.csdata,"",@progbits
; Kernel info:
; codeLenInByte = 848
; TotalNumSgprs: 11
; NumVgprs: 35
; ScratchSize: 0
; MemoryBound: 0
; FloatMode: 240
; IeeeMode: 1
; LDSByteSize: 2048 bytes/workgroup (compile time only)
; SGPRBlocks: 0
; VGPRBlocks: 2
; NumSGPRsForWavesPerEU: 11
; NumVGPRsForWavesPerEU: 35
; NamedBarCnt: 0
; Occupancy: 16
; WaveLimiterHint : 1
; COMPUTE_PGM_RSRC2:SCRATCH_EN: 0
; COMPUTE_PGM_RSRC2:USER_SGPR: 2
; COMPUTE_PGM_RSRC2:TRAP_HANDLER: 0
; COMPUTE_PGM_RSRC2:TGID_X_EN: 1
; COMPUTE_PGM_RSRC2:TGID_Y_EN: 0
; COMPUTE_PGM_RSRC2:TGID_Z_EN: 0
; COMPUTE_PGM_RSRC2:TIDIG_COMP_CNT: 0
	.section	.text._Z6kernelI13subtract_leftLj256ELj32ELb1EJPiS1_jEEvDpT3_,"axG",@progbits,_Z6kernelI13subtract_leftLj256ELj32ELb1EJPiS1_jEEvDpT3_,comdat
	.protected	_Z6kernelI13subtract_leftLj256ELj32ELb1EJPiS1_jEEvDpT3_ ; -- Begin function _Z6kernelI13subtract_leftLj256ELj32ELb1EJPiS1_jEEvDpT3_
	.globl	_Z6kernelI13subtract_leftLj256ELj32ELb1EJPiS1_jEEvDpT3_
	.p2align	8
	.type	_Z6kernelI13subtract_leftLj256ELj32ELb1EJPiS1_jEEvDpT3_,@function
_Z6kernelI13subtract_leftLj256ELj32ELb1EJPiS1_jEEvDpT3_: ; @_Z6kernelI13subtract_leftLj256ELj32ELb1EJPiS1_jEEvDpT3_
; %bb.0:
	s_load_b128 s[4:7], s[0:1], 0x0
	s_bfe_u32 s2, ttmp6, 0x4000c
	s_and_b32 s3, ttmp6, 15
	s_add_co_i32 s2, s2, 1
	s_getreg_b32 s8, hwreg(HW_REG_IB_STS2, 6, 4)
	s_mul_i32 s2, ttmp9, s2
	s_wait_xcnt 0x0
	s_load_b32 s0, s[0:1], 0x10
	s_add_co_i32 s3, s3, s2
	s_cmp_eq_u32 s8, 0
	s_cselect_b32 s2, ttmp9, s3
	s_mov_b32 s3, 0
	s_lshl_b32 s2, s2, 13
	s_delay_alu instid0(SALU_CYCLE_1)
	s_lshl_b64 s[2:3], s[2:3], 2
	s_wait_kmcnt 0x0
	s_add_nc_u64 s[4:5], s[4:5], s[2:3]
	s_clause 0x1f
	global_load_b32 v32, v0, s[4:5] scale_offset
	global_load_b32 v31, v0, s[4:5] offset:1024 scale_offset
	global_load_b32 v30, v0, s[4:5] offset:2048 scale_offset
	;; [unrolled: 1-line block ×31, first 2 shown]
	s_cmp_eq_u32 s0, 0
	s_cbranch_scc1 .LBB35_5
; %bb.1:
	v_lshlrev_b32_e32 v33, 2, v0
	v_cmp_ne_u32_e32 vcc_lo, 0, v0
	s_delay_alu instid0(VALU_DEP_2)
	v_add_nc_u32_e32 v34, -4, v33
	s_branch .LBB35_3
.LBB35_2:                               ;   in Loop: Header=BB35_3 Depth=1
	s_or_b32 exec_lo, exec_lo, s1
	s_wait_dscnt 0x0
	v_dual_sub_nc_u32 v58, v23, v24 :: v_dual_sub_nc_u32 v35, v32, v35
	v_dual_sub_nc_u32 v59, v25, v26 :: v_dual_sub_nc_u32 v60, v31, v32
	;; [unrolled: 1-line block ×3, first 2 shown]
	s_delay_alu instid0(VALU_DEP_3)
	v_dual_add_nc_u32 v32, v35, v32 :: v_dual_sub_nc_u32 v35, v29, v30
	v_dual_sub_nc_u32 v36, v1, v2 :: v_dual_sub_nc_u32 v37, v2, v3
	v_dual_sub_nc_u32 v38, v3, v4 :: v_dual_sub_nc_u32 v39, v4, v5
	;; [unrolled: 1-line block ×11, first 2 shown]
	v_dual_add_nc_u32 v31, v60, v31 :: v_dual_add_nc_u32 v30, v62, v30
	v_dual_sub_nc_u32 v60, v28, v29 :: v_dual_sub_nc_u32 v62, v26, v27
	v_add_nc_u32_e32 v29, v35, v29
	v_dual_sub_nc_u32 v35, v24, v25 :: v_dual_add_nc_u32 v27, v61, v27
	s_delay_alu instid0(VALU_DEP_3) | instskip(SKIP_1) | instid1(VALU_DEP_3)
	v_dual_add_nc_u32 v28, v60, v28 :: v_dual_add_nc_u32 v26, v62, v26
	v_add_nc_u32_e32 v25, v59, v25
	v_dual_add_nc_u32 v24, v35, v24 :: v_dual_add_nc_u32 v23, v58, v23
	v_dual_add_nc_u32 v22, v57, v22 :: v_dual_add_nc_u32 v21, v56, v21
	;; [unrolled: 1-line block ×12, first 2 shown]
	s_add_co_i32 s0, s0, -1
	s_delay_alu instid0(SALU_CYCLE_1)
	s_cmp_lg_u32 s0, 0
	s_barrier_signal -1
	s_barrier_wait -1
	s_cbranch_scc0 .LBB35_5
.LBB35_3:                               ; =>This Inner Loop Header: Depth=1
	v_mov_b32_e32 v35, 0x7b
	s_wait_loadcnt 0x0
	ds_store_b32 v33, v1
	s_wait_dscnt 0x0
	s_barrier_signal -1
	s_barrier_wait -1
	s_and_saveexec_b32 s1, vcc_lo
	s_cbranch_execz .LBB35_2
; %bb.4:                                ;   in Loop: Header=BB35_3 Depth=1
	ds_load_b32 v35, v34
	s_branch .LBB35_2
.LBB35_5:
	s_add_nc_u64 s[0:1], s[6:7], s[2:3]
	s_wait_loadcnt 0x1f
	global_store_b32 v0, v32, s[0:1] scale_offset
	s_wait_loadcnt 0x1e
	global_store_b32 v0, v31, s[0:1] offset:1024 scale_offset
	s_wait_loadcnt 0x1d
	global_store_b32 v0, v30, s[0:1] offset:2048 scale_offset
	;; [unrolled: 2-line block ×31, first 2 shown]
	s_endpgm
	.section	.rodata,"a",@progbits
	.p2align	6, 0x0
	.amdhsa_kernel _Z6kernelI13subtract_leftLj256ELj32ELb1EJPiS1_jEEvDpT3_
		.amdhsa_group_segment_fixed_size 2048
		.amdhsa_private_segment_fixed_size 0
		.amdhsa_kernarg_size 20
		.amdhsa_user_sgpr_count 2
		.amdhsa_user_sgpr_dispatch_ptr 0
		.amdhsa_user_sgpr_queue_ptr 0
		.amdhsa_user_sgpr_kernarg_segment_ptr 1
		.amdhsa_user_sgpr_dispatch_id 0
		.amdhsa_user_sgpr_kernarg_preload_length 0
		.amdhsa_user_sgpr_kernarg_preload_offset 0
		.amdhsa_user_sgpr_private_segment_size 0
		.amdhsa_wavefront_size32 1
		.amdhsa_uses_dynamic_stack 0
		.amdhsa_enable_private_segment 0
		.amdhsa_system_sgpr_workgroup_id_x 1
		.amdhsa_system_sgpr_workgroup_id_y 0
		.amdhsa_system_sgpr_workgroup_id_z 0
		.amdhsa_system_sgpr_workgroup_info 0
		.amdhsa_system_vgpr_workitem_id 0
		.amdhsa_next_free_vgpr 63
		.amdhsa_next_free_sgpr 9
		.amdhsa_named_barrier_count 0
		.amdhsa_reserve_vcc 1
		.amdhsa_float_round_mode_32 0
		.amdhsa_float_round_mode_16_64 0
		.amdhsa_float_denorm_mode_32 3
		.amdhsa_float_denorm_mode_16_64 3
		.amdhsa_fp16_overflow 0
		.amdhsa_memory_ordered 1
		.amdhsa_forward_progress 1
		.amdhsa_inst_pref_size 12
		.amdhsa_round_robin_scheduling 0
		.amdhsa_exception_fp_ieee_invalid_op 0
		.amdhsa_exception_fp_denorm_src 0
		.amdhsa_exception_fp_ieee_div_zero 0
		.amdhsa_exception_fp_ieee_overflow 0
		.amdhsa_exception_fp_ieee_underflow 0
		.amdhsa_exception_fp_ieee_inexact 0
		.amdhsa_exception_int_div_zero 0
	.end_amdhsa_kernel
	.section	.text._Z6kernelI13subtract_leftLj256ELj32ELb1EJPiS1_jEEvDpT3_,"axG",@progbits,_Z6kernelI13subtract_leftLj256ELj32ELb1EJPiS1_jEEvDpT3_,comdat
.Lfunc_end35:
	.size	_Z6kernelI13subtract_leftLj256ELj32ELb1EJPiS1_jEEvDpT3_, .Lfunc_end35-_Z6kernelI13subtract_leftLj256ELj32ELb1EJPiS1_jEEvDpT3_
                                        ; -- End function
	.set _Z6kernelI13subtract_leftLj256ELj32ELb1EJPiS1_jEEvDpT3_.num_vgpr, 63
	.set _Z6kernelI13subtract_leftLj256ELj32ELb1EJPiS1_jEEvDpT3_.num_agpr, 0
	.set _Z6kernelI13subtract_leftLj256ELj32ELb1EJPiS1_jEEvDpT3_.numbered_sgpr, 9
	.set _Z6kernelI13subtract_leftLj256ELj32ELb1EJPiS1_jEEvDpT3_.num_named_barrier, 0
	.set _Z6kernelI13subtract_leftLj256ELj32ELb1EJPiS1_jEEvDpT3_.private_seg_size, 0
	.set _Z6kernelI13subtract_leftLj256ELj32ELb1EJPiS1_jEEvDpT3_.uses_vcc, 1
	.set _Z6kernelI13subtract_leftLj256ELj32ELb1EJPiS1_jEEvDpT3_.uses_flat_scratch, 0
	.set _Z6kernelI13subtract_leftLj256ELj32ELb1EJPiS1_jEEvDpT3_.has_dyn_sized_stack, 0
	.set _Z6kernelI13subtract_leftLj256ELj32ELb1EJPiS1_jEEvDpT3_.has_recursion, 0
	.set _Z6kernelI13subtract_leftLj256ELj32ELb1EJPiS1_jEEvDpT3_.has_indirect_call, 0
	.section	.AMDGPU.csdata,"",@progbits
; Kernel info:
; codeLenInByte = 1488
; TotalNumSgprs: 11
; NumVgprs: 63
; ScratchSize: 0
; MemoryBound: 0
; FloatMode: 240
; IeeeMode: 1
; LDSByteSize: 2048 bytes/workgroup (compile time only)
; SGPRBlocks: 0
; VGPRBlocks: 3
; NumSGPRsForWavesPerEU: 11
; NumVGPRsForWavesPerEU: 63
; NamedBarCnt: 0
; Occupancy: 16
; WaveLimiterHint : 1
; COMPUTE_PGM_RSRC2:SCRATCH_EN: 0
; COMPUTE_PGM_RSRC2:USER_SGPR: 2
; COMPUTE_PGM_RSRC2:TRAP_HANDLER: 0
; COMPUTE_PGM_RSRC2:TGID_X_EN: 1
; COMPUTE_PGM_RSRC2:TGID_Y_EN: 0
; COMPUTE_PGM_RSRC2:TGID_Z_EN: 0
; COMPUTE_PGM_RSRC2:TIDIG_COMP_CNT: 0
	.section	.text._Z6kernelI13subtract_leftLj256ELj1ELb1EJPfS1_jEEvDpT3_,"axG",@progbits,_Z6kernelI13subtract_leftLj256ELj1ELb1EJPfS1_jEEvDpT3_,comdat
	.protected	_Z6kernelI13subtract_leftLj256ELj1ELb1EJPfS1_jEEvDpT3_ ; -- Begin function _Z6kernelI13subtract_leftLj256ELj1ELb1EJPfS1_jEEvDpT3_
	.globl	_Z6kernelI13subtract_leftLj256ELj1ELb1EJPfS1_jEEvDpT3_
	.p2align	8
	.type	_Z6kernelI13subtract_leftLj256ELj1ELb1EJPfS1_jEEvDpT3_,@function
_Z6kernelI13subtract_leftLj256ELj1ELb1EJPfS1_jEEvDpT3_: ; @_Z6kernelI13subtract_leftLj256ELj1ELb1EJPfS1_jEEvDpT3_
; %bb.0:
	s_load_b128 s[4:7], s[0:1], 0x0
	s_bfe_u32 s2, ttmp6, 0x4000c
	s_and_b32 s3, ttmp6, 15
	s_add_co_i32 s2, s2, 1
	s_getreg_b32 s8, hwreg(HW_REG_IB_STS2, 6, 4)
	s_mul_i32 s2, ttmp9, s2
	s_wait_xcnt 0x0
	s_load_b32 s0, s[0:1], 0x10
	s_add_co_i32 s3, s3, s2
	s_cmp_eq_u32 s8, 0
	s_cselect_b32 s2, ttmp9, s3
	s_mov_b32 s3, 0
	s_lshl_b32 s2, s2, 8
	s_delay_alu instid0(SALU_CYCLE_1)
	s_lshl_b64 s[2:3], s[2:3], 2
	s_wait_kmcnt 0x0
	s_add_nc_u64 s[4:5], s[4:5], s[2:3]
	global_load_b32 v1, v0, s[4:5] scale_offset
	s_cmp_eq_u32 s0, 0
	s_cbranch_scc1 .LBB36_5
; %bb.1:
	v_lshlrev_b32_e32 v2, 2, v0
	v_cmp_ne_u32_e32 vcc_lo, 0, v0
	s_delay_alu instid0(VALU_DEP_2)
	v_add_nc_u32_e32 v3, -4, v2
	s_branch .LBB36_3
.LBB36_2:                               ;   in Loop: Header=BB36_3 Depth=1
	s_or_b32 exec_lo, exec_lo, s1
	s_wait_dscnt 0x0
	v_sub_f32_e32 v4, v1, v4
	s_add_co_i32 s0, s0, -1
	s_delay_alu instid0(SALU_CYCLE_1) | instskip(SKIP_1) | instid1(VALU_DEP_1)
	s_cmp_lg_u32 s0, 0
	s_barrier_signal -1
	v_add_f32_e32 v1, v1, v4
	s_barrier_wait -1
	s_cbranch_scc0 .LBB36_5
.LBB36_3:                               ; =>This Inner Loop Header: Depth=1
	v_mov_b32_e32 v4, 0x42f60000
	s_wait_loadcnt 0x0
	ds_store_b32 v2, v1
	s_wait_dscnt 0x0
	s_barrier_signal -1
	s_barrier_wait -1
	s_and_saveexec_b32 s1, vcc_lo
	s_cbranch_execz .LBB36_2
; %bb.4:                                ;   in Loop: Header=BB36_3 Depth=1
	ds_load_b32 v4, v3
	s_branch .LBB36_2
.LBB36_5:
	s_add_nc_u64 s[0:1], s[6:7], s[2:3]
	s_wait_loadcnt 0x0
	global_store_b32 v0, v1, s[0:1] scale_offset
	s_endpgm
	.section	.rodata,"a",@progbits
	.p2align	6, 0x0
	.amdhsa_kernel _Z6kernelI13subtract_leftLj256ELj1ELb1EJPfS1_jEEvDpT3_
		.amdhsa_group_segment_fixed_size 2048
		.amdhsa_private_segment_fixed_size 0
		.amdhsa_kernarg_size 20
		.amdhsa_user_sgpr_count 2
		.amdhsa_user_sgpr_dispatch_ptr 0
		.amdhsa_user_sgpr_queue_ptr 0
		.amdhsa_user_sgpr_kernarg_segment_ptr 1
		.amdhsa_user_sgpr_dispatch_id 0
		.amdhsa_user_sgpr_kernarg_preload_length 0
		.amdhsa_user_sgpr_kernarg_preload_offset 0
		.amdhsa_user_sgpr_private_segment_size 0
		.amdhsa_wavefront_size32 1
		.amdhsa_uses_dynamic_stack 0
		.amdhsa_enable_private_segment 0
		.amdhsa_system_sgpr_workgroup_id_x 1
		.amdhsa_system_sgpr_workgroup_id_y 0
		.amdhsa_system_sgpr_workgroup_id_z 0
		.amdhsa_system_sgpr_workgroup_info 0
		.amdhsa_system_vgpr_workitem_id 0
		.amdhsa_next_free_vgpr 5
		.amdhsa_next_free_sgpr 9
		.amdhsa_named_barrier_count 0
		.amdhsa_reserve_vcc 1
		.amdhsa_float_round_mode_32 0
		.amdhsa_float_round_mode_16_64 0
		.amdhsa_float_denorm_mode_32 3
		.amdhsa_float_denorm_mode_16_64 3
		.amdhsa_fp16_overflow 0
		.amdhsa_memory_ordered 1
		.amdhsa_forward_progress 1
		.amdhsa_inst_pref_size 2
		.amdhsa_round_robin_scheduling 0
		.amdhsa_exception_fp_ieee_invalid_op 0
		.amdhsa_exception_fp_denorm_src 0
		.amdhsa_exception_fp_ieee_div_zero 0
		.amdhsa_exception_fp_ieee_overflow 0
		.amdhsa_exception_fp_ieee_underflow 0
		.amdhsa_exception_fp_ieee_inexact 0
		.amdhsa_exception_int_div_zero 0
	.end_amdhsa_kernel
	.section	.text._Z6kernelI13subtract_leftLj256ELj1ELb1EJPfS1_jEEvDpT3_,"axG",@progbits,_Z6kernelI13subtract_leftLj256ELj1ELb1EJPfS1_jEEvDpT3_,comdat
.Lfunc_end36:
	.size	_Z6kernelI13subtract_leftLj256ELj1ELb1EJPfS1_jEEvDpT3_, .Lfunc_end36-_Z6kernelI13subtract_leftLj256ELj1ELb1EJPfS1_jEEvDpT3_
                                        ; -- End function
	.set _Z6kernelI13subtract_leftLj256ELj1ELb1EJPfS1_jEEvDpT3_.num_vgpr, 5
	.set _Z6kernelI13subtract_leftLj256ELj1ELb1EJPfS1_jEEvDpT3_.num_agpr, 0
	.set _Z6kernelI13subtract_leftLj256ELj1ELb1EJPfS1_jEEvDpT3_.numbered_sgpr, 9
	.set _Z6kernelI13subtract_leftLj256ELj1ELb1EJPfS1_jEEvDpT3_.num_named_barrier, 0
	.set _Z6kernelI13subtract_leftLj256ELj1ELb1EJPfS1_jEEvDpT3_.private_seg_size, 0
	.set _Z6kernelI13subtract_leftLj256ELj1ELb1EJPfS1_jEEvDpT3_.uses_vcc, 1
	.set _Z6kernelI13subtract_leftLj256ELj1ELb1EJPfS1_jEEvDpT3_.uses_flat_scratch, 0
	.set _Z6kernelI13subtract_leftLj256ELj1ELb1EJPfS1_jEEvDpT3_.has_dyn_sized_stack, 0
	.set _Z6kernelI13subtract_leftLj256ELj1ELb1EJPfS1_jEEvDpT3_.has_recursion, 0
	.set _Z6kernelI13subtract_leftLj256ELj1ELb1EJPfS1_jEEvDpT3_.has_indirect_call, 0
	.section	.AMDGPU.csdata,"",@progbits
; Kernel info:
; codeLenInByte = 236
; TotalNumSgprs: 11
; NumVgprs: 5
; ScratchSize: 0
; MemoryBound: 0
; FloatMode: 240
; IeeeMode: 1
; LDSByteSize: 2048 bytes/workgroup (compile time only)
; SGPRBlocks: 0
; VGPRBlocks: 0
; NumSGPRsForWavesPerEU: 11
; NumVGPRsForWavesPerEU: 5
; NamedBarCnt: 0
; Occupancy: 16
; WaveLimiterHint : 0
; COMPUTE_PGM_RSRC2:SCRATCH_EN: 0
; COMPUTE_PGM_RSRC2:USER_SGPR: 2
; COMPUTE_PGM_RSRC2:TRAP_HANDLER: 0
; COMPUTE_PGM_RSRC2:TGID_X_EN: 1
; COMPUTE_PGM_RSRC2:TGID_Y_EN: 0
; COMPUTE_PGM_RSRC2:TGID_Z_EN: 0
; COMPUTE_PGM_RSRC2:TIDIG_COMP_CNT: 0
	.section	.text._Z6kernelI13subtract_leftLj256ELj3ELb1EJPfS1_jEEvDpT3_,"axG",@progbits,_Z6kernelI13subtract_leftLj256ELj3ELb1EJPfS1_jEEvDpT3_,comdat
	.protected	_Z6kernelI13subtract_leftLj256ELj3ELb1EJPfS1_jEEvDpT3_ ; -- Begin function _Z6kernelI13subtract_leftLj256ELj3ELb1EJPfS1_jEEvDpT3_
	.globl	_Z6kernelI13subtract_leftLj256ELj3ELb1EJPfS1_jEEvDpT3_
	.p2align	8
	.type	_Z6kernelI13subtract_leftLj256ELj3ELb1EJPfS1_jEEvDpT3_,@function
_Z6kernelI13subtract_leftLj256ELj3ELb1EJPfS1_jEEvDpT3_: ; @_Z6kernelI13subtract_leftLj256ELj3ELb1EJPfS1_jEEvDpT3_
; %bb.0:
	s_load_b128 s[4:7], s[0:1], 0x0
	s_bfe_u32 s2, ttmp6, 0x4000c
	s_and_b32 s3, ttmp6, 15
	s_add_co_i32 s2, s2, 1
	s_getreg_b32 s8, hwreg(HW_REG_IB_STS2, 6, 4)
	s_mul_i32 s2, ttmp9, s2
	s_wait_xcnt 0x0
	s_load_b32 s0, s[0:1], 0x10
	s_add_co_i32 s3, s3, s2
	s_cmp_eq_u32 s8, 0
	s_cselect_b32 s2, ttmp9, s3
	s_mov_b32 s3, 0
	s_mulk_i32 s2, 0x300
	s_delay_alu instid0(SALU_CYCLE_1)
	s_lshl_b64 s[2:3], s[2:3], 2
	s_wait_kmcnt 0x0
	s_add_nc_u64 s[4:5], s[4:5], s[2:3]
	s_clause 0x2
	global_load_b32 v2, v0, s[4:5] scale_offset
	global_load_b32 v3, v0, s[4:5] offset:1024 scale_offset
	global_load_b32 v1, v0, s[4:5] offset:2048 scale_offset
	s_cmp_eq_u32 s0, 0
	s_cbranch_scc1 .LBB37_5
; %bb.1:
	v_lshlrev_b32_e32 v4, 2, v0
	v_cmp_ne_u32_e32 vcc_lo, 0, v0
	s_delay_alu instid0(VALU_DEP_2)
	v_add_nc_u32_e32 v5, -4, v4
	s_branch .LBB37_3
.LBB37_2:                               ;   in Loop: Header=BB37_3 Depth=1
	s_or_b32 exec_lo, exec_lo, s1
	v_dual_sub_f32 v7, v3, v2 :: v_dual_sub_f32 v8, v1, v3
	s_wait_dscnt 0x0
	v_sub_f32_e32 v6, v2, v6
	s_add_co_i32 s0, s0, -1
	s_delay_alu instid0(SALU_CYCLE_1) | instskip(SKIP_1) | instid1(VALU_DEP_2)
	s_cmp_lg_u32 s0, 0
	v_add_f32_e32 v1, v1, v8
	v_pk_add_f32 v[2:3], v[2:3], v[6:7]
	s_barrier_signal -1
	s_barrier_wait -1
	s_cbranch_scc0 .LBB37_5
.LBB37_3:                               ; =>This Inner Loop Header: Depth=1
	v_mov_b32_e32 v6, 0x42f60000
	s_wait_loadcnt 0x0
	ds_store_b32 v4, v1
	s_wait_dscnt 0x0
	s_barrier_signal -1
	s_barrier_wait -1
	s_and_saveexec_b32 s1, vcc_lo
	s_cbranch_execz .LBB37_2
; %bb.4:                                ;   in Loop: Header=BB37_3 Depth=1
	ds_load_b32 v6, v5
	s_branch .LBB37_2
.LBB37_5:
	s_add_nc_u64 s[0:1], s[6:7], s[2:3]
	s_wait_loadcnt 0x2
	global_store_b32 v0, v2, s[0:1] scale_offset
	s_wait_loadcnt 0x1
	global_store_b32 v0, v3, s[0:1] offset:1024 scale_offset
	s_wait_loadcnt 0x0
	global_store_b32 v0, v1, s[0:1] offset:2048 scale_offset
	s_endpgm
	.section	.rodata,"a",@progbits
	.p2align	6, 0x0
	.amdhsa_kernel _Z6kernelI13subtract_leftLj256ELj3ELb1EJPfS1_jEEvDpT3_
		.amdhsa_group_segment_fixed_size 2048
		.amdhsa_private_segment_fixed_size 0
		.amdhsa_kernarg_size 20
		.amdhsa_user_sgpr_count 2
		.amdhsa_user_sgpr_dispatch_ptr 0
		.amdhsa_user_sgpr_queue_ptr 0
		.amdhsa_user_sgpr_kernarg_segment_ptr 1
		.amdhsa_user_sgpr_dispatch_id 0
		.amdhsa_user_sgpr_kernarg_preload_length 0
		.amdhsa_user_sgpr_kernarg_preload_offset 0
		.amdhsa_user_sgpr_private_segment_size 0
		.amdhsa_wavefront_size32 1
		.amdhsa_uses_dynamic_stack 0
		.amdhsa_enable_private_segment 0
		.amdhsa_system_sgpr_workgroup_id_x 1
		.amdhsa_system_sgpr_workgroup_id_y 0
		.amdhsa_system_sgpr_workgroup_id_z 0
		.amdhsa_system_sgpr_workgroup_info 0
		.amdhsa_system_vgpr_workitem_id 0
		.amdhsa_next_free_vgpr 9
		.amdhsa_next_free_sgpr 9
		.amdhsa_named_barrier_count 0
		.amdhsa_reserve_vcc 1
		.amdhsa_float_round_mode_32 0
		.amdhsa_float_round_mode_16_64 0
		.amdhsa_float_denorm_mode_32 3
		.amdhsa_float_denorm_mode_16_64 3
		.amdhsa_fp16_overflow 0
		.amdhsa_memory_ordered 1
		.amdhsa_forward_progress 1
		.amdhsa_inst_pref_size 3
		.amdhsa_round_robin_scheduling 0
		.amdhsa_exception_fp_ieee_invalid_op 0
		.amdhsa_exception_fp_denorm_src 0
		.amdhsa_exception_fp_ieee_div_zero 0
		.amdhsa_exception_fp_ieee_overflow 0
		.amdhsa_exception_fp_ieee_underflow 0
		.amdhsa_exception_fp_ieee_inexact 0
		.amdhsa_exception_int_div_zero 0
	.end_amdhsa_kernel
	.section	.text._Z6kernelI13subtract_leftLj256ELj3ELb1EJPfS1_jEEvDpT3_,"axG",@progbits,_Z6kernelI13subtract_leftLj256ELj3ELb1EJPfS1_jEEvDpT3_,comdat
.Lfunc_end37:
	.size	_Z6kernelI13subtract_leftLj256ELj3ELb1EJPfS1_jEEvDpT3_, .Lfunc_end37-_Z6kernelI13subtract_leftLj256ELj3ELb1EJPfS1_jEEvDpT3_
                                        ; -- End function
	.set _Z6kernelI13subtract_leftLj256ELj3ELb1EJPfS1_jEEvDpT3_.num_vgpr, 9
	.set _Z6kernelI13subtract_leftLj256ELj3ELb1EJPfS1_jEEvDpT3_.num_agpr, 0
	.set _Z6kernelI13subtract_leftLj256ELj3ELb1EJPfS1_jEEvDpT3_.numbered_sgpr, 9
	.set _Z6kernelI13subtract_leftLj256ELj3ELb1EJPfS1_jEEvDpT3_.num_named_barrier, 0
	.set _Z6kernelI13subtract_leftLj256ELj3ELb1EJPfS1_jEEvDpT3_.private_seg_size, 0
	.set _Z6kernelI13subtract_leftLj256ELj3ELb1EJPfS1_jEEvDpT3_.uses_vcc, 1
	.set _Z6kernelI13subtract_leftLj256ELj3ELb1EJPfS1_jEEvDpT3_.uses_flat_scratch, 0
	.set _Z6kernelI13subtract_leftLj256ELj3ELb1EJPfS1_jEEvDpT3_.has_dyn_sized_stack, 0
	.set _Z6kernelI13subtract_leftLj256ELj3ELb1EJPfS1_jEEvDpT3_.has_recursion, 0
	.set _Z6kernelI13subtract_leftLj256ELj3ELb1EJPfS1_jEEvDpT3_.has_indirect_call, 0
	.section	.AMDGPU.csdata,"",@progbits
; Kernel info:
; codeLenInByte = 312
; TotalNumSgprs: 11
; NumVgprs: 9
; ScratchSize: 0
; MemoryBound: 0
; FloatMode: 240
; IeeeMode: 1
; LDSByteSize: 2048 bytes/workgroup (compile time only)
; SGPRBlocks: 0
; VGPRBlocks: 0
; NumSGPRsForWavesPerEU: 11
; NumVGPRsForWavesPerEU: 9
; NamedBarCnt: 0
; Occupancy: 16
; WaveLimiterHint : 1
; COMPUTE_PGM_RSRC2:SCRATCH_EN: 0
; COMPUTE_PGM_RSRC2:USER_SGPR: 2
; COMPUTE_PGM_RSRC2:TRAP_HANDLER: 0
; COMPUTE_PGM_RSRC2:TGID_X_EN: 1
; COMPUTE_PGM_RSRC2:TGID_Y_EN: 0
; COMPUTE_PGM_RSRC2:TGID_Z_EN: 0
; COMPUTE_PGM_RSRC2:TIDIG_COMP_CNT: 0
	.section	.text._Z6kernelI13subtract_leftLj256ELj4ELb1EJPfS1_jEEvDpT3_,"axG",@progbits,_Z6kernelI13subtract_leftLj256ELj4ELb1EJPfS1_jEEvDpT3_,comdat
	.protected	_Z6kernelI13subtract_leftLj256ELj4ELb1EJPfS1_jEEvDpT3_ ; -- Begin function _Z6kernelI13subtract_leftLj256ELj4ELb1EJPfS1_jEEvDpT3_
	.globl	_Z6kernelI13subtract_leftLj256ELj4ELb1EJPfS1_jEEvDpT3_
	.p2align	8
	.type	_Z6kernelI13subtract_leftLj256ELj4ELb1EJPfS1_jEEvDpT3_,@function
_Z6kernelI13subtract_leftLj256ELj4ELb1EJPfS1_jEEvDpT3_: ; @_Z6kernelI13subtract_leftLj256ELj4ELb1EJPfS1_jEEvDpT3_
; %bb.0:
	s_load_b128 s[4:7], s[0:1], 0x0
	s_bfe_u32 s2, ttmp6, 0x4000c
	s_and_b32 s3, ttmp6, 15
	s_add_co_i32 s2, s2, 1
	s_getreg_b32 s8, hwreg(HW_REG_IB_STS2, 6, 4)
	s_mul_i32 s2, ttmp9, s2
	s_wait_xcnt 0x0
	s_load_b32 s0, s[0:1], 0x10
	s_add_co_i32 s3, s3, s2
	s_cmp_eq_u32 s8, 0
	s_cselect_b32 s2, ttmp9, s3
	s_mov_b32 s3, 0
	s_lshl_b32 s2, s2, 10
	s_delay_alu instid0(SALU_CYCLE_1)
	s_lshl_b64 s[2:3], s[2:3], 2
	s_wait_kmcnt 0x0
	s_add_nc_u64 s[4:5], s[4:5], s[2:3]
	s_clause 0x3
	global_load_b32 v4, v0, s[4:5] scale_offset
	global_load_b32 v6, v0, s[4:5] offset:1024 scale_offset
	global_load_b32 v2, v0, s[4:5] offset:2048 scale_offset
	;; [unrolled: 1-line block ×3, first 2 shown]
	s_cmp_eq_u32 s0, 0
	s_cbranch_scc1 .LBB38_5
; %bb.1:
	v_lshlrev_b32_e32 v1, 2, v0
	v_cmp_ne_u32_e32 vcc_lo, 0, v0
	s_delay_alu instid0(VALU_DEP_2)
	v_add_nc_u32_e32 v8, -4, v1
	s_branch .LBB38_3
.LBB38_2:                               ;   in Loop: Header=BB38_3 Depth=1
	s_or_b32 exec_lo, exec_lo, s1
	s_wait_dscnt 0x0
	v_dual_mov_b32 v7, v2 :: v_dual_sub_f32 v10, v4, v5
	v_dual_sub_f32 v11, v6, v4 :: v_dual_mov_b32 v5, v6
	s_add_co_i32 s0, s0, -1
	s_delay_alu instid0(VALU_DEP_2) | instskip(SKIP_1) | instid1(VALU_DEP_2)
	v_pk_add_f32 v[6:7], v[2:3], v[6:7] neg_lo:[0,1] neg_hi:[0,1]
	s_cmp_lg_u32 s0, 0
	v_pk_add_f32 v[4:5], v[4:5], v[10:11]
	s_barrier_signal -1
	s_delay_alu instid0(VALU_DEP_2) | instskip(SKIP_1) | instid1(VALU_DEP_2)
	v_pk_add_f32 v[2:3], v[2:3], v[6:7]
	s_barrier_wait -1
	v_mov_b32_e32 v6, v5
	s_cbranch_scc0 .LBB38_5
.LBB38_3:                               ; =>This Inner Loop Header: Depth=1
	v_mov_b32_e32 v5, 0x42f60000
	s_wait_loadcnt 0x0
	ds_store_b32 v1, v3
	s_wait_dscnt 0x0
	s_barrier_signal -1
	s_barrier_wait -1
	s_and_saveexec_b32 s1, vcc_lo
	s_cbranch_execz .LBB38_2
; %bb.4:                                ;   in Loop: Header=BB38_3 Depth=1
	ds_load_b32 v5, v8
	s_branch .LBB38_2
.LBB38_5:
	s_add_nc_u64 s[0:1], s[6:7], s[2:3]
	s_wait_loadcnt 0x3
	global_store_b32 v0, v4, s[0:1] scale_offset
	s_wait_loadcnt 0x2
	global_store_b32 v0, v6, s[0:1] offset:1024 scale_offset
	s_wait_loadcnt 0x1
	global_store_b32 v0, v2, s[0:1] offset:2048 scale_offset
	;; [unrolled: 2-line block ×3, first 2 shown]
	s_endpgm
	.section	.rodata,"a",@progbits
	.p2align	6, 0x0
	.amdhsa_kernel _Z6kernelI13subtract_leftLj256ELj4ELb1EJPfS1_jEEvDpT3_
		.amdhsa_group_segment_fixed_size 2048
		.amdhsa_private_segment_fixed_size 0
		.amdhsa_kernarg_size 20
		.amdhsa_user_sgpr_count 2
		.amdhsa_user_sgpr_dispatch_ptr 0
		.amdhsa_user_sgpr_queue_ptr 0
		.amdhsa_user_sgpr_kernarg_segment_ptr 1
		.amdhsa_user_sgpr_dispatch_id 0
		.amdhsa_user_sgpr_kernarg_preload_length 0
		.amdhsa_user_sgpr_kernarg_preload_offset 0
		.amdhsa_user_sgpr_private_segment_size 0
		.amdhsa_wavefront_size32 1
		.amdhsa_uses_dynamic_stack 0
		.amdhsa_enable_private_segment 0
		.amdhsa_system_sgpr_workgroup_id_x 1
		.amdhsa_system_sgpr_workgroup_id_y 0
		.amdhsa_system_sgpr_workgroup_id_z 0
		.amdhsa_system_sgpr_workgroup_info 0
		.amdhsa_system_vgpr_workitem_id 0
		.amdhsa_next_free_vgpr 12
		.amdhsa_next_free_sgpr 9
		.amdhsa_named_barrier_count 0
		.amdhsa_reserve_vcc 1
		.amdhsa_float_round_mode_32 0
		.amdhsa_float_round_mode_16_64 0
		.amdhsa_float_denorm_mode_32 3
		.amdhsa_float_denorm_mode_16_64 3
		.amdhsa_fp16_overflow 0
		.amdhsa_memory_ordered 1
		.amdhsa_forward_progress 1
		.amdhsa_inst_pref_size 3
		.amdhsa_round_robin_scheduling 0
		.amdhsa_exception_fp_ieee_invalid_op 0
		.amdhsa_exception_fp_denorm_src 0
		.amdhsa_exception_fp_ieee_div_zero 0
		.amdhsa_exception_fp_ieee_overflow 0
		.amdhsa_exception_fp_ieee_underflow 0
		.amdhsa_exception_fp_ieee_inexact 0
		.amdhsa_exception_int_div_zero 0
	.end_amdhsa_kernel
	.section	.text._Z6kernelI13subtract_leftLj256ELj4ELb1EJPfS1_jEEvDpT3_,"axG",@progbits,_Z6kernelI13subtract_leftLj256ELj4ELb1EJPfS1_jEEvDpT3_,comdat
.Lfunc_end38:
	.size	_Z6kernelI13subtract_leftLj256ELj4ELb1EJPfS1_jEEvDpT3_, .Lfunc_end38-_Z6kernelI13subtract_leftLj256ELj4ELb1EJPfS1_jEEvDpT3_
                                        ; -- End function
	.set _Z6kernelI13subtract_leftLj256ELj4ELb1EJPfS1_jEEvDpT3_.num_vgpr, 12
	.set _Z6kernelI13subtract_leftLj256ELj4ELb1EJPfS1_jEEvDpT3_.num_agpr, 0
	.set _Z6kernelI13subtract_leftLj256ELj4ELb1EJPfS1_jEEvDpT3_.numbered_sgpr, 9
	.set _Z6kernelI13subtract_leftLj256ELj4ELb1EJPfS1_jEEvDpT3_.num_named_barrier, 0
	.set _Z6kernelI13subtract_leftLj256ELj4ELb1EJPfS1_jEEvDpT3_.private_seg_size, 0
	.set _Z6kernelI13subtract_leftLj256ELj4ELb1EJPfS1_jEEvDpT3_.uses_vcc, 1
	.set _Z6kernelI13subtract_leftLj256ELj4ELb1EJPfS1_jEEvDpT3_.uses_flat_scratch, 0
	.set _Z6kernelI13subtract_leftLj256ELj4ELb1EJPfS1_jEEvDpT3_.has_dyn_sized_stack, 0
	.set _Z6kernelI13subtract_leftLj256ELj4ELb1EJPfS1_jEEvDpT3_.has_recursion, 0
	.set _Z6kernelI13subtract_leftLj256ELj4ELb1EJPfS1_jEEvDpT3_.has_indirect_call, 0
	.section	.AMDGPU.csdata,"",@progbits
; Kernel info:
; codeLenInByte = 368
; TotalNumSgprs: 11
; NumVgprs: 12
; ScratchSize: 0
; MemoryBound: 0
; FloatMode: 240
; IeeeMode: 1
; LDSByteSize: 2048 bytes/workgroup (compile time only)
; SGPRBlocks: 0
; VGPRBlocks: 0
; NumSGPRsForWavesPerEU: 11
; NumVGPRsForWavesPerEU: 12
; NamedBarCnt: 0
; Occupancy: 16
; WaveLimiterHint : 1
; COMPUTE_PGM_RSRC2:SCRATCH_EN: 0
; COMPUTE_PGM_RSRC2:USER_SGPR: 2
; COMPUTE_PGM_RSRC2:TRAP_HANDLER: 0
; COMPUTE_PGM_RSRC2:TGID_X_EN: 1
; COMPUTE_PGM_RSRC2:TGID_Y_EN: 0
; COMPUTE_PGM_RSRC2:TGID_Z_EN: 0
; COMPUTE_PGM_RSRC2:TIDIG_COMP_CNT: 0
	.section	.text._Z6kernelI13subtract_leftLj256ELj8ELb1EJPfS1_jEEvDpT3_,"axG",@progbits,_Z6kernelI13subtract_leftLj256ELj8ELb1EJPfS1_jEEvDpT3_,comdat
	.protected	_Z6kernelI13subtract_leftLj256ELj8ELb1EJPfS1_jEEvDpT3_ ; -- Begin function _Z6kernelI13subtract_leftLj256ELj8ELb1EJPfS1_jEEvDpT3_
	.globl	_Z6kernelI13subtract_leftLj256ELj8ELb1EJPfS1_jEEvDpT3_
	.p2align	8
	.type	_Z6kernelI13subtract_leftLj256ELj8ELb1EJPfS1_jEEvDpT3_,@function
_Z6kernelI13subtract_leftLj256ELj8ELb1EJPfS1_jEEvDpT3_: ; @_Z6kernelI13subtract_leftLj256ELj8ELb1EJPfS1_jEEvDpT3_
; %bb.0:
	s_load_b128 s[4:7], s[0:1], 0x0
	s_bfe_u32 s2, ttmp6, 0x4000c
	s_and_b32 s3, ttmp6, 15
	s_add_co_i32 s2, s2, 1
	s_getreg_b32 s8, hwreg(HW_REG_IB_STS2, 6, 4)
	s_mul_i32 s2, ttmp9, s2
	s_wait_xcnt 0x0
	s_load_b32 s0, s[0:1], 0x10
	s_add_co_i32 s3, s3, s2
	s_cmp_eq_u32 s8, 0
	s_cselect_b32 s2, ttmp9, s3
	s_mov_b32 s3, 0
	s_lshl_b32 s2, s2, 11
	s_delay_alu instid0(SALU_CYCLE_1)
	s_lshl_b64 s[2:3], s[2:3], 2
	s_wait_kmcnt 0x0
	s_add_nc_u64 s[4:5], s[4:5], s[2:3]
	s_clause 0x7
	global_load_b32 v4, v0, s[4:5] scale_offset
	global_load_b32 v10, v0, s[4:5] offset:1024 scale_offset
	global_load_b32 v6, v0, s[4:5] offset:2048 scale_offset
	;; [unrolled: 1-line block ×7, first 2 shown]
	s_cmp_eq_u32 s0, 0
	s_cbranch_scc1 .LBB39_5
; %bb.1:
	v_lshlrev_b32_e32 v1, 2, v0
	v_cmp_ne_u32_e32 vcc_lo, 0, v0
	s_delay_alu instid0(VALU_DEP_2)
	v_add_nc_u32_e32 v16, -4, v1
	s_branch .LBB39_3
.LBB39_2:                               ;   in Loop: Header=BB39_3 Depth=1
	s_or_b32 exec_lo, exec_lo, s1
	v_dual_mov_b32 v15, v2 :: v_dual_mov_b32 v9, v14
	v_dual_mov_b32 v7, v12 :: v_dual_mov_b32 v11, v6
	v_dual_mov_b32 v13, v8 :: v_dual_sub_f32 v19, v10, v4
	s_wait_dscnt 0x0
	v_dual_sub_f32 v18, v4, v5 :: v_dual_mov_b32 v5, v10
	s_delay_alu instid0(VALU_DEP_3) | instskip(NEXT) | instid1(VALU_DEP_3)
	v_pk_add_f32 v[10:11], v[6:7], v[10:11] neg_lo:[0,1] neg_hi:[0,1]
	v_pk_add_f32 v[12:13], v[8:9], v[12:13] neg_lo:[0,1] neg_hi:[0,1]
	;; [unrolled: 1-line block ×3, first 2 shown]
	s_add_co_i32 s0, s0, -1
	v_pk_add_f32 v[4:5], v[4:5], v[18:19]
	v_pk_add_f32 v[6:7], v[6:7], v[10:11]
	;; [unrolled: 1-line block ×4, first 2 shown]
	s_cmp_lg_u32 s0, 0
	s_delay_alu instid0(VALU_DEP_3) | instskip(NEXT) | instid1(VALU_DEP_3)
	v_dual_mov_b32 v10, v5 :: v_dual_mov_b32 v12, v7
	v_mov_b32_e32 v14, v9
	s_barrier_signal -1
	s_barrier_wait -1
	s_cbranch_scc0 .LBB39_5
.LBB39_3:                               ; =>This Inner Loop Header: Depth=1
	v_mov_b32_e32 v5, 0x42f60000
	s_wait_loadcnt 0x0
	ds_store_b32 v1, v3
	s_wait_dscnt 0x0
	s_barrier_signal -1
	s_barrier_wait -1
	s_and_saveexec_b32 s1, vcc_lo
	s_cbranch_execz .LBB39_2
; %bb.4:                                ;   in Loop: Header=BB39_3 Depth=1
	ds_load_b32 v5, v16
	s_branch .LBB39_2
.LBB39_5:
	s_add_nc_u64 s[0:1], s[6:7], s[2:3]
	s_wait_loadcnt 0x7
	global_store_b32 v0, v4, s[0:1] scale_offset
	s_wait_loadcnt 0x6
	global_store_b32 v0, v10, s[0:1] offset:1024 scale_offset
	s_wait_loadcnt 0x5
	global_store_b32 v0, v6, s[0:1] offset:2048 scale_offset
	;; [unrolled: 2-line block ×7, first 2 shown]
	s_endpgm
	.section	.rodata,"a",@progbits
	.p2align	6, 0x0
	.amdhsa_kernel _Z6kernelI13subtract_leftLj256ELj8ELb1EJPfS1_jEEvDpT3_
		.amdhsa_group_segment_fixed_size 2048
		.amdhsa_private_segment_fixed_size 0
		.amdhsa_kernarg_size 20
		.amdhsa_user_sgpr_count 2
		.amdhsa_user_sgpr_dispatch_ptr 0
		.amdhsa_user_sgpr_queue_ptr 0
		.amdhsa_user_sgpr_kernarg_segment_ptr 1
		.amdhsa_user_sgpr_dispatch_id 0
		.amdhsa_user_sgpr_kernarg_preload_length 0
		.amdhsa_user_sgpr_kernarg_preload_offset 0
		.amdhsa_user_sgpr_private_segment_size 0
		.amdhsa_wavefront_size32 1
		.amdhsa_uses_dynamic_stack 0
		.amdhsa_enable_private_segment 0
		.amdhsa_system_sgpr_workgroup_id_x 1
		.amdhsa_system_sgpr_workgroup_id_y 0
		.amdhsa_system_sgpr_workgroup_id_z 0
		.amdhsa_system_sgpr_workgroup_info 0
		.amdhsa_system_vgpr_workitem_id 0
		.amdhsa_next_free_vgpr 20
		.amdhsa_next_free_sgpr 9
		.amdhsa_named_barrier_count 0
		.amdhsa_reserve_vcc 1
		.amdhsa_float_round_mode_32 0
		.amdhsa_float_round_mode_16_64 0
		.amdhsa_float_denorm_mode_32 3
		.amdhsa_float_denorm_mode_16_64 3
		.amdhsa_fp16_overflow 0
		.amdhsa_memory_ordered 1
		.amdhsa_forward_progress 1
		.amdhsa_inst_pref_size 5
		.amdhsa_round_robin_scheduling 0
		.amdhsa_exception_fp_ieee_invalid_op 0
		.amdhsa_exception_fp_denorm_src 0
		.amdhsa_exception_fp_ieee_div_zero 0
		.amdhsa_exception_fp_ieee_overflow 0
		.amdhsa_exception_fp_ieee_underflow 0
		.amdhsa_exception_fp_ieee_inexact 0
		.amdhsa_exception_int_div_zero 0
	.end_amdhsa_kernel
	.section	.text._Z6kernelI13subtract_leftLj256ELj8ELb1EJPfS1_jEEvDpT3_,"axG",@progbits,_Z6kernelI13subtract_leftLj256ELj8ELb1EJPfS1_jEEvDpT3_,comdat
.Lfunc_end39:
	.size	_Z6kernelI13subtract_leftLj256ELj8ELb1EJPfS1_jEEvDpT3_, .Lfunc_end39-_Z6kernelI13subtract_leftLj256ELj8ELb1EJPfS1_jEEvDpT3_
                                        ; -- End function
	.set _Z6kernelI13subtract_leftLj256ELj8ELb1EJPfS1_jEEvDpT3_.num_vgpr, 20
	.set _Z6kernelI13subtract_leftLj256ELj8ELb1EJPfS1_jEEvDpT3_.num_agpr, 0
	.set _Z6kernelI13subtract_leftLj256ELj8ELb1EJPfS1_jEEvDpT3_.numbered_sgpr, 9
	.set _Z6kernelI13subtract_leftLj256ELj8ELb1EJPfS1_jEEvDpT3_.num_named_barrier, 0
	.set _Z6kernelI13subtract_leftLj256ELj8ELb1EJPfS1_jEEvDpT3_.private_seg_size, 0
	.set _Z6kernelI13subtract_leftLj256ELj8ELb1EJPfS1_jEEvDpT3_.uses_vcc, 1
	.set _Z6kernelI13subtract_leftLj256ELj8ELb1EJPfS1_jEEvDpT3_.uses_flat_scratch, 0
	.set _Z6kernelI13subtract_leftLj256ELj8ELb1EJPfS1_jEEvDpT3_.has_dyn_sized_stack, 0
	.set _Z6kernelI13subtract_leftLj256ELj8ELb1EJPfS1_jEEvDpT3_.has_recursion, 0
	.set _Z6kernelI13subtract_leftLj256ELj8ELb1EJPfS1_jEEvDpT3_.has_indirect_call, 0
	.section	.AMDGPU.csdata,"",@progbits
; Kernel info:
; codeLenInByte = 548
; TotalNumSgprs: 11
; NumVgprs: 20
; ScratchSize: 0
; MemoryBound: 0
; FloatMode: 240
; IeeeMode: 1
; LDSByteSize: 2048 bytes/workgroup (compile time only)
; SGPRBlocks: 0
; VGPRBlocks: 1
; NumSGPRsForWavesPerEU: 11
; NumVGPRsForWavesPerEU: 20
; NamedBarCnt: 0
; Occupancy: 16
; WaveLimiterHint : 1
; COMPUTE_PGM_RSRC2:SCRATCH_EN: 0
; COMPUTE_PGM_RSRC2:USER_SGPR: 2
; COMPUTE_PGM_RSRC2:TRAP_HANDLER: 0
; COMPUTE_PGM_RSRC2:TGID_X_EN: 1
; COMPUTE_PGM_RSRC2:TGID_Y_EN: 0
; COMPUTE_PGM_RSRC2:TGID_Z_EN: 0
; COMPUTE_PGM_RSRC2:TIDIG_COMP_CNT: 0
	.section	.text._Z6kernelI13subtract_leftLj256ELj16ELb1EJPfS1_jEEvDpT3_,"axG",@progbits,_Z6kernelI13subtract_leftLj256ELj16ELb1EJPfS1_jEEvDpT3_,comdat
	.protected	_Z6kernelI13subtract_leftLj256ELj16ELb1EJPfS1_jEEvDpT3_ ; -- Begin function _Z6kernelI13subtract_leftLj256ELj16ELb1EJPfS1_jEEvDpT3_
	.globl	_Z6kernelI13subtract_leftLj256ELj16ELb1EJPfS1_jEEvDpT3_
	.p2align	8
	.type	_Z6kernelI13subtract_leftLj256ELj16ELb1EJPfS1_jEEvDpT3_,@function
_Z6kernelI13subtract_leftLj256ELj16ELb1EJPfS1_jEEvDpT3_: ; @_Z6kernelI13subtract_leftLj256ELj16ELb1EJPfS1_jEEvDpT3_
; %bb.0:
	s_load_b128 s[4:7], s[0:1], 0x0
	s_bfe_u32 s2, ttmp6, 0x4000c
	s_and_b32 s3, ttmp6, 15
	s_add_co_i32 s2, s2, 1
	s_getreg_b32 s8, hwreg(HW_REG_IB_STS2, 6, 4)
	s_mul_i32 s2, ttmp9, s2
	s_wait_xcnt 0x0
	s_load_b32 s0, s[0:1], 0x10
	s_add_co_i32 s3, s3, s2
	s_cmp_eq_u32 s8, 0
	s_cselect_b32 s2, ttmp9, s3
	s_mov_b32 s3, 0
	s_lshl_b32 s2, s2, 12
	s_delay_alu instid0(SALU_CYCLE_1)
	s_lshl_b64 s[2:3], s[2:3], 2
	s_wait_kmcnt 0x0
	s_add_nc_u64 s[4:5], s[4:5], s[2:3]
	s_clause 0xf
	global_load_b32 v2, v0, s[4:5] scale_offset
	global_load_b32 v3, v0, s[4:5] offset:1024 scale_offset
	global_load_b32 v4, v0, s[4:5] offset:2048 scale_offset
	global_load_b32 v5, v0, s[4:5] offset:3072 scale_offset
	global_load_b32 v6, v0, s[4:5] offset:4096 scale_offset
	global_load_b32 v7, v0, s[4:5] offset:5120 scale_offset
	global_load_b32 v8, v0, s[4:5] offset:6144 scale_offset
	global_load_b32 v9, v0, s[4:5] offset:7168 scale_offset
	global_load_b32 v10, v0, s[4:5] offset:8192 scale_offset
	global_load_b32 v11, v0, s[4:5] offset:9216 scale_offset
	global_load_b32 v12, v0, s[4:5] offset:10240 scale_offset
	global_load_b32 v13, v0, s[4:5] offset:11264 scale_offset
	global_load_b32 v14, v0, s[4:5] offset:12288 scale_offset
	global_load_b32 v15, v0, s[4:5] offset:13312 scale_offset
	global_load_b32 v16, v0, s[4:5] offset:14336 scale_offset
	global_load_b32 v17, v0, s[4:5] offset:15360 scale_offset
	s_cmp_eq_u32 s0, 0
	s_cbranch_scc1 .LBB40_5
; %bb.1:
	v_lshlrev_b32_e32 v1, 2, v0
	v_cmp_ne_u32_e32 vcc_lo, 0, v0
	s_delay_alu instid0(VALU_DEP_2)
	v_add_nc_u32_e32 v18, -4, v1
	s_branch .LBB40_3
.LBB40_2:                               ;   in Loop: Header=BB40_3 Depth=1
	s_or_b32 exec_lo, exec_lo, s1
	v_dual_mov_b32 v33, v2 :: v_dual_mov_b32 v34, v3
	v_dual_mov_b32 v20, v15 :: v_dual_mov_b32 v21, v16
	;; [unrolled: 1-line block ×7, first 2 shown]
	v_mov_b32_e32 v29, v8
	v_pk_add_f32 v[32:33], v[2:3], v[32:33] neg_lo:[0,1] neg_hi:[0,1]
	v_pk_add_f32 v[20:21], v[16:17], v[20:21] neg_lo:[0,1] neg_hi:[0,1]
	;; [unrolled: 1-line block ×4, first 2 shown]
	s_wait_dscnt 0x0
	v_sub_f32_e32 v32, v2, v19
	v_pk_add_f32 v[34:35], v[4:5], v[34:35] neg_lo:[0,1] neg_hi:[0,1]
	v_pk_add_f32 v[30:31], v[6:7], v[30:31] neg_lo:[0,1] neg_hi:[0,1]
	;; [unrolled: 1-line block ×4, first 2 shown]
	v_pk_add_f32 v[2:3], v[2:3], v[32:33]
	v_pk_add_f32 v[4:5], v[4:5], v[34:35]
	;; [unrolled: 1-line block ×8, first 2 shown]
	s_add_co_i32 s0, s0, -1
	s_delay_alu instid0(SALU_CYCLE_1)
	s_cmp_lg_u32 s0, 0
	s_barrier_signal -1
	s_barrier_wait -1
	s_cbranch_scc0 .LBB40_5
.LBB40_3:                               ; =>This Inner Loop Header: Depth=1
	v_mov_b32_e32 v19, 0x42f60000
	s_wait_loadcnt 0x0
	ds_store_b32 v1, v17
	s_wait_dscnt 0x0
	s_barrier_signal -1
	s_barrier_wait -1
	s_and_saveexec_b32 s1, vcc_lo
	s_cbranch_execz .LBB40_2
; %bb.4:                                ;   in Loop: Header=BB40_3 Depth=1
	ds_load_b32 v19, v18
	s_branch .LBB40_2
.LBB40_5:
	s_add_nc_u64 s[0:1], s[6:7], s[2:3]
	s_wait_loadcnt 0xf
	global_store_b32 v0, v2, s[0:1] scale_offset
	s_wait_loadcnt 0xe
	global_store_b32 v0, v3, s[0:1] offset:1024 scale_offset
	s_wait_loadcnt 0xd
	global_store_b32 v0, v4, s[0:1] offset:2048 scale_offset
	;; [unrolled: 2-line block ×15, first 2 shown]
	s_endpgm
	.section	.rodata,"a",@progbits
	.p2align	6, 0x0
	.amdhsa_kernel _Z6kernelI13subtract_leftLj256ELj16ELb1EJPfS1_jEEvDpT3_
		.amdhsa_group_segment_fixed_size 2048
		.amdhsa_private_segment_fixed_size 0
		.amdhsa_kernarg_size 20
		.amdhsa_user_sgpr_count 2
		.amdhsa_user_sgpr_dispatch_ptr 0
		.amdhsa_user_sgpr_queue_ptr 0
		.amdhsa_user_sgpr_kernarg_segment_ptr 1
		.amdhsa_user_sgpr_dispatch_id 0
		.amdhsa_user_sgpr_kernarg_preload_length 0
		.amdhsa_user_sgpr_kernarg_preload_offset 0
		.amdhsa_user_sgpr_private_segment_size 0
		.amdhsa_wavefront_size32 1
		.amdhsa_uses_dynamic_stack 0
		.amdhsa_enable_private_segment 0
		.amdhsa_system_sgpr_workgroup_id_x 1
		.amdhsa_system_sgpr_workgroup_id_y 0
		.amdhsa_system_sgpr_workgroup_id_z 0
		.amdhsa_system_sgpr_workgroup_info 0
		.amdhsa_system_vgpr_workitem_id 0
		.amdhsa_next_free_vgpr 36
		.amdhsa_next_free_sgpr 9
		.amdhsa_named_barrier_count 0
		.amdhsa_reserve_vcc 1
		.amdhsa_float_round_mode_32 0
		.amdhsa_float_round_mode_16_64 0
		.amdhsa_float_denorm_mode_32 3
		.amdhsa_float_denorm_mode_16_64 3
		.amdhsa_fp16_overflow 0
		.amdhsa_memory_ordered 1
		.amdhsa_forward_progress 1
		.amdhsa_inst_pref_size 7
		.amdhsa_round_robin_scheduling 0
		.amdhsa_exception_fp_ieee_invalid_op 0
		.amdhsa_exception_fp_denorm_src 0
		.amdhsa_exception_fp_ieee_div_zero 0
		.amdhsa_exception_fp_ieee_overflow 0
		.amdhsa_exception_fp_ieee_underflow 0
		.amdhsa_exception_fp_ieee_inexact 0
		.amdhsa_exception_int_div_zero 0
	.end_amdhsa_kernel
	.section	.text._Z6kernelI13subtract_leftLj256ELj16ELb1EJPfS1_jEEvDpT3_,"axG",@progbits,_Z6kernelI13subtract_leftLj256ELj16ELb1EJPfS1_jEEvDpT3_,comdat
.Lfunc_end40:
	.size	_Z6kernelI13subtract_leftLj256ELj16ELb1EJPfS1_jEEvDpT3_, .Lfunc_end40-_Z6kernelI13subtract_leftLj256ELj16ELb1EJPfS1_jEEvDpT3_
                                        ; -- End function
	.set _Z6kernelI13subtract_leftLj256ELj16ELb1EJPfS1_jEEvDpT3_.num_vgpr, 36
	.set _Z6kernelI13subtract_leftLj256ELj16ELb1EJPfS1_jEEvDpT3_.num_agpr, 0
	.set _Z6kernelI13subtract_leftLj256ELj16ELb1EJPfS1_jEEvDpT3_.numbered_sgpr, 9
	.set _Z6kernelI13subtract_leftLj256ELj16ELb1EJPfS1_jEEvDpT3_.num_named_barrier, 0
	.set _Z6kernelI13subtract_leftLj256ELj16ELb1EJPfS1_jEEvDpT3_.private_seg_size, 0
	.set _Z6kernelI13subtract_leftLj256ELj16ELb1EJPfS1_jEEvDpT3_.uses_vcc, 1
	.set _Z6kernelI13subtract_leftLj256ELj16ELb1EJPfS1_jEEvDpT3_.uses_flat_scratch, 0
	.set _Z6kernelI13subtract_leftLj256ELj16ELb1EJPfS1_jEEvDpT3_.has_dyn_sized_stack, 0
	.set _Z6kernelI13subtract_leftLj256ELj16ELb1EJPfS1_jEEvDpT3_.has_recursion, 0
	.set _Z6kernelI13subtract_leftLj256ELj16ELb1EJPfS1_jEEvDpT3_.has_indirect_call, 0
	.section	.AMDGPU.csdata,"",@progbits
; Kernel info:
; codeLenInByte = 852
; TotalNumSgprs: 11
; NumVgprs: 36
; ScratchSize: 0
; MemoryBound: 0
; FloatMode: 240
; IeeeMode: 1
; LDSByteSize: 2048 bytes/workgroup (compile time only)
; SGPRBlocks: 0
; VGPRBlocks: 2
; NumSGPRsForWavesPerEU: 11
; NumVGPRsForWavesPerEU: 36
; NamedBarCnt: 0
; Occupancy: 16
; WaveLimiterHint : 1
; COMPUTE_PGM_RSRC2:SCRATCH_EN: 0
; COMPUTE_PGM_RSRC2:USER_SGPR: 2
; COMPUTE_PGM_RSRC2:TRAP_HANDLER: 0
; COMPUTE_PGM_RSRC2:TGID_X_EN: 1
; COMPUTE_PGM_RSRC2:TGID_Y_EN: 0
; COMPUTE_PGM_RSRC2:TGID_Z_EN: 0
; COMPUTE_PGM_RSRC2:TIDIG_COMP_CNT: 0
	.section	.text._Z6kernelI13subtract_leftLj256ELj32ELb1EJPfS1_jEEvDpT3_,"axG",@progbits,_Z6kernelI13subtract_leftLj256ELj32ELb1EJPfS1_jEEvDpT3_,comdat
	.protected	_Z6kernelI13subtract_leftLj256ELj32ELb1EJPfS1_jEEvDpT3_ ; -- Begin function _Z6kernelI13subtract_leftLj256ELj32ELb1EJPfS1_jEEvDpT3_
	.globl	_Z6kernelI13subtract_leftLj256ELj32ELb1EJPfS1_jEEvDpT3_
	.p2align	8
	.type	_Z6kernelI13subtract_leftLj256ELj32ELb1EJPfS1_jEEvDpT3_,@function
_Z6kernelI13subtract_leftLj256ELj32ELb1EJPfS1_jEEvDpT3_: ; @_Z6kernelI13subtract_leftLj256ELj32ELb1EJPfS1_jEEvDpT3_
; %bb.0:
	s_load_b128 s[4:7], s[0:1], 0x0
	s_bfe_u32 s2, ttmp6, 0x4000c
	s_and_b32 s3, ttmp6, 15
	s_add_co_i32 s2, s2, 1
	s_getreg_b32 s8, hwreg(HW_REG_IB_STS2, 6, 4)
	s_mul_i32 s2, ttmp9, s2
	s_wait_xcnt 0x0
	s_load_b32 s0, s[0:1], 0x10
	s_add_co_i32 s3, s3, s2
	s_cmp_eq_u32 s8, 0
	s_cselect_b32 s2, ttmp9, s3
	s_mov_b32 s3, 0
	s_lshl_b32 s2, s2, 13
	s_delay_alu instid0(SALU_CYCLE_1)
	s_lshl_b64 s[2:3], s[2:3], 2
	s_wait_kmcnt 0x0
	s_add_nc_u64 s[4:5], s[4:5], s[2:3]
	s_clause 0x1f
	global_load_b32 v2, v0, s[4:5] scale_offset
	global_load_b32 v3, v0, s[4:5] offset:1024 scale_offset
	global_load_b32 v4, v0, s[4:5] offset:2048 scale_offset
	;; [unrolled: 1-line block ×31, first 2 shown]
	s_cmp_eq_u32 s0, 0
	s_cbranch_scc1 .LBB41_5
; %bb.1:
	v_lshlrev_b32_e32 v1, 2, v0
	v_cmp_ne_u32_e32 vcc_lo, 0, v0
	s_delay_alu instid0(VALU_DEP_2)
	v_add_nc_u32_e32 v34, -4, v1
	s_branch .LBB41_3
.LBB41_2:                               ;   in Loop: Header=BB41_3 Depth=1
	s_or_b32 exec_lo, exec_lo, s1
	v_dual_mov_b32 v44, v23 :: v_dual_mov_b32 v47, v2
	v_dual_mov_b32 v45, v24 :: v_dual_mov_b32 v46, v21
	v_dual_mov_b32 v48, v3 :: v_dual_mov_b32 v49, v4
	v_dual_mov_b32 v52, v9 :: v_dual_mov_b32 v54, v11
	v_mov_b32_e32 v55, v12
	s_delay_alu instid0(VALU_DEP_4)
	v_pk_add_f32 v[50:51], v[2:3], v[46:47] neg_lo:[0,1] neg_hi:[0,1]
	s_wait_dscnt 0x0
	v_sub_f32_e32 v50, v2, v35
	v_pk_add_f32 v[48:49], v[4:5], v[48:49] neg_lo:[0,1] neg_hi:[0,1]
	v_dual_mov_b32 v47, v22 :: v_dual_mov_b32 v53, v10
	v_pk_add_f32 v[54:55], v[12:13], v[54:55] neg_lo:[0,1] neg_hi:[0,1]
	s_delay_alu instid0(VALU_DEP_4) | instskip(SKIP_4) | instid1(VALU_DEP_4)
	v_pk_add_f32 v[2:3], v[2:3], v[50:51]
	v_dual_mov_b32 v50, v5 :: v_dual_mov_b32 v51, v6
	v_pk_add_f32 v[4:5], v[4:5], v[48:49]
	v_dual_mov_b32 v48, v7 :: v_dual_mov_b32 v49, v8
	v_pk_add_f32 v[52:53], v[10:11], v[52:53] neg_lo:[0,1] neg_hi:[0,1]
	v_pk_add_f32 v[50:51], v[6:7], v[50:51] neg_lo:[0,1] neg_hi:[0,1]
	v_dual_mov_b32 v36, v31 :: v_dual_mov_b32 v37, v32
	s_delay_alu instid0(VALU_DEP_4)
	v_pk_add_f32 v[48:49], v[8:9], v[48:49] neg_lo:[0,1] neg_hi:[0,1]
	v_dual_mov_b32 v38, v29 :: v_dual_mov_b32 v39, v30
	v_dual_mov_b32 v40, v27 :: v_dual_mov_b32 v41, v28
	;; [unrolled: 1-line block ×3, first 2 shown]
	v_pk_add_f32 v[6:7], v[6:7], v[50:51]
	v_mov_b32_e32 v50, v19
	v_pk_add_f32 v[8:9], v[8:9], v[48:49]
	v_mov_b32_e32 v48, v17
	;; [unrolled: 2-line block ×3, first 2 shown]
	v_pk_add_f32 v[12:13], v[12:13], v[54:55]
	v_dual_mov_b32 v54, v15 :: v_dual_mov_b32 v53, v14
	v_dual_mov_b32 v55, v16 :: v_dual_mov_b32 v49, v18
	v_mov_b32_e32 v51, v20
	v_pk_add_f32 v[36:37], v[32:33], v[36:37] neg_lo:[0,1] neg_hi:[0,1]
	v_pk_add_f32 v[38:39], v[30:31], v[38:39] neg_lo:[0,1] neg_hi:[0,1]
	;; [unrolled: 1-line block ×10, first 2 shown]
	v_pk_add_f32 v[14:15], v[14:15], v[52:53]
	v_pk_add_f32 v[16:17], v[16:17], v[54:55]
	;; [unrolled: 1-line block ×10, first 2 shown]
	s_add_co_i32 s0, s0, -1
	s_delay_alu instid0(SALU_CYCLE_1)
	s_cmp_lg_u32 s0, 0
	s_barrier_signal -1
	s_barrier_wait -1
	s_cbranch_scc0 .LBB41_5
.LBB41_3:                               ; =>This Inner Loop Header: Depth=1
	v_mov_b32_e32 v35, 0x42f60000
	s_wait_loadcnt 0x0
	ds_store_b32 v1, v33
	s_wait_dscnt 0x0
	s_barrier_signal -1
	s_barrier_wait -1
	s_and_saveexec_b32 s1, vcc_lo
	s_cbranch_execz .LBB41_2
; %bb.4:                                ;   in Loop: Header=BB41_3 Depth=1
	ds_load_b32 v35, v34
	s_branch .LBB41_2
.LBB41_5:
	s_add_nc_u64 s[0:1], s[6:7], s[2:3]
	s_wait_loadcnt 0x1f
	global_store_b32 v0, v2, s[0:1] scale_offset
	s_wait_loadcnt 0x1e
	global_store_b32 v0, v3, s[0:1] offset:1024 scale_offset
	s_wait_loadcnt 0x1d
	global_store_b32 v0, v4, s[0:1] offset:2048 scale_offset
	;; [unrolled: 2-line block ×31, first 2 shown]
	s_endpgm
	.section	.rodata,"a",@progbits
	.p2align	6, 0x0
	.amdhsa_kernel _Z6kernelI13subtract_leftLj256ELj32ELb1EJPfS1_jEEvDpT3_
		.amdhsa_group_segment_fixed_size 2048
		.amdhsa_private_segment_fixed_size 0
		.amdhsa_kernarg_size 20
		.amdhsa_user_sgpr_count 2
		.amdhsa_user_sgpr_dispatch_ptr 0
		.amdhsa_user_sgpr_queue_ptr 0
		.amdhsa_user_sgpr_kernarg_segment_ptr 1
		.amdhsa_user_sgpr_dispatch_id 0
		.amdhsa_user_sgpr_kernarg_preload_length 0
		.amdhsa_user_sgpr_kernarg_preload_offset 0
		.amdhsa_user_sgpr_private_segment_size 0
		.amdhsa_wavefront_size32 1
		.amdhsa_uses_dynamic_stack 0
		.amdhsa_enable_private_segment 0
		.amdhsa_system_sgpr_workgroup_id_x 1
		.amdhsa_system_sgpr_workgroup_id_y 0
		.amdhsa_system_sgpr_workgroup_id_z 0
		.amdhsa_system_sgpr_workgroup_info 0
		.amdhsa_system_vgpr_workitem_id 0
		.amdhsa_next_free_vgpr 56
		.amdhsa_next_free_sgpr 9
		.amdhsa_named_barrier_count 0
		.amdhsa_reserve_vcc 1
		.amdhsa_float_round_mode_32 0
		.amdhsa_float_round_mode_16_64 0
		.amdhsa_float_denorm_mode_32 3
		.amdhsa_float_denorm_mode_16_64 3
		.amdhsa_fp16_overflow 0
		.amdhsa_memory_ordered 1
		.amdhsa_forward_progress 1
		.amdhsa_inst_pref_size 12
		.amdhsa_round_robin_scheduling 0
		.amdhsa_exception_fp_ieee_invalid_op 0
		.amdhsa_exception_fp_denorm_src 0
		.amdhsa_exception_fp_ieee_div_zero 0
		.amdhsa_exception_fp_ieee_overflow 0
		.amdhsa_exception_fp_ieee_underflow 0
		.amdhsa_exception_fp_ieee_inexact 0
		.amdhsa_exception_int_div_zero 0
	.end_amdhsa_kernel
	.section	.text._Z6kernelI13subtract_leftLj256ELj32ELb1EJPfS1_jEEvDpT3_,"axG",@progbits,_Z6kernelI13subtract_leftLj256ELj32ELb1EJPfS1_jEEvDpT3_,comdat
.Lfunc_end41:
	.size	_Z6kernelI13subtract_leftLj256ELj32ELb1EJPfS1_jEEvDpT3_, .Lfunc_end41-_Z6kernelI13subtract_leftLj256ELj32ELb1EJPfS1_jEEvDpT3_
                                        ; -- End function
	.set _Z6kernelI13subtract_leftLj256ELj32ELb1EJPfS1_jEEvDpT3_.num_vgpr, 56
	.set _Z6kernelI13subtract_leftLj256ELj32ELb1EJPfS1_jEEvDpT3_.num_agpr, 0
	.set _Z6kernelI13subtract_leftLj256ELj32ELb1EJPfS1_jEEvDpT3_.numbered_sgpr, 9
	.set _Z6kernelI13subtract_leftLj256ELj32ELb1EJPfS1_jEEvDpT3_.num_named_barrier, 0
	.set _Z6kernelI13subtract_leftLj256ELj32ELb1EJPfS1_jEEvDpT3_.private_seg_size, 0
	.set _Z6kernelI13subtract_leftLj256ELj32ELb1EJPfS1_jEEvDpT3_.uses_vcc, 1
	.set _Z6kernelI13subtract_leftLj256ELj32ELb1EJPfS1_jEEvDpT3_.uses_flat_scratch, 0
	.set _Z6kernelI13subtract_leftLj256ELj32ELb1EJPfS1_jEEvDpT3_.has_dyn_sized_stack, 0
	.set _Z6kernelI13subtract_leftLj256ELj32ELb1EJPfS1_jEEvDpT3_.has_recursion, 0
	.set _Z6kernelI13subtract_leftLj256ELj32ELb1EJPfS1_jEEvDpT3_.has_indirect_call, 0
	.section	.AMDGPU.csdata,"",@progbits
; Kernel info:
; codeLenInByte = 1508
; TotalNumSgprs: 11
; NumVgprs: 56
; ScratchSize: 0
; MemoryBound: 0
; FloatMode: 240
; IeeeMode: 1
; LDSByteSize: 2048 bytes/workgroup (compile time only)
; SGPRBlocks: 0
; VGPRBlocks: 3
; NumSGPRsForWavesPerEU: 11
; NumVGPRsForWavesPerEU: 56
; NamedBarCnt: 0
; Occupancy: 16
; WaveLimiterHint : 1
; COMPUTE_PGM_RSRC2:SCRATCH_EN: 0
; COMPUTE_PGM_RSRC2:USER_SGPR: 2
; COMPUTE_PGM_RSRC2:TRAP_HANDLER: 0
; COMPUTE_PGM_RSRC2:TGID_X_EN: 1
; COMPUTE_PGM_RSRC2:TGID_Y_EN: 0
; COMPUTE_PGM_RSRC2:TGID_Z_EN: 0
; COMPUTE_PGM_RSRC2:TIDIG_COMP_CNT: 0
	.section	.text._Z6kernelI13subtract_leftLj256ELj1ELb1EJPaS1_jEEvDpT3_,"axG",@progbits,_Z6kernelI13subtract_leftLj256ELj1ELb1EJPaS1_jEEvDpT3_,comdat
	.protected	_Z6kernelI13subtract_leftLj256ELj1ELb1EJPaS1_jEEvDpT3_ ; -- Begin function _Z6kernelI13subtract_leftLj256ELj1ELb1EJPaS1_jEEvDpT3_
	.globl	_Z6kernelI13subtract_leftLj256ELj1ELb1EJPaS1_jEEvDpT3_
	.p2align	8
	.type	_Z6kernelI13subtract_leftLj256ELj1ELb1EJPaS1_jEEvDpT3_,@function
_Z6kernelI13subtract_leftLj256ELj1ELb1EJPaS1_jEEvDpT3_: ; @_Z6kernelI13subtract_leftLj256ELj1ELb1EJPaS1_jEEvDpT3_
; %bb.0:
	s_load_b128 s[4:7], s[0:1], 0x0
	s_bfe_u32 s2, ttmp6, 0x4000c
	s_and_b32 s3, ttmp6, 15
	s_add_co_i32 s2, s2, 1
	s_getreg_b32 s8, hwreg(HW_REG_IB_STS2, 6, 4)
	s_mul_i32 s2, ttmp9, s2
	s_wait_xcnt 0x0
	s_load_b32 s0, s[0:1], 0x10
	s_add_co_i32 s3, s3, s2
	s_cmp_eq_u32 s8, 0
	v_mov_b32_e32 v1, 0
	s_cselect_b32 s2, ttmp9, s3
	s_mov_b32 s3, 0
	s_lshl_b32 s2, s2, 8
	s_wait_kmcnt 0x0
	s_add_nc_u64 s[4:5], s[4:5], s[2:3]
	global_load_u8 v2, v0, s[4:5]
	s_cmp_eq_u32 s0, 0
	s_cbranch_scc1 .LBB42_5
; %bb.1:
	v_add_nc_u32_e32 v3, -1, v0
	v_cmp_ne_u32_e32 vcc_lo, 0, v0
	s_branch .LBB42_3
.LBB42_2:                               ;   in Loop: Header=BB42_3 Depth=1
	s_or_b32 exec_lo, exec_lo, s1
	v_lshlrev_b16 v2, 1, v2
	s_add_co_i32 s0, s0, -1
	s_wait_dscnt 0x0
	s_cmp_lg_u32 s0, 0
	s_barrier_signal -1
	v_sub_nc_u16 v2, v2, v4
	s_barrier_wait -1
	s_cbranch_scc0 .LBB42_5
.LBB42_3:                               ; =>This Inner Loop Header: Depth=1
	v_mov_b32_e32 v4, 0x7b
	s_wait_loadcnt 0x0
	ds_store_b8 v0, v2
	s_wait_dscnt 0x0
	s_barrier_signal -1
	s_barrier_wait -1
	s_and_saveexec_b32 s1, vcc_lo
	s_cbranch_execz .LBB42_2
; %bb.4:                                ;   in Loop: Header=BB42_3 Depth=1
	ds_load_u8 v4, v3
	s_branch .LBB42_2
.LBB42_5:
	s_add_nc_u64 s[0:1], s[6:7], s[2:3]
	s_wait_xcnt 0x0
	v_add_nc_u64_e32 v[0:1], s[0:1], v[0:1]
	s_wait_loadcnt 0x0
	global_store_b8 v[0:1], v2, off
	s_endpgm
	.section	.rodata,"a",@progbits
	.p2align	6, 0x0
	.amdhsa_kernel _Z6kernelI13subtract_leftLj256ELj1ELb1EJPaS1_jEEvDpT3_
		.amdhsa_group_segment_fixed_size 512
		.amdhsa_private_segment_fixed_size 0
		.amdhsa_kernarg_size 20
		.amdhsa_user_sgpr_count 2
		.amdhsa_user_sgpr_dispatch_ptr 0
		.amdhsa_user_sgpr_queue_ptr 0
		.amdhsa_user_sgpr_kernarg_segment_ptr 1
		.amdhsa_user_sgpr_dispatch_id 0
		.amdhsa_user_sgpr_kernarg_preload_length 0
		.amdhsa_user_sgpr_kernarg_preload_offset 0
		.amdhsa_user_sgpr_private_segment_size 0
		.amdhsa_wavefront_size32 1
		.amdhsa_uses_dynamic_stack 0
		.amdhsa_enable_private_segment 0
		.amdhsa_system_sgpr_workgroup_id_x 1
		.amdhsa_system_sgpr_workgroup_id_y 0
		.amdhsa_system_sgpr_workgroup_id_z 0
		.amdhsa_system_sgpr_workgroup_info 0
		.amdhsa_system_vgpr_workitem_id 0
		.amdhsa_next_free_vgpr 5
		.amdhsa_next_free_sgpr 9
		.amdhsa_named_barrier_count 0
		.amdhsa_reserve_vcc 1
		.amdhsa_float_round_mode_32 0
		.amdhsa_float_round_mode_16_64 0
		.amdhsa_float_denorm_mode_32 3
		.amdhsa_float_denorm_mode_16_64 3
		.amdhsa_fp16_overflow 0
		.amdhsa_memory_ordered 1
		.amdhsa_forward_progress 1
		.amdhsa_inst_pref_size 2
		.amdhsa_round_robin_scheduling 0
		.amdhsa_exception_fp_ieee_invalid_op 0
		.amdhsa_exception_fp_denorm_src 0
		.amdhsa_exception_fp_ieee_div_zero 0
		.amdhsa_exception_fp_ieee_overflow 0
		.amdhsa_exception_fp_ieee_underflow 0
		.amdhsa_exception_fp_ieee_inexact 0
		.amdhsa_exception_int_div_zero 0
	.end_amdhsa_kernel
	.section	.text._Z6kernelI13subtract_leftLj256ELj1ELb1EJPaS1_jEEvDpT3_,"axG",@progbits,_Z6kernelI13subtract_leftLj256ELj1ELb1EJPaS1_jEEvDpT3_,comdat
.Lfunc_end42:
	.size	_Z6kernelI13subtract_leftLj256ELj1ELb1EJPaS1_jEEvDpT3_, .Lfunc_end42-_Z6kernelI13subtract_leftLj256ELj1ELb1EJPaS1_jEEvDpT3_
                                        ; -- End function
	.set _Z6kernelI13subtract_leftLj256ELj1ELb1EJPaS1_jEEvDpT3_.num_vgpr, 5
	.set _Z6kernelI13subtract_leftLj256ELj1ELb1EJPaS1_jEEvDpT3_.num_agpr, 0
	.set _Z6kernelI13subtract_leftLj256ELj1ELb1EJPaS1_jEEvDpT3_.numbered_sgpr, 9
	.set _Z6kernelI13subtract_leftLj256ELj1ELb1EJPaS1_jEEvDpT3_.num_named_barrier, 0
	.set _Z6kernelI13subtract_leftLj256ELj1ELb1EJPaS1_jEEvDpT3_.private_seg_size, 0
	.set _Z6kernelI13subtract_leftLj256ELj1ELb1EJPaS1_jEEvDpT3_.uses_vcc, 1
	.set _Z6kernelI13subtract_leftLj256ELj1ELb1EJPaS1_jEEvDpT3_.uses_flat_scratch, 0
	.set _Z6kernelI13subtract_leftLj256ELj1ELb1EJPaS1_jEEvDpT3_.has_dyn_sized_stack, 0
	.set _Z6kernelI13subtract_leftLj256ELj1ELb1EJPaS1_jEEvDpT3_.has_recursion, 0
	.set _Z6kernelI13subtract_leftLj256ELj1ELb1EJPaS1_jEEvDpT3_.has_indirect_call, 0
	.section	.AMDGPU.csdata,"",@progbits
; Kernel info:
; codeLenInByte = 236
; TotalNumSgprs: 11
; NumVgprs: 5
; ScratchSize: 0
; MemoryBound: 0
; FloatMode: 240
; IeeeMode: 1
; LDSByteSize: 512 bytes/workgroup (compile time only)
; SGPRBlocks: 0
; VGPRBlocks: 0
; NumSGPRsForWavesPerEU: 11
; NumVGPRsForWavesPerEU: 5
; NamedBarCnt: 0
; Occupancy: 16
; WaveLimiterHint : 0
; COMPUTE_PGM_RSRC2:SCRATCH_EN: 0
; COMPUTE_PGM_RSRC2:USER_SGPR: 2
; COMPUTE_PGM_RSRC2:TRAP_HANDLER: 0
; COMPUTE_PGM_RSRC2:TGID_X_EN: 1
; COMPUTE_PGM_RSRC2:TGID_Y_EN: 0
; COMPUTE_PGM_RSRC2:TGID_Z_EN: 0
; COMPUTE_PGM_RSRC2:TIDIG_COMP_CNT: 0
	.section	.text._Z6kernelI13subtract_leftLj256ELj3ELb1EJPaS1_jEEvDpT3_,"axG",@progbits,_Z6kernelI13subtract_leftLj256ELj3ELb1EJPaS1_jEEvDpT3_,comdat
	.protected	_Z6kernelI13subtract_leftLj256ELj3ELb1EJPaS1_jEEvDpT3_ ; -- Begin function _Z6kernelI13subtract_leftLj256ELj3ELb1EJPaS1_jEEvDpT3_
	.globl	_Z6kernelI13subtract_leftLj256ELj3ELb1EJPaS1_jEEvDpT3_
	.p2align	8
	.type	_Z6kernelI13subtract_leftLj256ELj3ELb1EJPaS1_jEEvDpT3_,@function
_Z6kernelI13subtract_leftLj256ELj3ELb1EJPaS1_jEEvDpT3_: ; @_Z6kernelI13subtract_leftLj256ELj3ELb1EJPaS1_jEEvDpT3_
; %bb.0:
	s_load_b128 s[4:7], s[0:1], 0x0
	s_bfe_u32 s2, ttmp6, 0x4000c
	s_and_b32 s3, ttmp6, 15
	s_add_co_i32 s2, s2, 1
	s_getreg_b32 s8, hwreg(HW_REG_IB_STS2, 6, 4)
	s_mul_i32 s2, ttmp9, s2
	s_wait_xcnt 0x0
	s_load_b32 s0, s[0:1], 0x10
	s_add_co_i32 s3, s3, s2
	s_cmp_eq_u32 s8, 0
	s_cselect_b32 s2, ttmp9, s3
	s_mov_b32 s3, 0
	s_mulk_i32 s2, 0x300
	s_wait_kmcnt 0x0
	s_add_nc_u64 s[4:5], s[4:5], s[2:3]
	s_clause 0x2
	global_load_u8 v1, v0, s[4:5] offset:256
	global_load_u8 v2, v0, s[4:5] offset:512
	global_load_u8 v3, v0, s[4:5]
	s_cmp_eq_u32 s0, 0
	s_wait_loadcnt 0x0
	v_perm_b32 v3, v3, v1, 0xc0c0004
	v_mov_b32_e32 v1, 0
	s_delay_alu instid0(VALU_DEP_2)
	v_lshl_or_b32 v2, v2, 16, v3
	s_cbranch_scc1 .LBB43_5
; %bb.1:
	v_add_nc_u32_e32 v3, -1, v0
	v_cmp_ne_u32_e32 vcc_lo, 0, v0
	s_branch .LBB43_3
.LBB43_2:                               ;   in Loop: Header=BB43_3 Depth=1
	s_or_b32 exec_lo, exec_lo, s1
	v_dual_lshrrev_b32 v5, 8, v2 :: v_dual_lshrrev_b32 v6, 16, v2
	v_lshlrev_b16 v8, 1, v2
	s_add_co_i32 s0, s0, -1
	s_wait_dscnt 0x0
	s_delay_alu instid0(VALU_DEP_2)
	v_lshlrev_b16 v7, 1, v5
	v_lshlrev_b16 v6, 1, v6
	v_sub_nc_u16 v4, v8, v4
	s_cmp_lg_u32 s0, 0
	s_barrier_signal -1
	v_sub_nc_u16 v2, v7, v2
	v_sub_nc_u16 v5, v6, v5
	s_barrier_wait -1
	s_delay_alu instid0(VALU_DEP_2) | instskip(NEXT) | instid1(VALU_DEP_2)
	v_lshlrev_b16 v2, 8, v2
	v_and_b32_e32 v5, 0xff, v5
	s_delay_alu instid0(VALU_DEP_2) | instskip(NEXT) | instid1(VALU_DEP_2)
	v_perm_b32 v2, v4, v2, 0xc0c0104
	v_lshlrev_b32_e32 v4, 16, v5
	s_delay_alu instid0(VALU_DEP_1)
	v_or_b32_e32 v2, v2, v4
	s_cbranch_scc0 .LBB43_5
.LBB43_3:                               ; =>This Inner Loop Header: Depth=1
	v_mov_b32_e32 v4, 0x7b
	ds_store_b8_d16_hi v0, v2
	s_wait_dscnt 0x0
	s_barrier_signal -1
	s_barrier_wait -1
	s_and_saveexec_b32 s1, vcc_lo
	s_cbranch_execz .LBB43_2
; %bb.4:                                ;   in Loop: Header=BB43_3 Depth=1
	ds_load_u8 v4, v3
	s_branch .LBB43_2
.LBB43_5:
	s_add_nc_u64 s[0:1], s[6:7], s[2:3]
	s_delay_alu instid0(VALU_DEP_1)
	v_lshrrev_b32_e32 v3, 8, v2
	v_add_nc_u64_e32 v[0:1], s[0:1], v[0:1]
	s_clause 0x2
	global_store_b8 v[0:1], v2, off
	global_store_b8 v[0:1], v3, off offset:256
	global_store_d16_hi_b8 v[0:1], v2, off offset:512
	s_endpgm
	.section	.rodata,"a",@progbits
	.p2align	6, 0x0
	.amdhsa_kernel _Z6kernelI13subtract_leftLj256ELj3ELb1EJPaS1_jEEvDpT3_
		.amdhsa_group_segment_fixed_size 512
		.amdhsa_private_segment_fixed_size 0
		.amdhsa_kernarg_size 20
		.amdhsa_user_sgpr_count 2
		.amdhsa_user_sgpr_dispatch_ptr 0
		.amdhsa_user_sgpr_queue_ptr 0
		.amdhsa_user_sgpr_kernarg_segment_ptr 1
		.amdhsa_user_sgpr_dispatch_id 0
		.amdhsa_user_sgpr_kernarg_preload_length 0
		.amdhsa_user_sgpr_kernarg_preload_offset 0
		.amdhsa_user_sgpr_private_segment_size 0
		.amdhsa_wavefront_size32 1
		.amdhsa_uses_dynamic_stack 0
		.amdhsa_enable_private_segment 0
		.amdhsa_system_sgpr_workgroup_id_x 1
		.amdhsa_system_sgpr_workgroup_id_y 0
		.amdhsa_system_sgpr_workgroup_id_z 0
		.amdhsa_system_sgpr_workgroup_info 0
		.amdhsa_system_vgpr_workitem_id 0
		.amdhsa_next_free_vgpr 9
		.amdhsa_next_free_sgpr 9
		.amdhsa_named_barrier_count 0
		.amdhsa_reserve_vcc 1
		.amdhsa_float_round_mode_32 0
		.amdhsa_float_round_mode_16_64 0
		.amdhsa_float_denorm_mode_32 3
		.amdhsa_float_denorm_mode_16_64 3
		.amdhsa_fp16_overflow 0
		.amdhsa_memory_ordered 1
		.amdhsa_forward_progress 1
		.amdhsa_inst_pref_size 4
		.amdhsa_round_robin_scheduling 0
		.amdhsa_exception_fp_ieee_invalid_op 0
		.amdhsa_exception_fp_denorm_src 0
		.amdhsa_exception_fp_ieee_div_zero 0
		.amdhsa_exception_fp_ieee_overflow 0
		.amdhsa_exception_fp_ieee_underflow 0
		.amdhsa_exception_fp_ieee_inexact 0
		.amdhsa_exception_int_div_zero 0
	.end_amdhsa_kernel
	.section	.text._Z6kernelI13subtract_leftLj256ELj3ELb1EJPaS1_jEEvDpT3_,"axG",@progbits,_Z6kernelI13subtract_leftLj256ELj3ELb1EJPaS1_jEEvDpT3_,comdat
.Lfunc_end43:
	.size	_Z6kernelI13subtract_leftLj256ELj3ELb1EJPaS1_jEEvDpT3_, .Lfunc_end43-_Z6kernelI13subtract_leftLj256ELj3ELb1EJPaS1_jEEvDpT3_
                                        ; -- End function
	.set _Z6kernelI13subtract_leftLj256ELj3ELb1EJPaS1_jEEvDpT3_.num_vgpr, 9
	.set _Z6kernelI13subtract_leftLj256ELj3ELb1EJPaS1_jEEvDpT3_.num_agpr, 0
	.set _Z6kernelI13subtract_leftLj256ELj3ELb1EJPaS1_jEEvDpT3_.numbered_sgpr, 9
	.set _Z6kernelI13subtract_leftLj256ELj3ELb1EJPaS1_jEEvDpT3_.num_named_barrier, 0
	.set _Z6kernelI13subtract_leftLj256ELj3ELb1EJPaS1_jEEvDpT3_.private_seg_size, 0
	.set _Z6kernelI13subtract_leftLj256ELj3ELb1EJPaS1_jEEvDpT3_.uses_vcc, 1
	.set _Z6kernelI13subtract_leftLj256ELj3ELb1EJPaS1_jEEvDpT3_.uses_flat_scratch, 0
	.set _Z6kernelI13subtract_leftLj256ELj3ELb1EJPaS1_jEEvDpT3_.has_dyn_sized_stack, 0
	.set _Z6kernelI13subtract_leftLj256ELj3ELb1EJPaS1_jEEvDpT3_.has_recursion, 0
	.set _Z6kernelI13subtract_leftLj256ELj3ELb1EJPaS1_jEEvDpT3_.has_indirect_call, 0
	.section	.AMDGPU.csdata,"",@progbits
; Kernel info:
; codeLenInByte = 412
; TotalNumSgprs: 11
; NumVgprs: 9
; ScratchSize: 0
; MemoryBound: 0
; FloatMode: 240
; IeeeMode: 1
; LDSByteSize: 512 bytes/workgroup (compile time only)
; SGPRBlocks: 0
; VGPRBlocks: 0
; NumSGPRsForWavesPerEU: 11
; NumVGPRsForWavesPerEU: 9
; NamedBarCnt: 0
; Occupancy: 16
; WaveLimiterHint : 1
; COMPUTE_PGM_RSRC2:SCRATCH_EN: 0
; COMPUTE_PGM_RSRC2:USER_SGPR: 2
; COMPUTE_PGM_RSRC2:TRAP_HANDLER: 0
; COMPUTE_PGM_RSRC2:TGID_X_EN: 1
; COMPUTE_PGM_RSRC2:TGID_Y_EN: 0
; COMPUTE_PGM_RSRC2:TGID_Z_EN: 0
; COMPUTE_PGM_RSRC2:TIDIG_COMP_CNT: 0
	.section	.text._Z6kernelI13subtract_leftLj256ELj4ELb1EJPaS1_jEEvDpT3_,"axG",@progbits,_Z6kernelI13subtract_leftLj256ELj4ELb1EJPaS1_jEEvDpT3_,comdat
	.protected	_Z6kernelI13subtract_leftLj256ELj4ELb1EJPaS1_jEEvDpT3_ ; -- Begin function _Z6kernelI13subtract_leftLj256ELj4ELb1EJPaS1_jEEvDpT3_
	.globl	_Z6kernelI13subtract_leftLj256ELj4ELb1EJPaS1_jEEvDpT3_
	.p2align	8
	.type	_Z6kernelI13subtract_leftLj256ELj4ELb1EJPaS1_jEEvDpT3_,@function
_Z6kernelI13subtract_leftLj256ELj4ELb1EJPaS1_jEEvDpT3_: ; @_Z6kernelI13subtract_leftLj256ELj4ELb1EJPaS1_jEEvDpT3_
; %bb.0:
	s_load_b128 s[4:7], s[0:1], 0x0
	s_bfe_u32 s2, ttmp6, 0x4000c
	s_and_b32 s3, ttmp6, 15
	s_add_co_i32 s2, s2, 1
	s_getreg_b32 s8, hwreg(HW_REG_IB_STS2, 6, 4)
	s_mul_i32 s2, ttmp9, s2
	s_wait_xcnt 0x0
	s_load_b32 s0, s[0:1], 0x10
	s_add_co_i32 s3, s3, s2
	s_cmp_eq_u32 s8, 0
	s_cselect_b32 s2, ttmp9, s3
	s_mov_b32 s3, 0
	s_lshl_b32 s2, s2, 10
	s_wait_kmcnt 0x0
	s_add_nc_u64 s[4:5], s[4:5], s[2:3]
	s_clause 0x3
	global_load_u8 v1, v0, s[4:5] offset:256
	global_load_u8 v2, v0, s[4:5] offset:512
	global_load_u8 v3, v0, s[4:5]
	global_load_u8 v4, v0, s[4:5] offset:768
	s_cmp_eq_u32 s0, 0
	s_wait_loadcnt 0x1
	v_perm_b32 v3, v3, v1, 0xc0c0004
	s_wait_loadcnt 0x0
	v_perm_b32 v2, v2, v4, 0xc0c0004
	v_mov_b32_e32 v1, 0
	s_delay_alu instid0(VALU_DEP_2)
	v_lshl_or_b32 v2, v2, 16, v3
	s_cbranch_scc1 .LBB44_5
; %bb.1:
	v_add_nc_u32_e32 v3, -1, v0
	v_cmp_ne_u32_e32 vcc_lo, 0, v0
	s_branch .LBB44_3
.LBB44_2:                               ;   in Loop: Header=BB44_3 Depth=1
	s_or_b32 exec_lo, exec_lo, s1
	v_dual_lshrrev_b32 v5, 23, v2 :: v_dual_lshrrev_b32 v7, 16, v2
	v_lshrrev_b16 v6, 8, v2
	v_lshlrev_b16 v9, 1, v2
	s_add_co_i32 s0, s0, -1
	s_delay_alu instid0(VALU_DEP_3)
	v_and_b32_e32 v5, 0xfe, v5
	v_lshlrev_b16 v10, 1, v7
	v_lshlrev_b16 v8, 1, v6
	s_wait_dscnt 0x0
	v_sub_nc_u16 v4, v9, v4
	s_cmp_lg_u32 s0, 0
	v_sub_nc_u16 v5, v5, v7
	v_sub_nc_u16 v6, v10, v6
	;; [unrolled: 1-line block ×3, first 2 shown]
	s_barrier_signal -1
	s_delay_alu instid0(VALU_DEP_3) | instskip(SKIP_1) | instid1(VALU_DEP_2)
	v_lshlrev_b16 v5, 8, v5
	s_barrier_wait -1
	v_lshlrev_b16 v2, 8, v2
	s_delay_alu instid0(VALU_DEP_2) | instskip(NEXT) | instid1(VALU_DEP_2)
	v_bitop3_b16 v5, v6, v5, 0xff bitop3:0xec
	v_bitop3_b16 v2, v4, v2, 0xff bitop3:0xec
	s_delay_alu instid0(VALU_DEP_2) | instskip(NEXT) | instid1(VALU_DEP_2)
	v_lshlrev_b32_e32 v4, 16, v5
	v_and_b32_e32 v2, 0xffff, v2
	s_delay_alu instid0(VALU_DEP_1)
	v_or_b32_e32 v2, v2, v4
	s_cbranch_scc0 .LBB44_5
.LBB44_3:                               ; =>This Inner Loop Header: Depth=1
	s_delay_alu instid0(VALU_DEP_1)
	v_dual_mov_b32 v4, 0x7b :: v_dual_lshrrev_b32 v5, 24, v2
	ds_store_b8 v0, v5
	s_wait_dscnt 0x0
	s_barrier_signal -1
	s_barrier_wait -1
	s_and_saveexec_b32 s1, vcc_lo
	s_cbranch_execz .LBB44_2
; %bb.4:                                ;   in Loop: Header=BB44_3 Depth=1
	ds_load_u8 v4, v3
	s_branch .LBB44_2
.LBB44_5:
	s_add_nc_u64 s[0:1], s[6:7], s[2:3]
	s_delay_alu instid0(VALU_DEP_1)
	v_dual_lshrrev_b32 v3, 8, v2 :: v_dual_lshrrev_b32 v4, 24, v2
	v_add_nc_u64_e32 v[0:1], s[0:1], v[0:1]
	s_clause 0x3
	global_store_b8 v[0:1], v2, off
	global_store_b8 v[0:1], v3, off offset:256
	global_store_d16_hi_b8 v[0:1], v2, off offset:512
	global_store_b8 v[0:1], v4, off offset:768
	s_endpgm
	.section	.rodata,"a",@progbits
	.p2align	6, 0x0
	.amdhsa_kernel _Z6kernelI13subtract_leftLj256ELj4ELb1EJPaS1_jEEvDpT3_
		.amdhsa_group_segment_fixed_size 512
		.amdhsa_private_segment_fixed_size 0
		.amdhsa_kernarg_size 20
		.amdhsa_user_sgpr_count 2
		.amdhsa_user_sgpr_dispatch_ptr 0
		.amdhsa_user_sgpr_queue_ptr 0
		.amdhsa_user_sgpr_kernarg_segment_ptr 1
		.amdhsa_user_sgpr_dispatch_id 0
		.amdhsa_user_sgpr_kernarg_preload_length 0
		.amdhsa_user_sgpr_kernarg_preload_offset 0
		.amdhsa_user_sgpr_private_segment_size 0
		.amdhsa_wavefront_size32 1
		.amdhsa_uses_dynamic_stack 0
		.amdhsa_enable_private_segment 0
		.amdhsa_system_sgpr_workgroup_id_x 1
		.amdhsa_system_sgpr_workgroup_id_y 0
		.amdhsa_system_sgpr_workgroup_id_z 0
		.amdhsa_system_sgpr_workgroup_info 0
		.amdhsa_system_vgpr_workitem_id 0
		.amdhsa_next_free_vgpr 11
		.amdhsa_next_free_sgpr 9
		.amdhsa_named_barrier_count 0
		.amdhsa_reserve_vcc 1
		.amdhsa_float_round_mode_32 0
		.amdhsa_float_round_mode_16_64 0
		.amdhsa_float_denorm_mode_32 3
		.amdhsa_float_denorm_mode_16_64 3
		.amdhsa_fp16_overflow 0
		.amdhsa_memory_ordered 1
		.amdhsa_forward_progress 1
		.amdhsa_inst_pref_size 5
		.amdhsa_round_robin_scheduling 0
		.amdhsa_exception_fp_ieee_invalid_op 0
		.amdhsa_exception_fp_denorm_src 0
		.amdhsa_exception_fp_ieee_div_zero 0
		.amdhsa_exception_fp_ieee_overflow 0
		.amdhsa_exception_fp_ieee_underflow 0
		.amdhsa_exception_fp_ieee_inexact 0
		.amdhsa_exception_int_div_zero 0
	.end_amdhsa_kernel
	.section	.text._Z6kernelI13subtract_leftLj256ELj4ELb1EJPaS1_jEEvDpT3_,"axG",@progbits,_Z6kernelI13subtract_leftLj256ELj4ELb1EJPaS1_jEEvDpT3_,comdat
.Lfunc_end44:
	.size	_Z6kernelI13subtract_leftLj256ELj4ELb1EJPaS1_jEEvDpT3_, .Lfunc_end44-_Z6kernelI13subtract_leftLj256ELj4ELb1EJPaS1_jEEvDpT3_
                                        ; -- End function
	.set _Z6kernelI13subtract_leftLj256ELj4ELb1EJPaS1_jEEvDpT3_.num_vgpr, 11
	.set _Z6kernelI13subtract_leftLj256ELj4ELb1EJPaS1_jEEvDpT3_.num_agpr, 0
	.set _Z6kernelI13subtract_leftLj256ELj4ELb1EJPaS1_jEEvDpT3_.numbered_sgpr, 9
	.set _Z6kernelI13subtract_leftLj256ELj4ELb1EJPaS1_jEEvDpT3_.num_named_barrier, 0
	.set _Z6kernelI13subtract_leftLj256ELj4ELb1EJPaS1_jEEvDpT3_.private_seg_size, 0
	.set _Z6kernelI13subtract_leftLj256ELj4ELb1EJPaS1_jEEvDpT3_.uses_vcc, 1
	.set _Z6kernelI13subtract_leftLj256ELj4ELb1EJPaS1_jEEvDpT3_.uses_flat_scratch, 0
	.set _Z6kernelI13subtract_leftLj256ELj4ELb1EJPaS1_jEEvDpT3_.has_dyn_sized_stack, 0
	.set _Z6kernelI13subtract_leftLj256ELj4ELb1EJPaS1_jEEvDpT3_.has_recursion, 0
	.set _Z6kernelI13subtract_leftLj256ELj4ELb1EJPaS1_jEEvDpT3_.has_indirect_call, 0
	.section	.AMDGPU.csdata,"",@progbits
; Kernel info:
; codeLenInByte = 516
; TotalNumSgprs: 11
; NumVgprs: 11
; ScratchSize: 0
; MemoryBound: 0
; FloatMode: 240
; IeeeMode: 1
; LDSByteSize: 512 bytes/workgroup (compile time only)
; SGPRBlocks: 0
; VGPRBlocks: 0
; NumSGPRsForWavesPerEU: 11
; NumVGPRsForWavesPerEU: 11
; NamedBarCnt: 0
; Occupancy: 16
; WaveLimiterHint : 1
; COMPUTE_PGM_RSRC2:SCRATCH_EN: 0
; COMPUTE_PGM_RSRC2:USER_SGPR: 2
; COMPUTE_PGM_RSRC2:TRAP_HANDLER: 0
; COMPUTE_PGM_RSRC2:TGID_X_EN: 1
; COMPUTE_PGM_RSRC2:TGID_Y_EN: 0
; COMPUTE_PGM_RSRC2:TGID_Z_EN: 0
; COMPUTE_PGM_RSRC2:TIDIG_COMP_CNT: 0
	.section	.text._Z6kernelI13subtract_leftLj256ELj8ELb1EJPaS1_jEEvDpT3_,"axG",@progbits,_Z6kernelI13subtract_leftLj256ELj8ELb1EJPaS1_jEEvDpT3_,comdat
	.protected	_Z6kernelI13subtract_leftLj256ELj8ELb1EJPaS1_jEEvDpT3_ ; -- Begin function _Z6kernelI13subtract_leftLj256ELj8ELb1EJPaS1_jEEvDpT3_
	.globl	_Z6kernelI13subtract_leftLj256ELj8ELb1EJPaS1_jEEvDpT3_
	.p2align	8
	.type	_Z6kernelI13subtract_leftLj256ELj8ELb1EJPaS1_jEEvDpT3_,@function
_Z6kernelI13subtract_leftLj256ELj8ELb1EJPaS1_jEEvDpT3_: ; @_Z6kernelI13subtract_leftLj256ELj8ELb1EJPaS1_jEEvDpT3_
; %bb.0:
	s_load_b128 s[4:7], s[0:1], 0x0
	s_bfe_u32 s2, ttmp6, 0x4000c
	s_and_b32 s3, ttmp6, 15
	s_add_co_i32 s2, s2, 1
	s_getreg_b32 s8, hwreg(HW_REG_IB_STS2, 6, 4)
	s_mul_i32 s2, ttmp9, s2
	s_wait_xcnt 0x0
	s_load_b32 s0, s[0:1], 0x10
	s_add_co_i32 s3, s3, s2
	s_cmp_eq_u32 s8, 0
	s_cselect_b32 s2, ttmp9, s3
	s_mov_b32 s3, 0
	s_lshl_b32 s2, s2, 11
	s_wait_kmcnt 0x0
	s_add_nc_u64 s[4:5], s[4:5], s[2:3]
	s_clause 0x7
	global_load_u8 v1, v0, s[4:5] offset:256
	global_load_u8 v2, v0, s[4:5] offset:1536
	;; [unrolled: 1-line block ×4, first 2 shown]
	global_load_u8 v5, v0, s[4:5]
	global_load_u8 v6, v0, s[4:5] offset:768
	global_load_u8 v7, v0, s[4:5] offset:1280
	;; [unrolled: 1-line block ×3, first 2 shown]
	s_cmp_eq_u32 s0, 0
	s_wait_loadcnt 0x3
	v_perm_b32 v5, v5, v1, 0xc0c0004
	s_wait_loadcnt 0x2
	v_perm_b32 v4, v4, v6, 0xc0c0004
	;; [unrolled: 2-line block ×4, first 2 shown]
	v_mov_b32_e32 v1, 0
	v_lshl_or_b32 v2, v4, 16, v5
	s_delay_alu instid0(VALU_DEP_3)
	v_lshl_or_b32 v3, v6, 16, v3
	s_cbranch_scc1 .LBB45_5
; %bb.1:
	v_add_nc_u32_e32 v4, -1, v0
	v_cmp_ne_u32_e32 vcc_lo, 0, v0
	s_branch .LBB45_3
.LBB45_2:                               ;   in Loop: Header=BB45_3 Depth=1
	s_or_b32 exec_lo, exec_lo, s1
	v_dual_lshrrev_b32 v7, 8, v2 :: v_dual_lshrrev_b32 v10, 8, v3
	v_lshrrev_b64 v[8:9], 24, v[2:3]
	v_dual_lshrrev_b32 v9, 16, v2 :: v_dual_lshrrev_b32 v11, 16, v3
	s_delay_alu instid0(VALU_DEP_3) | instskip(SKIP_2) | instid1(VALU_DEP_4)
	v_lshlrev_b16 v12, 1, v7
	v_lshlrev_b16 v13, 1, v2
	;; [unrolled: 1-line block ×5, first 2 shown]
	v_sub_nc_u16 v2, v12, v2
	v_lshlrev_b16 v12, 1, v10
	s_wait_dscnt 0x0
	v_sub_nc_u16 v6, v13, v6
	v_lshlrev_b16 v13, 1, v3
	v_sub_nc_u16 v9, v15, v9
	v_sub_nc_u16 v5, v5, v11
	;; [unrolled: 1-line block ×3, first 2 shown]
	v_lshlrev_b16 v12, 1, v11
	v_sub_nc_u16 v7, v14, v7
	v_lshlrev_b16 v2, 8, v2
	v_lshlrev_b16 v9, 8, v9
	v_sub_nc_u16 v8, v13, v8
	v_lshlrev_b16 v3, 8, v3
	v_sub_nc_u16 v10, v12, v10
	v_lshlrev_b16 v5, 8, v5
	v_bitop3_b16 v2, v6, v2, 0xff bitop3:0xec
	v_bitop3_b16 v6, v7, v9, 0xff bitop3:0xec
	;; [unrolled: 1-line block ×3, first 2 shown]
	s_add_co_i32 s0, s0, -1
	v_bitop3_b16 v5, v10, v5, 0xff bitop3:0xec
	v_and_b32_e32 v2, 0xffff, v2
	v_lshlrev_b32_e32 v6, 16, v6
	v_and_b32_e32 v3, 0xffff, v3
	s_cmp_lg_u32 s0, 0
	v_lshlrev_b32_e32 v5, 16, v5
	s_delay_alu instid0(VALU_DEP_3) | instskip(SKIP_2) | instid1(VALU_DEP_2)
	v_or_b32_e32 v2, v2, v6
	s_barrier_signal -1
	s_barrier_wait -1
	v_or_b32_e32 v3, v3, v5
	s_cbranch_scc0 .LBB45_5
.LBB45_3:                               ; =>This Inner Loop Header: Depth=1
	s_delay_alu instid0(VALU_DEP_1)
	v_dual_mov_b32 v6, 0x7b :: v_dual_lshrrev_b32 v5, 24, v3
	ds_store_b8 v0, v5
	s_wait_dscnt 0x0
	s_barrier_signal -1
	s_barrier_wait -1
	s_and_saveexec_b32 s1, vcc_lo
	s_cbranch_execz .LBB45_2
; %bb.4:                                ;   in Loop: Header=BB45_3 Depth=1
	ds_load_u8 v6, v4
	s_branch .LBB45_2
.LBB45_5:
	s_add_nc_u64 s[0:1], s[6:7], s[2:3]
	s_delay_alu instid0(VALU_DEP_2)
	v_dual_lshrrev_b32 v4, 8, v2 :: v_dual_lshrrev_b32 v5, 24, v2
	v_add_nc_u64_e32 v[0:1], s[0:1], v[0:1]
	v_dual_lshrrev_b32 v6, 8, v3 :: v_dual_lshrrev_b32 v7, 24, v3
	s_clause 0x7
	global_store_b8 v[0:1], v2, off
	global_store_b8 v[0:1], v4, off offset:256
	global_store_d16_hi_b8 v[0:1], v2, off offset:512
	global_store_b8 v[0:1], v5, off offset:768
	global_store_b8 v[0:1], v3, off offset:1024
	;; [unrolled: 1-line block ×3, first 2 shown]
	global_store_d16_hi_b8 v[0:1], v3, off offset:1536
	global_store_b8 v[0:1], v7, off offset:1792
	s_endpgm
	.section	.rodata,"a",@progbits
	.p2align	6, 0x0
	.amdhsa_kernel _Z6kernelI13subtract_leftLj256ELj8ELb1EJPaS1_jEEvDpT3_
		.amdhsa_group_segment_fixed_size 512
		.amdhsa_private_segment_fixed_size 0
		.amdhsa_kernarg_size 20
		.amdhsa_user_sgpr_count 2
		.amdhsa_user_sgpr_dispatch_ptr 0
		.amdhsa_user_sgpr_queue_ptr 0
		.amdhsa_user_sgpr_kernarg_segment_ptr 1
		.amdhsa_user_sgpr_dispatch_id 0
		.amdhsa_user_sgpr_kernarg_preload_length 0
		.amdhsa_user_sgpr_kernarg_preload_offset 0
		.amdhsa_user_sgpr_private_segment_size 0
		.amdhsa_wavefront_size32 1
		.amdhsa_uses_dynamic_stack 0
		.amdhsa_enable_private_segment 0
		.amdhsa_system_sgpr_workgroup_id_x 1
		.amdhsa_system_sgpr_workgroup_id_y 0
		.amdhsa_system_sgpr_workgroup_id_z 0
		.amdhsa_system_sgpr_workgroup_info 0
		.amdhsa_system_vgpr_workitem_id 0
		.amdhsa_next_free_vgpr 16
		.amdhsa_next_free_sgpr 9
		.amdhsa_named_barrier_count 0
		.amdhsa_reserve_vcc 1
		.amdhsa_float_round_mode_32 0
		.amdhsa_float_round_mode_16_64 0
		.amdhsa_float_denorm_mode_32 3
		.amdhsa_float_denorm_mode_16_64 3
		.amdhsa_fp16_overflow 0
		.amdhsa_memory_ordered 1
		.amdhsa_forward_progress 1
		.amdhsa_inst_pref_size 7
		.amdhsa_round_robin_scheduling 0
		.amdhsa_exception_fp_ieee_invalid_op 0
		.amdhsa_exception_fp_denorm_src 0
		.amdhsa_exception_fp_ieee_div_zero 0
		.amdhsa_exception_fp_ieee_overflow 0
		.amdhsa_exception_fp_ieee_underflow 0
		.amdhsa_exception_fp_ieee_inexact 0
		.amdhsa_exception_int_div_zero 0
	.end_amdhsa_kernel
	.section	.text._Z6kernelI13subtract_leftLj256ELj8ELb1EJPaS1_jEEvDpT3_,"axG",@progbits,_Z6kernelI13subtract_leftLj256ELj8ELb1EJPaS1_jEEvDpT3_,comdat
.Lfunc_end45:
	.size	_Z6kernelI13subtract_leftLj256ELj8ELb1EJPaS1_jEEvDpT3_, .Lfunc_end45-_Z6kernelI13subtract_leftLj256ELj8ELb1EJPaS1_jEEvDpT3_
                                        ; -- End function
	.set _Z6kernelI13subtract_leftLj256ELj8ELb1EJPaS1_jEEvDpT3_.num_vgpr, 16
	.set _Z6kernelI13subtract_leftLj256ELj8ELb1EJPaS1_jEEvDpT3_.num_agpr, 0
	.set _Z6kernelI13subtract_leftLj256ELj8ELb1EJPaS1_jEEvDpT3_.numbered_sgpr, 9
	.set _Z6kernelI13subtract_leftLj256ELj8ELb1EJPaS1_jEEvDpT3_.num_named_barrier, 0
	.set _Z6kernelI13subtract_leftLj256ELj8ELb1EJPaS1_jEEvDpT3_.private_seg_size, 0
	.set _Z6kernelI13subtract_leftLj256ELj8ELb1EJPaS1_jEEvDpT3_.uses_vcc, 1
	.set _Z6kernelI13subtract_leftLj256ELj8ELb1EJPaS1_jEEvDpT3_.uses_flat_scratch, 0
	.set _Z6kernelI13subtract_leftLj256ELj8ELb1EJPaS1_jEEvDpT3_.has_dyn_sized_stack, 0
	.set _Z6kernelI13subtract_leftLj256ELj8ELb1EJPaS1_jEEvDpT3_.has_recursion, 0
	.set _Z6kernelI13subtract_leftLj256ELj8ELb1EJPaS1_jEEvDpT3_.has_indirect_call, 0
	.section	.AMDGPU.csdata,"",@progbits
; Kernel info:
; codeLenInByte = 784
; TotalNumSgprs: 11
; NumVgprs: 16
; ScratchSize: 0
; MemoryBound: 0
; FloatMode: 240
; IeeeMode: 1
; LDSByteSize: 512 bytes/workgroup (compile time only)
; SGPRBlocks: 0
; VGPRBlocks: 0
; NumSGPRsForWavesPerEU: 11
; NumVGPRsForWavesPerEU: 16
; NamedBarCnt: 0
; Occupancy: 16
; WaveLimiterHint : 1
; COMPUTE_PGM_RSRC2:SCRATCH_EN: 0
; COMPUTE_PGM_RSRC2:USER_SGPR: 2
; COMPUTE_PGM_RSRC2:TRAP_HANDLER: 0
; COMPUTE_PGM_RSRC2:TGID_X_EN: 1
; COMPUTE_PGM_RSRC2:TGID_Y_EN: 0
; COMPUTE_PGM_RSRC2:TGID_Z_EN: 0
; COMPUTE_PGM_RSRC2:TIDIG_COMP_CNT: 0
	.section	.text._Z6kernelI13subtract_leftLj256ELj16ELb1EJPaS1_jEEvDpT3_,"axG",@progbits,_Z6kernelI13subtract_leftLj256ELj16ELb1EJPaS1_jEEvDpT3_,comdat
	.protected	_Z6kernelI13subtract_leftLj256ELj16ELb1EJPaS1_jEEvDpT3_ ; -- Begin function _Z6kernelI13subtract_leftLj256ELj16ELb1EJPaS1_jEEvDpT3_
	.globl	_Z6kernelI13subtract_leftLj256ELj16ELb1EJPaS1_jEEvDpT3_
	.p2align	8
	.type	_Z6kernelI13subtract_leftLj256ELj16ELb1EJPaS1_jEEvDpT3_,@function
_Z6kernelI13subtract_leftLj256ELj16ELb1EJPaS1_jEEvDpT3_: ; @_Z6kernelI13subtract_leftLj256ELj16ELb1EJPaS1_jEEvDpT3_
; %bb.0:
	s_load_b128 s[4:7], s[0:1], 0x0
	s_bfe_u32 s2, ttmp6, 0x4000c
	s_and_b32 s3, ttmp6, 15
	s_add_co_i32 s2, s2, 1
	s_getreg_b32 s8, hwreg(HW_REG_IB_STS2, 6, 4)
	s_mul_i32 s2, ttmp9, s2
	s_wait_xcnt 0x0
	s_load_b32 s0, s[0:1], 0x10
	s_add_co_i32 s3, s3, s2
	s_cmp_eq_u32 s8, 0
	s_cselect_b32 s2, ttmp9, s3
	s_mov_b32 s3, 0
	s_lshl_b32 s2, s2, 12
	s_wait_kmcnt 0x0
	s_add_nc_u64 s[4:5], s[4:5], s[2:3]
	s_clause 0xf
	global_load_u8 v1, v0, s[4:5] offset:256
	global_load_u8 v2, v0, s[4:5] offset:768
	;; [unrolled: 1-line block ×7, first 2 shown]
	global_load_u8 v8, v0, s[4:5]
	global_load_u8 v9, v0, s[4:5] offset:2304
	global_load_u8 v10, v0, s[4:5] offset:3584
	;; [unrolled: 1-line block ×8, first 2 shown]
	s_cmp_eq_u32 s0, 0
	s_wait_loadcnt 0xb
	v_perm_b32 v5, v5, v4, 0xc0c0004
	s_wait_loadcnt 0xa
	v_perm_b32 v3, v6, v3, 0xc0c0004
	;; [unrolled: 2-line block ×4, first 2 shown]
	v_mov_b32_e32 v1, 0
	v_lshl_or_b32 v5, v5, 16, v3
	s_wait_loadcnt 0x3
	v_perm_b32 v6, v13, v9, 0xc0c0004
	s_wait_loadcnt 0x2
	v_perm_b32 v7, v12, v14, 0xc0c0004
	;; [unrolled: 2-line block ×4, first 2 shown]
	v_lshl_or_b32 v4, v2, 16, v8
	v_lshl_or_b32 v2, v7, 16, v6
	s_delay_alu instid0(VALU_DEP_3)
	v_lshl_or_b32 v3, v10, 16, v9
	s_cbranch_scc1 .LBB46_5
; %bb.1:
	v_add_nc_u32_e32 v6, -1, v0
	v_cmp_ne_u32_e32 vcc_lo, 0, v0
	s_branch .LBB46_3
.LBB46_2:                               ;   in Loop: Header=BB46_3 Depth=1
	s_or_b32 exec_lo, exec_lo, s1
	v_lshrrev_b64 v[10:11], 24, v[4:5]
	v_dual_lshrrev_b32 v13, 8, v5 :: v_dual_lshrrev_b32 v14, 8, v4
	v_dual_lshrrev_b32 v16, 8, v2 :: v_dual_lshrrev_b32 v18, 16, v4
	v_lshlrev_b16 v20, 1, v4
	s_delay_alu instid0(VALU_DEP_3) | instskip(NEXT) | instid1(VALU_DEP_4)
	v_lshlrev_b16 v22, 1, v13
	v_lshlrev_b16 v17, 1, v14
	;; [unrolled: 1-line block ×3, first 2 shown]
	v_dual_lshrrev_b32 v15, 16, v5 :: v_dual_lshrrev_b32 v11, 16, v2
	v_lshrrev_b32_e32 v19, 24, v5
	s_delay_alu instid0(VALU_DEP_4)
	v_sub_nc_u16 v4, v17, v4
	v_lshlrev_b16 v17, 1, v18
	v_sub_nc_u16 v18, v21, v18
	s_wait_dscnt 0x0
	v_sub_nc_u16 v8, v20, v8
	v_lshlrev_b16 v20, 1, v5
	v_lshlrev_b16 v4, 8, v4
	v_sub_nc_u16 v5, v22, v5
	v_sub_nc_u16 v14, v17, v14
	v_lshlrev_b16 v17, 8, v18
	v_sub_nc_u16 v10, v20, v10
	v_bitop3_b16 v8, v8, v4, 0xff bitop3:0xec
	v_lshlrev_b16 v18, 8, v5
	v_lshrrev_b64 v[4:5], 24, v[2:3]
	v_bitop3_b16 v5, v14, v17, 0xff bitop3:0xec
	v_dual_lshrrev_b32 v9, 8, v3 :: v_dual_lshrrev_b32 v12, 16, v3
	s_delay_alu instid0(VALU_DEP_4) | instskip(SKIP_1) | instid1(VALU_DEP_4)
	v_bitop3_b16 v10, v10, v18, 0xff bitop3:0xec
	v_lshlrev_b16 v17, 1, v15
	v_lshlrev_b32_e32 v5, 16, v5
	v_lshlrev_b16 v14, 1, v19
	v_lshlrev_b16 v18, 1, v16
	;; [unrolled: 1-line block ×3, first 2 shown]
	v_sub_nc_u16 v13, v17, v13
	v_lshlrev_b16 v17, 1, v11
	v_sub_nc_u16 v14, v14, v15
	v_lshlrev_b16 v15, 1, v2
	;; [unrolled: 2-line block ×8, first 2 shown]
	v_lshlrev_b16 v11, 8, v11
	v_sub_nc_u16 v4, v17, v4
	v_sub_nc_u16 v9, v18, v9
	v_lshlrev_b16 v3, 8, v3
	v_lshlrev_b16 v7, 8, v7
	v_bitop3_b16 v12, v13, v14, 0xff bitop3:0xec
	v_bitop3_b16 v2, v15, v2, 0xff bitop3:0xec
	;; [unrolled: 1-line block ×5, first 2 shown]
	v_and_b32_e32 v8, 0xffff, v8
	v_and_b32_e32 v10, 0xffff, v10
	v_dual_lshlrev_b32 v7, 16, v12 :: v_dual_lshlrev_b32 v9, 16, v11
	v_and_b32_e32 v2, 0xffff, v2
	v_and_b32_e32 v3, 0xffff, v3
	v_dual_lshlrev_b32 v11, 16, v4 :: v_dual_bitop2_b32 v4, v8, v5 bitop3:0x54
	s_delay_alu instid0(VALU_DEP_4) | instskip(NEXT) | instid1(VALU_DEP_4)
	v_or_b32_e32 v5, v10, v7
	v_or_b32_e32 v2, v2, v9
	s_add_co_i32 s0, s0, -1
	s_delay_alu instid0(VALU_DEP_3)
	v_or_b32_e32 v3, v3, v11
	s_cmp_lg_u32 s0, 0
	s_barrier_signal -1
	s_barrier_wait -1
	s_cbranch_scc0 .LBB46_5
.LBB46_3:                               ; =>This Inner Loop Header: Depth=1
	v_dual_mov_b32 v8, 0x7b :: v_dual_lshrrev_b32 v7, 24, v3
	ds_store_b8 v0, v7
	s_wait_dscnt 0x0
	s_barrier_signal -1
	s_barrier_wait -1
	s_and_saveexec_b32 s1, vcc_lo
	s_cbranch_execz .LBB46_2
; %bb.4:                                ;   in Loop: Header=BB46_3 Depth=1
	ds_load_u8 v8, v6
	s_branch .LBB46_2
.LBB46_5:
	s_add_nc_u64 s[0:1], s[6:7], s[2:3]
	v_dual_lshrrev_b32 v6, 8, v4 :: v_dual_lshrrev_b32 v7, 24, v4
	v_add_nc_u64_e32 v[0:1], s[0:1], v[0:1]
	v_dual_lshrrev_b32 v8, 8, v5 :: v_dual_lshrrev_b32 v9, 24, v5
	s_clause 0x7
	global_store_b8 v[0:1], v4, off
	global_store_b8 v[0:1], v6, off offset:256
	global_store_d16_hi_b8 v[0:1], v4, off offset:512
	global_store_b8 v[0:1], v7, off offset:768
	global_store_b8 v[0:1], v5, off offset:1024
	;; [unrolled: 1-line block ×3, first 2 shown]
	global_store_d16_hi_b8 v[0:1], v5, off offset:1536
	global_store_b8 v[0:1], v9, off offset:1792
	s_wait_xcnt 0x1
	v_dual_lshrrev_b32 v4, 8, v2 :: v_dual_lshrrev_b32 v5, 24, v2
	v_dual_lshrrev_b32 v6, 8, v3 :: v_dual_lshrrev_b32 v7, 24, v3
	s_clause 0x7
	global_store_b8 v[0:1], v2, off offset:2048
	global_store_b8 v[0:1], v4, off offset:2304
	global_store_d16_hi_b8 v[0:1], v2, off offset:2560
	global_store_b8 v[0:1], v5, off offset:2816
	global_store_b8 v[0:1], v3, off offset:3072
	;; [unrolled: 1-line block ×3, first 2 shown]
	global_store_d16_hi_b8 v[0:1], v3, off offset:3584
	global_store_b8 v[0:1], v7, off offset:3840
	s_endpgm
	.section	.rodata,"a",@progbits
	.p2align	6, 0x0
	.amdhsa_kernel _Z6kernelI13subtract_leftLj256ELj16ELb1EJPaS1_jEEvDpT3_
		.amdhsa_group_segment_fixed_size 512
		.amdhsa_private_segment_fixed_size 0
		.amdhsa_kernarg_size 20
		.amdhsa_user_sgpr_count 2
		.amdhsa_user_sgpr_dispatch_ptr 0
		.amdhsa_user_sgpr_queue_ptr 0
		.amdhsa_user_sgpr_kernarg_segment_ptr 1
		.amdhsa_user_sgpr_dispatch_id 0
		.amdhsa_user_sgpr_kernarg_preload_length 0
		.amdhsa_user_sgpr_kernarg_preload_offset 0
		.amdhsa_user_sgpr_private_segment_size 0
		.amdhsa_wavefront_size32 1
		.amdhsa_uses_dynamic_stack 0
		.amdhsa_enable_private_segment 0
		.amdhsa_system_sgpr_workgroup_id_x 1
		.amdhsa_system_sgpr_workgroup_id_y 0
		.amdhsa_system_sgpr_workgroup_id_z 0
		.amdhsa_system_sgpr_workgroup_info 0
		.amdhsa_system_vgpr_workitem_id 0
		.amdhsa_next_free_vgpr 23
		.amdhsa_next_free_sgpr 9
		.amdhsa_named_barrier_count 0
		.amdhsa_reserve_vcc 1
		.amdhsa_float_round_mode_32 0
		.amdhsa_float_round_mode_16_64 0
		.amdhsa_float_denorm_mode_32 3
		.amdhsa_float_denorm_mode_16_64 3
		.amdhsa_fp16_overflow 0
		.amdhsa_memory_ordered 1
		.amdhsa_forward_progress 1
		.amdhsa_inst_pref_size 11
		.amdhsa_round_robin_scheduling 0
		.amdhsa_exception_fp_ieee_invalid_op 0
		.amdhsa_exception_fp_denorm_src 0
		.amdhsa_exception_fp_ieee_div_zero 0
		.amdhsa_exception_fp_ieee_overflow 0
		.amdhsa_exception_fp_ieee_underflow 0
		.amdhsa_exception_fp_ieee_inexact 0
		.amdhsa_exception_int_div_zero 0
	.end_amdhsa_kernel
	.section	.text._Z6kernelI13subtract_leftLj256ELj16ELb1EJPaS1_jEEvDpT3_,"axG",@progbits,_Z6kernelI13subtract_leftLj256ELj16ELb1EJPaS1_jEEvDpT3_,comdat
.Lfunc_end46:
	.size	_Z6kernelI13subtract_leftLj256ELj16ELb1EJPaS1_jEEvDpT3_, .Lfunc_end46-_Z6kernelI13subtract_leftLj256ELj16ELb1EJPaS1_jEEvDpT3_
                                        ; -- End function
	.set _Z6kernelI13subtract_leftLj256ELj16ELb1EJPaS1_jEEvDpT3_.num_vgpr, 23
	.set _Z6kernelI13subtract_leftLj256ELj16ELb1EJPaS1_jEEvDpT3_.num_agpr, 0
	.set _Z6kernelI13subtract_leftLj256ELj16ELb1EJPaS1_jEEvDpT3_.numbered_sgpr, 9
	.set _Z6kernelI13subtract_leftLj256ELj16ELb1EJPaS1_jEEvDpT3_.num_named_barrier, 0
	.set _Z6kernelI13subtract_leftLj256ELj16ELb1EJPaS1_jEEvDpT3_.private_seg_size, 0
	.set _Z6kernelI13subtract_leftLj256ELj16ELb1EJPaS1_jEEvDpT3_.uses_vcc, 1
	.set _Z6kernelI13subtract_leftLj256ELj16ELb1EJPaS1_jEEvDpT3_.uses_flat_scratch, 0
	.set _Z6kernelI13subtract_leftLj256ELj16ELb1EJPaS1_jEEvDpT3_.has_dyn_sized_stack, 0
	.set _Z6kernelI13subtract_leftLj256ELj16ELb1EJPaS1_jEEvDpT3_.has_recursion, 0
	.set _Z6kernelI13subtract_leftLj256ELj16ELb1EJPaS1_jEEvDpT3_.has_indirect_call, 0
	.section	.AMDGPU.csdata,"",@progbits
; Kernel info:
; codeLenInByte = 1376
; TotalNumSgprs: 11
; NumVgprs: 23
; ScratchSize: 0
; MemoryBound: 0
; FloatMode: 240
; IeeeMode: 1
; LDSByteSize: 512 bytes/workgroup (compile time only)
; SGPRBlocks: 0
; VGPRBlocks: 1
; NumSGPRsForWavesPerEU: 11
; NumVGPRsForWavesPerEU: 23
; NamedBarCnt: 0
; Occupancy: 16
; WaveLimiterHint : 1
; COMPUTE_PGM_RSRC2:SCRATCH_EN: 0
; COMPUTE_PGM_RSRC2:USER_SGPR: 2
; COMPUTE_PGM_RSRC2:TRAP_HANDLER: 0
; COMPUTE_PGM_RSRC2:TGID_X_EN: 1
; COMPUTE_PGM_RSRC2:TGID_Y_EN: 0
; COMPUTE_PGM_RSRC2:TGID_Z_EN: 0
; COMPUTE_PGM_RSRC2:TIDIG_COMP_CNT: 0
	.section	.text._Z6kernelI13subtract_leftLj256ELj32ELb1EJPaS1_jEEvDpT3_,"axG",@progbits,_Z6kernelI13subtract_leftLj256ELj32ELb1EJPaS1_jEEvDpT3_,comdat
	.protected	_Z6kernelI13subtract_leftLj256ELj32ELb1EJPaS1_jEEvDpT3_ ; -- Begin function _Z6kernelI13subtract_leftLj256ELj32ELb1EJPaS1_jEEvDpT3_
	.globl	_Z6kernelI13subtract_leftLj256ELj32ELb1EJPaS1_jEEvDpT3_
	.p2align	8
	.type	_Z6kernelI13subtract_leftLj256ELj32ELb1EJPaS1_jEEvDpT3_,@function
_Z6kernelI13subtract_leftLj256ELj32ELb1EJPaS1_jEEvDpT3_: ; @_Z6kernelI13subtract_leftLj256ELj32ELb1EJPaS1_jEEvDpT3_
; %bb.0:
	s_load_b128 s[4:7], s[0:1], 0x0
	s_bfe_u32 s2, ttmp6, 0x4000c
	s_and_b32 s3, ttmp6, 15
	s_add_co_i32 s2, s2, 1
	s_getreg_b32 s8, hwreg(HW_REG_IB_STS2, 6, 4)
	s_mul_i32 s2, ttmp9, s2
	s_wait_xcnt 0x0
	s_load_b32 s0, s[0:1], 0x10
	s_add_co_i32 s3, s3, s2
	s_cmp_eq_u32 s8, 0
	v_mov_b32_e32 v1, 0
	s_cselect_b32 s2, ttmp9, s3
	s_mov_b32 s3, 0
	s_lshl_b32 s2, s2, 13
	s_wait_kmcnt 0x0
	s_add_nc_u64 s[4:5], s[4:5], s[2:3]
	s_clause 0x1f
	global_load_u8 v2, v0, s[4:5] offset:256
	global_load_u8 v3, v0, s[4:5] offset:768
	;; [unrolled: 1-line block ×7, first 2 shown]
	global_load_u8 v9, v0, s[4:5]
	global_load_u8 v10, v0, s[4:5] offset:2304
	global_load_u8 v11, v0, s[4:5] offset:2816
	;; [unrolled: 1-line block ×24, first 2 shown]
	s_cmp_eq_u32 s0, 0
	s_wait_loadcnt 0x1b
	v_perm_b32 v5, v6, v5, 0xc0c0004
	s_wait_loadcnt 0x1a
	v_perm_b32 v4, v7, v4, 0xc0c0004
	s_wait_loadcnt 0x19
	v_perm_b32 v3, v8, v3, 0xc0c0004
	s_wait_loadcnt 0x18
	v_perm_b32 v2, v9, v2, 0xc0c0004
	v_lshl_or_b32 v9, v5, 16, v4
	s_delay_alu instid0(VALU_DEP_2)
	v_lshl_or_b32 v8, v3, 16, v2
	s_wait_loadcnt 0x11
	v_perm_b32 v7, v16, v11, 0xc0c0004
	s_wait_loadcnt 0x10
	v_perm_b32 v6, v17, v10, 0xc0c0004
	v_perm_b32 v10, v15, v12, 0xc0c0004
	;; [unrolled: 1-line block ×3, first 2 shown]
	s_wait_loadcnt 0xb
	v_perm_b32 v15, v22, v21, 0xc0c0004
	s_wait_loadcnt 0xa
	v_perm_b32 v14, v23, v20, 0xc0c0004
	s_wait_loadcnt 0x9
	v_perm_b32 v13, v24, v19, 0xc0c0004
	s_wait_loadcnt 0x8
	v_perm_b32 v12, v25, v18, 0xc0c0004
	v_lshl_or_b32 v6, v7, 16, v6
	v_lshl_or_b32 v7, v11, 16, v10
	;; [unrolled: 1-line block ×3, first 2 shown]
	s_wait_loadcnt 0x3
	v_perm_b32 v16, v30, v26, 0xc0c0004
	s_wait_loadcnt 0x2
	v_perm_b32 v17, v29, v31, 0xc0c0004
	;; [unrolled: 2-line block ×4, first 2 shown]
	v_lshl_or_b32 v4, v13, 16, v12
	v_lshl_or_b32 v2, v17, 16, v16
	s_delay_alu instid0(VALU_DEP_3)
	v_lshl_or_b32 v3, v19, 16, v18
	s_cbranch_scc1 .LBB47_5
; %bb.1:
	v_add_nc_u32_e32 v10, -1, v0
	v_cmp_ne_u32_e32 vcc_lo, 0, v0
	s_branch .LBB47_3
.LBB47_2:                               ;   in Loop: Header=BB47_3 Depth=1
	s_or_b32 exec_lo, exec_lo, s1
	v_dual_lshrrev_b32 v24, 8, v8 :: v_dual_lshrrev_b32 v25, 16, v2
	v_lshrrev_b64 v[14:15], 24, v[8:9]
	v_lshlrev_b16 v15, 1, v8
	v_dual_lshrrev_b32 v16, 8, v9 :: v_dual_lshrrev_b32 v17, 16, v9
	s_delay_alu instid0(VALU_DEP_4)
	v_lshlrev_b16 v13, 1, v24
	v_lshlrev_b16 v35, 1, v9
	s_wait_dscnt 0x0
	v_sub_nc_u16 v12, v15, v12
	v_lshlrev_b16 v32, 1, v14
	v_lshrrev_b32_e32 v33, 8, v6
	v_sub_nc_u16 v13, v13, v8
	v_dual_lshrrev_b32 v8, 16, v8 :: v_dual_lshrrev_b32 v20, 8, v7
	v_dual_lshrrev_b32 v21, 16, v7 :: v_dual_lshrrev_b32 v30, 24, v7
	v_lshrrev_b32_e32 v31, 16, v6
	s_delay_alu instid0(VALU_DEP_4) | instskip(NEXT) | instid1(VALU_DEP_4)
	v_lshlrev_b16 v13, 8, v13
	v_lshlrev_b16 v15, 1, v8
	v_sub_nc_u16 v8, v32, v8
	v_dual_lshrrev_b32 v28, 16, v4 :: v_dual_lshrrev_b32 v29, 8, v4
	s_delay_alu instid0(VALU_DEP_4)
	v_bitop3_b16 v32, v12, v13, 0xff bitop3:0xec
	v_lshrrev_b64 v[12:13], 24, v[2:3]
	v_sub_nc_u16 v13, v15, v24
	v_lshlrev_b16 v8, 8, v8
	v_lshlrev_b16 v15, 1, v16
	v_and_b32_e32 v24, 0xffff, v32
	v_dual_lshrrev_b32 v22, 8, v5 :: v_dual_lshrrev_b32 v23, 16, v5
	s_delay_alu instid0(VALU_DEP_4)
	v_bitop3_b16 v8, v13, v8, 0xff bitop3:0xec
	v_lshrrev_b32_e32 v34, 24, v9
	v_sub_nc_u16 v9, v15, v9
	v_lshlrev_b16 v13, 1, v17
	v_dual_lshrrev_b32 v26, 8, v2 :: v_dual_lshrrev_b32 v27, 24, v5
	v_lshlrev_b32_e32 v8, 16, v8
	v_lshlrev_b16 v32, 1, v34
	v_lshlrev_b16 v9, 8, v9
	v_sub_nc_u16 v13, v13, v16
	v_dual_lshrrev_b32 v18, 8, v3 :: v_dual_lshrrev_b32 v19, 16, v3
	s_delay_alu instid0(VALU_DEP_4) | instskip(SKIP_3) | instid1(VALU_DEP_3)
	v_sub_nc_u16 v15, v32, v17
	v_sub_nc_u16 v17, v35, v14
	v_lshlrev_b16 v11, 1, v11
	s_add_co_i32 s0, s0, -1
	v_lshlrev_b16 v32, 8, v15
	v_lshrrev_b64 v[14:15], 24, v[6:7]
	v_lshlrev_b16 v15, 1, v33
	v_bitop3_b16 v9, v17, v9, 0xff bitop3:0xec
	v_lshrrev_b64 v[16:17], 24, v[4:5]
	v_bitop3_b16 v13, v13, v32, 0xff bitop3:0xec
	v_or_b32_e32 v8, v24, v8
	v_lshlrev_b16 v24, 1, v6
	v_lshlrev_b16 v17, 1, v14
	v_sub_nc_u16 v6, v15, v6
	v_lshlrev_b16 v15, 1, v31
	v_lshlrev_b16 v32, 1, v7
	v_sub_nc_u16 v24, v24, v34
	v_sub_nc_u16 v17, v17, v31
	v_lshlrev_b16 v31, 1, v20
	v_lshlrev_b16 v6, 8, v6
	v_sub_nc_u16 v15, v15, v33
	v_and_b32_e32 v9, 0xffff, v9
	v_lshlrev_b16 v17, 8, v17
	v_sub_nc_u16 v7, v31, v7
	v_bitop3_b16 v6, v24, v6, 0xff bitop3:0xec
	v_lshlrev_b16 v24, 1, v30
	v_lshlrev_b32_e32 v13, 16, v13
	v_bitop3_b16 v15, v15, v17, 0xff bitop3:0xec
	v_sub_nc_u16 v14, v32, v14
	v_lshlrev_b16 v7, 8, v7
	v_lshlrev_b16 v17, 1, v21
	v_sub_nc_u16 v21, v24, v21
	v_and_b32_e32 v6, 0xffff, v6
	v_dual_lshlrev_b32 v15, 16, v15 :: v_dual_bitop2_b32 v9, v9, v13 bitop3:0x54
	v_bitop3_b16 v7, v14, v7, 0xff bitop3:0xec
	v_sub_nc_u16 v14, v17, v20
	v_lshlrev_b16 v17, 8, v21
	v_lshlrev_b16 v13, 1, v29
	;; [unrolled: 1-line block ×4, first 2 shown]
	v_sub_nc_u16 v11, v11, v19
	v_bitop3_b16 v14, v14, v17, 0xff bitop3:0xec
	v_or_b32_e32 v6, v6, v15
	v_lshlrev_b16 v15, 1, v4
	v_sub_nc_u16 v4, v13, v4
	v_lshlrev_b16 v17, 1, v16
	v_sub_nc_u16 v5, v20, v5
	;; [unrolled: 2-line block ×5, first 2 shown]
	v_lshlrev_b16 v20, 1, v2
	v_bitop3_b16 v4, v15, v4, 0xff bitop3:0xec
	v_sub_nc_u16 v15, v21, v16
	v_lshlrev_b16 v17, 8, v17
	v_lshlrev_b16 v16, 1, v27
	;; [unrolled: 1-line block ×3, first 2 shown]
	v_sub_nc_u16 v20, v20, v27
	v_bitop3_b16 v5, v15, v5, 0xff bitop3:0xec
	v_lshlrev_b16 v15, 1, v23
	v_bitop3_b16 v13, v13, v17, 0xff bitop3:0xec
	v_lshlrev_b16 v17, 1, v26
	v_sub_nc_u16 v16, v16, v23
	v_sub_nc_u16 v21, v21, v25
	;; [unrolled: 1-line block ×3, first 2 shown]
	v_lshlrev_b16 v22, 1, v18
	v_sub_nc_u16 v2, v17, v2
	v_lshlrev_b16 v17, 1, v25
	v_lshlrev_b16 v23, 1, v3
	;; [unrolled: 1-line block ×3, first 2 shown]
	v_sub_nc_u16 v3, v22, v3
	v_lshlrev_b16 v22, 1, v19
	v_lshlrev_b16 v2, 8, v2
	v_sub_nc_u16 v17, v17, v26
	v_lshlrev_b16 v19, 8, v21
	v_sub_nc_u16 v12, v23, v12
	;; [unrolled: 2-line block ×3, first 2 shown]
	v_lshlrev_b16 v11, 8, v11
	v_bitop3_b16 v15, v15, v16, 0xff bitop3:0xec
	v_bitop3_b16 v2, v20, v2, 0xff bitop3:0xec
	;; [unrolled: 1-line block ×5, first 2 shown]
	v_and_b32_e32 v7, 0xffff, v7
	v_lshlrev_b32_e32 v14, 16, v14
	v_and_b32_e32 v4, 0xffff, v4
	v_dual_lshlrev_b32 v13, 16, v13 :: v_dual_lshlrev_b32 v12, 16, v15
	v_and_b32_e32 v5, 0xffff, v5
	v_and_b32_e32 v2, 0xffff, v2
	v_dual_lshlrev_b32 v15, 16, v16 :: v_dual_lshlrev_b32 v11, 16, v11
	v_and_b32_e32 v3, 0xffff, v3
	v_or_b32_e32 v7, v7, v14
	v_or_b32_e32 v4, v4, v13
	;; [unrolled: 1-line block ×5, first 2 shown]
	s_cmp_lg_u32 s0, 0
	s_barrier_signal -1
	s_barrier_wait -1
	s_cbranch_scc0 .LBB47_5
.LBB47_3:                               ; =>This Inner Loop Header: Depth=1
	v_dual_mov_b32 v12, 0x7b :: v_dual_lshrrev_b32 v11, 24, v3
	ds_store_b8 v0, v11
	s_wait_dscnt 0x0
	s_barrier_signal -1
	s_barrier_wait -1
	s_and_saveexec_b32 s1, vcc_lo
	s_cbranch_execz .LBB47_2
; %bb.4:                                ;   in Loop: Header=BB47_3 Depth=1
	ds_load_u8 v12, v10
	s_branch .LBB47_2
.LBB47_5:
	s_add_nc_u64 s[0:1], s[6:7], s[2:3]
	v_dual_lshrrev_b32 v10, 8, v8 :: v_dual_lshrrev_b32 v11, 24, v8
	v_add_nc_u64_e32 v[0:1], s[0:1], v[0:1]
	v_dual_lshrrev_b32 v12, 8, v9 :: v_dual_lshrrev_b32 v13, 24, v9
	s_clause 0x7
	global_store_b8 v[0:1], v8, off
	global_store_b8 v[0:1], v10, off offset:256
	global_store_d16_hi_b8 v[0:1], v8, off offset:512
	global_store_b8 v[0:1], v11, off offset:768
	global_store_b8 v[0:1], v9, off offset:1024
	global_store_b8 v[0:1], v12, off offset:1280
	global_store_d16_hi_b8 v[0:1], v9, off offset:1536
	global_store_b8 v[0:1], v13, off offset:1792
	s_wait_xcnt 0x1
	v_dual_lshrrev_b32 v8, 8, v6 :: v_dual_lshrrev_b32 v9, 24, v6
	v_dual_lshrrev_b32 v10, 8, v7 :: v_dual_lshrrev_b32 v11, 24, v7
	s_clause 0x7
	global_store_b8 v[0:1], v6, off offset:2048
	global_store_b8 v[0:1], v8, off offset:2304
	global_store_d16_hi_b8 v[0:1], v6, off offset:2560
	global_store_b8 v[0:1], v9, off offset:2816
	global_store_b8 v[0:1], v7, off offset:3072
	global_store_b8 v[0:1], v10, off offset:3328
	global_store_d16_hi_b8 v[0:1], v7, off offset:3584
	global_store_b8 v[0:1], v11, off offset:3840
	s_wait_xcnt 0x1
	v_dual_lshrrev_b32 v6, 8, v4 :: v_dual_lshrrev_b32 v7, 24, v4
	v_dual_lshrrev_b32 v8, 8, v5 :: v_dual_lshrrev_b32 v9, 24, v5
	s_clause 0x7
	global_store_b8 v[0:1], v4, off offset:4096
	;; [unrolled: 12-line block ×3, first 2 shown]
	global_store_b8 v[0:1], v4, off offset:6400
	global_store_d16_hi_b8 v[0:1], v2, off offset:6656
	global_store_b8 v[0:1], v5, off offset:6912
	global_store_b8 v[0:1], v3, off offset:7168
	;; [unrolled: 1-line block ×3, first 2 shown]
	global_store_d16_hi_b8 v[0:1], v3, off offset:7680
	global_store_b8 v[0:1], v7, off offset:7936
	s_endpgm
	.section	.rodata,"a",@progbits
	.p2align	6, 0x0
	.amdhsa_kernel _Z6kernelI13subtract_leftLj256ELj32ELb1EJPaS1_jEEvDpT3_
		.amdhsa_group_segment_fixed_size 512
		.amdhsa_private_segment_fixed_size 0
		.amdhsa_kernarg_size 20
		.amdhsa_user_sgpr_count 2
		.amdhsa_user_sgpr_dispatch_ptr 0
		.amdhsa_user_sgpr_queue_ptr 0
		.amdhsa_user_sgpr_kernarg_segment_ptr 1
		.amdhsa_user_sgpr_dispatch_id 0
		.amdhsa_user_sgpr_kernarg_preload_length 0
		.amdhsa_user_sgpr_kernarg_preload_offset 0
		.amdhsa_user_sgpr_private_segment_size 0
		.amdhsa_wavefront_size32 1
		.amdhsa_uses_dynamic_stack 0
		.amdhsa_enable_private_segment 0
		.amdhsa_system_sgpr_workgroup_id_x 1
		.amdhsa_system_sgpr_workgroup_id_y 0
		.amdhsa_system_sgpr_workgroup_id_z 0
		.amdhsa_system_sgpr_workgroup_info 0
		.amdhsa_system_vgpr_workitem_id 0
		.amdhsa_next_free_vgpr 36
		.amdhsa_next_free_sgpr 9
		.amdhsa_named_barrier_count 0
		.amdhsa_reserve_vcc 1
		.amdhsa_float_round_mode_32 0
		.amdhsa_float_round_mode_16_64 0
		.amdhsa_float_denorm_mode_32 3
		.amdhsa_float_denorm_mode_16_64 3
		.amdhsa_fp16_overflow 0
		.amdhsa_memory_ordered 1
		.amdhsa_forward_progress 1
		.amdhsa_inst_pref_size 20
		.amdhsa_round_robin_scheduling 0
		.amdhsa_exception_fp_ieee_invalid_op 0
		.amdhsa_exception_fp_denorm_src 0
		.amdhsa_exception_fp_ieee_div_zero 0
		.amdhsa_exception_fp_ieee_overflow 0
		.amdhsa_exception_fp_ieee_underflow 0
		.amdhsa_exception_fp_ieee_inexact 0
		.amdhsa_exception_int_div_zero 0
	.end_amdhsa_kernel
	.section	.text._Z6kernelI13subtract_leftLj256ELj32ELb1EJPaS1_jEEvDpT3_,"axG",@progbits,_Z6kernelI13subtract_leftLj256ELj32ELb1EJPaS1_jEEvDpT3_,comdat
.Lfunc_end47:
	.size	_Z6kernelI13subtract_leftLj256ELj32ELb1EJPaS1_jEEvDpT3_, .Lfunc_end47-_Z6kernelI13subtract_leftLj256ELj32ELb1EJPaS1_jEEvDpT3_
                                        ; -- End function
	.set _Z6kernelI13subtract_leftLj256ELj32ELb1EJPaS1_jEEvDpT3_.num_vgpr, 36
	.set _Z6kernelI13subtract_leftLj256ELj32ELb1EJPaS1_jEEvDpT3_.num_agpr, 0
	.set _Z6kernelI13subtract_leftLj256ELj32ELb1EJPaS1_jEEvDpT3_.numbered_sgpr, 9
	.set _Z6kernelI13subtract_leftLj256ELj32ELb1EJPaS1_jEEvDpT3_.num_named_barrier, 0
	.set _Z6kernelI13subtract_leftLj256ELj32ELb1EJPaS1_jEEvDpT3_.private_seg_size, 0
	.set _Z6kernelI13subtract_leftLj256ELj32ELb1EJPaS1_jEEvDpT3_.uses_vcc, 1
	.set _Z6kernelI13subtract_leftLj256ELj32ELb1EJPaS1_jEEvDpT3_.uses_flat_scratch, 0
	.set _Z6kernelI13subtract_leftLj256ELj32ELb1EJPaS1_jEEvDpT3_.has_dyn_sized_stack, 0
	.set _Z6kernelI13subtract_leftLj256ELj32ELb1EJPaS1_jEEvDpT3_.has_recursion, 0
	.set _Z6kernelI13subtract_leftLj256ELj32ELb1EJPaS1_jEEvDpT3_.has_indirect_call, 0
	.section	.AMDGPU.csdata,"",@progbits
; Kernel info:
; codeLenInByte = 2536
; TotalNumSgprs: 11
; NumVgprs: 36
; ScratchSize: 0
; MemoryBound: 0
; FloatMode: 240
; IeeeMode: 1
; LDSByteSize: 512 bytes/workgroup (compile time only)
; SGPRBlocks: 0
; VGPRBlocks: 2
; NumSGPRsForWavesPerEU: 11
; NumVGPRsForWavesPerEU: 36
; NamedBarCnt: 0
; Occupancy: 16
; WaveLimiterHint : 1
; COMPUTE_PGM_RSRC2:SCRATCH_EN: 0
; COMPUTE_PGM_RSRC2:USER_SGPR: 2
; COMPUTE_PGM_RSRC2:TRAP_HANDLER: 0
; COMPUTE_PGM_RSRC2:TGID_X_EN: 1
; COMPUTE_PGM_RSRC2:TGID_Y_EN: 0
; COMPUTE_PGM_RSRC2:TGID_Z_EN: 0
; COMPUTE_PGM_RSRC2:TIDIG_COMP_CNT: 0
	.section	.text._Z6kernelI13subtract_leftLj256ELj1ELb1EJPxS1_jEEvDpT3_,"axG",@progbits,_Z6kernelI13subtract_leftLj256ELj1ELb1EJPxS1_jEEvDpT3_,comdat
	.protected	_Z6kernelI13subtract_leftLj256ELj1ELb1EJPxS1_jEEvDpT3_ ; -- Begin function _Z6kernelI13subtract_leftLj256ELj1ELb1EJPxS1_jEEvDpT3_
	.globl	_Z6kernelI13subtract_leftLj256ELj1ELb1EJPxS1_jEEvDpT3_
	.p2align	8
	.type	_Z6kernelI13subtract_leftLj256ELj1ELb1EJPxS1_jEEvDpT3_,@function
_Z6kernelI13subtract_leftLj256ELj1ELb1EJPxS1_jEEvDpT3_: ; @_Z6kernelI13subtract_leftLj256ELj1ELb1EJPxS1_jEEvDpT3_
; %bb.0:
	s_load_b128 s[4:7], s[0:1], 0x0
	s_bfe_u32 s2, ttmp6, 0x4000c
	s_and_b32 s3, ttmp6, 15
	s_add_co_i32 s2, s2, 1
	s_getreg_b32 s8, hwreg(HW_REG_IB_STS2, 6, 4)
	s_mul_i32 s2, ttmp9, s2
	s_wait_xcnt 0x0
	s_load_b32 s0, s[0:1], 0x10
	s_add_co_i32 s3, s3, s2
	s_cmp_eq_u32 s8, 0
	s_cselect_b32 s2, ttmp9, s3
	s_mov_b32 s3, 0
	s_lshl_b32 s2, s2, 8
	s_delay_alu instid0(SALU_CYCLE_1)
	s_lshl_b64 s[2:3], s[2:3], 3
	s_wait_kmcnt 0x0
	s_add_nc_u64 s[4:5], s[4:5], s[2:3]
	global_load_b64 v[2:3], v0, s[4:5] scale_offset
	s_cmp_eq_u32 s0, 0
	s_cbranch_scc1 .LBB48_5
; %bb.1:
	v_lshlrev_b32_e32 v1, 3, v0
	v_cmp_ne_u32_e32 vcc_lo, 0, v0
	s_delay_alu instid0(VALU_DEP_2)
	v_add_nc_u32_e32 v6, -8, v1
	s_branch .LBB48_3
.LBB48_2:                               ;   in Loop: Header=BB48_3 Depth=1
	s_or_b32 exec_lo, exec_lo, s1
	v_lshlrev_b64_e32 v[2:3], 1, v[2:3]
	s_add_co_i32 s0, s0, -1
	s_wait_dscnt 0x0
	s_cmp_lg_u32 s0, 0
	s_barrier_signal -1
	s_barrier_wait -1
	s_delay_alu instid0(VALU_DEP_1)
	v_sub_nc_u64_e32 v[2:3], v[2:3], v[4:5]
	s_cbranch_scc0 .LBB48_5
.LBB48_3:                               ; =>This Inner Loop Header: Depth=1
	v_mov_b64_e32 v[4:5], 0x7b
	s_wait_loadcnt 0x0
	ds_store_b64 v1, v[2:3]
	s_wait_dscnt 0x0
	s_barrier_signal -1
	s_barrier_wait -1
	s_and_saveexec_b32 s1, vcc_lo
	s_cbranch_execz .LBB48_2
; %bb.4:                                ;   in Loop: Header=BB48_3 Depth=1
	ds_load_b64 v[4:5], v6
	s_branch .LBB48_2
.LBB48_5:
	s_add_nc_u64 s[0:1], s[6:7], s[2:3]
	s_wait_loadcnt 0x0
	global_store_b64 v0, v[2:3], s[0:1] scale_offset
	s_endpgm
	.section	.rodata,"a",@progbits
	.p2align	6, 0x0
	.amdhsa_kernel _Z6kernelI13subtract_leftLj256ELj1ELb1EJPxS1_jEEvDpT3_
		.amdhsa_group_segment_fixed_size 4096
		.amdhsa_private_segment_fixed_size 0
		.amdhsa_kernarg_size 20
		.amdhsa_user_sgpr_count 2
		.amdhsa_user_sgpr_dispatch_ptr 0
		.amdhsa_user_sgpr_queue_ptr 0
		.amdhsa_user_sgpr_kernarg_segment_ptr 1
		.amdhsa_user_sgpr_dispatch_id 0
		.amdhsa_user_sgpr_kernarg_preload_length 0
		.amdhsa_user_sgpr_kernarg_preload_offset 0
		.amdhsa_user_sgpr_private_segment_size 0
		.amdhsa_wavefront_size32 1
		.amdhsa_uses_dynamic_stack 0
		.amdhsa_enable_private_segment 0
		.amdhsa_system_sgpr_workgroup_id_x 1
		.amdhsa_system_sgpr_workgroup_id_y 0
		.amdhsa_system_sgpr_workgroup_id_z 0
		.amdhsa_system_sgpr_workgroup_info 0
		.amdhsa_system_vgpr_workitem_id 0
		.amdhsa_next_free_vgpr 7
		.amdhsa_next_free_sgpr 9
		.amdhsa_named_barrier_count 0
		.amdhsa_reserve_vcc 1
		.amdhsa_float_round_mode_32 0
		.amdhsa_float_round_mode_16_64 0
		.amdhsa_float_denorm_mode_32 3
		.amdhsa_float_denorm_mode_16_64 3
		.amdhsa_fp16_overflow 0
		.amdhsa_memory_ordered 1
		.amdhsa_forward_progress 1
		.amdhsa_inst_pref_size 2
		.amdhsa_round_robin_scheduling 0
		.amdhsa_exception_fp_ieee_invalid_op 0
		.amdhsa_exception_fp_denorm_src 0
		.amdhsa_exception_fp_ieee_div_zero 0
		.amdhsa_exception_fp_ieee_overflow 0
		.amdhsa_exception_fp_ieee_underflow 0
		.amdhsa_exception_fp_ieee_inexact 0
		.amdhsa_exception_int_div_zero 0
	.end_amdhsa_kernel
	.section	.text._Z6kernelI13subtract_leftLj256ELj1ELb1EJPxS1_jEEvDpT3_,"axG",@progbits,_Z6kernelI13subtract_leftLj256ELj1ELb1EJPxS1_jEEvDpT3_,comdat
.Lfunc_end48:
	.size	_Z6kernelI13subtract_leftLj256ELj1ELb1EJPxS1_jEEvDpT3_, .Lfunc_end48-_Z6kernelI13subtract_leftLj256ELj1ELb1EJPxS1_jEEvDpT3_
                                        ; -- End function
	.set _Z6kernelI13subtract_leftLj256ELj1ELb1EJPxS1_jEEvDpT3_.num_vgpr, 7
	.set _Z6kernelI13subtract_leftLj256ELj1ELb1EJPxS1_jEEvDpT3_.num_agpr, 0
	.set _Z6kernelI13subtract_leftLj256ELj1ELb1EJPxS1_jEEvDpT3_.numbered_sgpr, 9
	.set _Z6kernelI13subtract_leftLj256ELj1ELb1EJPxS1_jEEvDpT3_.num_named_barrier, 0
	.set _Z6kernelI13subtract_leftLj256ELj1ELb1EJPxS1_jEEvDpT3_.private_seg_size, 0
	.set _Z6kernelI13subtract_leftLj256ELj1ELb1EJPxS1_jEEvDpT3_.uses_vcc, 1
	.set _Z6kernelI13subtract_leftLj256ELj1ELb1EJPxS1_jEEvDpT3_.uses_flat_scratch, 0
	.set _Z6kernelI13subtract_leftLj256ELj1ELb1EJPxS1_jEEvDpT3_.has_dyn_sized_stack, 0
	.set _Z6kernelI13subtract_leftLj256ELj1ELb1EJPxS1_jEEvDpT3_.has_recursion, 0
	.set _Z6kernelI13subtract_leftLj256ELj1ELb1EJPxS1_jEEvDpT3_.has_indirect_call, 0
	.section	.AMDGPU.csdata,"",@progbits
; Kernel info:
; codeLenInByte = 236
; TotalNumSgprs: 11
; NumVgprs: 7
; ScratchSize: 0
; MemoryBound: 0
; FloatMode: 240
; IeeeMode: 1
; LDSByteSize: 4096 bytes/workgroup (compile time only)
; SGPRBlocks: 0
; VGPRBlocks: 0
; NumSGPRsForWavesPerEU: 11
; NumVGPRsForWavesPerEU: 7
; NamedBarCnt: 0
; Occupancy: 16
; WaveLimiterHint : 0
; COMPUTE_PGM_RSRC2:SCRATCH_EN: 0
; COMPUTE_PGM_RSRC2:USER_SGPR: 2
; COMPUTE_PGM_RSRC2:TRAP_HANDLER: 0
; COMPUTE_PGM_RSRC2:TGID_X_EN: 1
; COMPUTE_PGM_RSRC2:TGID_Y_EN: 0
; COMPUTE_PGM_RSRC2:TGID_Z_EN: 0
; COMPUTE_PGM_RSRC2:TIDIG_COMP_CNT: 0
	.section	.text._Z6kernelI13subtract_leftLj256ELj3ELb1EJPxS1_jEEvDpT3_,"axG",@progbits,_Z6kernelI13subtract_leftLj256ELj3ELb1EJPxS1_jEEvDpT3_,comdat
	.protected	_Z6kernelI13subtract_leftLj256ELj3ELb1EJPxS1_jEEvDpT3_ ; -- Begin function _Z6kernelI13subtract_leftLj256ELj3ELb1EJPxS1_jEEvDpT3_
	.globl	_Z6kernelI13subtract_leftLj256ELj3ELb1EJPxS1_jEEvDpT3_
	.p2align	8
	.type	_Z6kernelI13subtract_leftLj256ELj3ELb1EJPxS1_jEEvDpT3_,@function
_Z6kernelI13subtract_leftLj256ELj3ELb1EJPxS1_jEEvDpT3_: ; @_Z6kernelI13subtract_leftLj256ELj3ELb1EJPxS1_jEEvDpT3_
; %bb.0:
	s_load_b128 s[4:7], s[0:1], 0x0
	s_bfe_u32 s2, ttmp6, 0x4000c
	s_and_b32 s3, ttmp6, 15
	s_add_co_i32 s2, s2, 1
	s_getreg_b32 s8, hwreg(HW_REG_IB_STS2, 6, 4)
	s_mul_i32 s2, ttmp9, s2
	s_wait_xcnt 0x0
	s_load_b32 s0, s[0:1], 0x10
	s_add_co_i32 s3, s3, s2
	s_cmp_eq_u32 s8, 0
	s_cselect_b32 s2, ttmp9, s3
	s_mov_b32 s3, 0
	s_mulk_i32 s2, 0x300
	s_delay_alu instid0(SALU_CYCLE_1)
	s_lshl_b64 s[2:3], s[2:3], 3
	s_wait_kmcnt 0x0
	s_add_nc_u64 s[4:5], s[4:5], s[2:3]
	s_clause 0x2
	global_load_b64 v[4:5], v0, s[4:5] scale_offset
	global_load_b64 v[6:7], v0, s[4:5] offset:2048 scale_offset
	global_load_b64 v[2:3], v0, s[4:5] offset:4096 scale_offset
	s_cmp_eq_u32 s0, 0
	s_cbranch_scc1 .LBB49_6
; %bb.1:
	v_lshlrev_b32_e32 v1, 3, v0
	v_cmp_ne_u32_e32 vcc_lo, 0, v0
	s_delay_alu instid0(VALU_DEP_2)
	v_add_nc_u32_e32 v12, -8, v1
.LBB49_2:                               ; =>This Inner Loop Header: Depth=1
	v_mov_b64_e32 v[8:9], 0x7b
	s_wait_loadcnt 0x0
	ds_store_b64 v1, v[2:3]
	s_wait_dscnt 0x0
	s_barrier_signal -1
	s_barrier_wait -1
	s_and_saveexec_b32 s1, vcc_lo
; %bb.3:                                ;   in Loop: Header=BB49_2 Depth=1
	ds_load_b64 v[8:9], v12
; %bb.4:                                ;   in Loop: Header=BB49_2 Depth=1
	s_or_b32 exec_lo, exec_lo, s1
	v_lshlrev_b64_e32 v[10:11], 1, v[4:5]
	v_lshlrev_b64_e32 v[14:15], 1, v[6:7]
	v_lshlrev_b64_e32 v[2:3], 1, v[2:3]
	s_add_co_i32 s0, s0, -1
	s_wait_dscnt 0x0
	s_cmp_lg_u32 s0, 0
	s_barrier_signal -1
	v_sub_nc_u64_e32 v[10:11], v[10:11], v[8:9]
	v_sub_nc_u64_e32 v[8:9], v[14:15], v[4:5]
	;; [unrolled: 1-line block ×3, first 2 shown]
	s_barrier_wait -1
	s_cbranch_scc0 .LBB49_7
; %bb.5:                                ;   in Loop: Header=BB49_2 Depth=1
	s_delay_alu instid0(VALU_DEP_3) | instskip(NEXT) | instid1(VALU_DEP_3)
	v_mov_b64_e32 v[4:5], v[10:11]
	v_mov_b64_e32 v[6:7], v[8:9]
	s_branch .LBB49_2
.LBB49_6:
	s_wait_loadcnt 0x1
	v_mov_b64_e32 v[8:9], v[6:7]
	v_mov_b64_e32 v[10:11], v[4:5]
.LBB49_7:
	s_add_nc_u64 s[0:1], s[6:7], s[2:3]
	s_clause 0x1
	global_store_b64 v0, v[10:11], s[0:1] scale_offset
	global_store_b64 v0, v[8:9], s[0:1] offset:2048 scale_offset
	s_wait_loadcnt 0x0
	global_store_b64 v0, v[2:3], s[0:1] offset:4096 scale_offset
	s_endpgm
	.section	.rodata,"a",@progbits
	.p2align	6, 0x0
	.amdhsa_kernel _Z6kernelI13subtract_leftLj256ELj3ELb1EJPxS1_jEEvDpT3_
		.amdhsa_group_segment_fixed_size 4096
		.amdhsa_private_segment_fixed_size 0
		.amdhsa_kernarg_size 20
		.amdhsa_user_sgpr_count 2
		.amdhsa_user_sgpr_dispatch_ptr 0
		.amdhsa_user_sgpr_queue_ptr 0
		.amdhsa_user_sgpr_kernarg_segment_ptr 1
		.amdhsa_user_sgpr_dispatch_id 0
		.amdhsa_user_sgpr_kernarg_preload_length 0
		.amdhsa_user_sgpr_kernarg_preload_offset 0
		.amdhsa_user_sgpr_private_segment_size 0
		.amdhsa_wavefront_size32 1
		.amdhsa_uses_dynamic_stack 0
		.amdhsa_enable_private_segment 0
		.amdhsa_system_sgpr_workgroup_id_x 1
		.amdhsa_system_sgpr_workgroup_id_y 0
		.amdhsa_system_sgpr_workgroup_id_z 0
		.amdhsa_system_sgpr_workgroup_info 0
		.amdhsa_system_vgpr_workitem_id 0
		.amdhsa_next_free_vgpr 16
		.amdhsa_next_free_sgpr 9
		.amdhsa_named_barrier_count 0
		.amdhsa_reserve_vcc 1
		.amdhsa_float_round_mode_32 0
		.amdhsa_float_round_mode_16_64 0
		.amdhsa_float_denorm_mode_32 3
		.amdhsa_float_denorm_mode_16_64 3
		.amdhsa_fp16_overflow 0
		.amdhsa_memory_ordered 1
		.amdhsa_forward_progress 1
		.amdhsa_inst_pref_size 3
		.amdhsa_round_robin_scheduling 0
		.amdhsa_exception_fp_ieee_invalid_op 0
		.amdhsa_exception_fp_denorm_src 0
		.amdhsa_exception_fp_ieee_div_zero 0
		.amdhsa_exception_fp_ieee_overflow 0
		.amdhsa_exception_fp_ieee_underflow 0
		.amdhsa_exception_fp_ieee_inexact 0
		.amdhsa_exception_int_div_zero 0
	.end_amdhsa_kernel
	.section	.text._Z6kernelI13subtract_leftLj256ELj3ELb1EJPxS1_jEEvDpT3_,"axG",@progbits,_Z6kernelI13subtract_leftLj256ELj3ELb1EJPxS1_jEEvDpT3_,comdat
.Lfunc_end49:
	.size	_Z6kernelI13subtract_leftLj256ELj3ELb1EJPxS1_jEEvDpT3_, .Lfunc_end49-_Z6kernelI13subtract_leftLj256ELj3ELb1EJPxS1_jEEvDpT3_
                                        ; -- End function
	.set _Z6kernelI13subtract_leftLj256ELj3ELb1EJPxS1_jEEvDpT3_.num_vgpr, 16
	.set _Z6kernelI13subtract_leftLj256ELj3ELb1EJPxS1_jEEvDpT3_.num_agpr, 0
	.set _Z6kernelI13subtract_leftLj256ELj3ELb1EJPxS1_jEEvDpT3_.numbered_sgpr, 9
	.set _Z6kernelI13subtract_leftLj256ELj3ELb1EJPxS1_jEEvDpT3_.num_named_barrier, 0
	.set _Z6kernelI13subtract_leftLj256ELj3ELb1EJPxS1_jEEvDpT3_.private_seg_size, 0
	.set _Z6kernelI13subtract_leftLj256ELj3ELb1EJPxS1_jEEvDpT3_.uses_vcc, 1
	.set _Z6kernelI13subtract_leftLj256ELj3ELb1EJPxS1_jEEvDpT3_.uses_flat_scratch, 0
	.set _Z6kernelI13subtract_leftLj256ELj3ELb1EJPxS1_jEEvDpT3_.has_dyn_sized_stack, 0
	.set _Z6kernelI13subtract_leftLj256ELj3ELb1EJPxS1_jEEvDpT3_.has_recursion, 0
	.set _Z6kernelI13subtract_leftLj256ELj3ELb1EJPxS1_jEEvDpT3_.has_indirect_call, 0
	.section	.AMDGPU.csdata,"",@progbits
; Kernel info:
; codeLenInByte = 320
; TotalNumSgprs: 11
; NumVgprs: 16
; ScratchSize: 0
; MemoryBound: 0
; FloatMode: 240
; IeeeMode: 1
; LDSByteSize: 4096 bytes/workgroup (compile time only)
; SGPRBlocks: 0
; VGPRBlocks: 0
; NumSGPRsForWavesPerEU: 11
; NumVGPRsForWavesPerEU: 16
; NamedBarCnt: 0
; Occupancy: 16
; WaveLimiterHint : 1
; COMPUTE_PGM_RSRC2:SCRATCH_EN: 0
; COMPUTE_PGM_RSRC2:USER_SGPR: 2
; COMPUTE_PGM_RSRC2:TRAP_HANDLER: 0
; COMPUTE_PGM_RSRC2:TGID_X_EN: 1
; COMPUTE_PGM_RSRC2:TGID_Y_EN: 0
; COMPUTE_PGM_RSRC2:TGID_Z_EN: 0
; COMPUTE_PGM_RSRC2:TIDIG_COMP_CNT: 0
	.section	.text._Z6kernelI13subtract_leftLj256ELj4ELb1EJPxS1_jEEvDpT3_,"axG",@progbits,_Z6kernelI13subtract_leftLj256ELj4ELb1EJPxS1_jEEvDpT3_,comdat
	.protected	_Z6kernelI13subtract_leftLj256ELj4ELb1EJPxS1_jEEvDpT3_ ; -- Begin function _Z6kernelI13subtract_leftLj256ELj4ELb1EJPxS1_jEEvDpT3_
	.globl	_Z6kernelI13subtract_leftLj256ELj4ELb1EJPxS1_jEEvDpT3_
	.p2align	8
	.type	_Z6kernelI13subtract_leftLj256ELj4ELb1EJPxS1_jEEvDpT3_,@function
_Z6kernelI13subtract_leftLj256ELj4ELb1EJPxS1_jEEvDpT3_: ; @_Z6kernelI13subtract_leftLj256ELj4ELb1EJPxS1_jEEvDpT3_
; %bb.0:
	s_load_b128 s[4:7], s[0:1], 0x0
	s_bfe_u32 s2, ttmp6, 0x4000c
	s_and_b32 s3, ttmp6, 15
	s_add_co_i32 s2, s2, 1
	s_getreg_b32 s8, hwreg(HW_REG_IB_STS2, 6, 4)
	s_mul_i32 s2, ttmp9, s2
	s_wait_xcnt 0x0
	s_load_b32 s0, s[0:1], 0x10
	s_add_co_i32 s3, s3, s2
	s_cmp_eq_u32 s8, 0
	s_cselect_b32 s2, ttmp9, s3
	s_mov_b32 s3, 0
	s_lshl_b32 s2, s2, 10
	s_delay_alu instid0(SALU_CYCLE_1)
	s_lshl_b64 s[2:3], s[2:3], 3
	s_wait_kmcnt 0x0
	s_add_nc_u64 s[4:5], s[4:5], s[2:3]
	s_clause 0x3
	global_load_b64 v[4:5], v0, s[4:5] scale_offset
	global_load_b64 v[6:7], v0, s[4:5] offset:2048 scale_offset
	global_load_b64 v[8:9], v0, s[4:5] offset:4096 scale_offset
	;; [unrolled: 1-line block ×3, first 2 shown]
	s_cmp_eq_u32 s0, 0
	s_cbranch_scc1 .LBB50_6
; %bb.1:
	v_lshlrev_b32_e32 v1, 3, v0
	v_cmp_ne_u32_e32 vcc_lo, 0, v0
	s_delay_alu instid0(VALU_DEP_2)
	v_add_nc_u32_e32 v16, -8, v1
.LBB50_2:                               ; =>This Inner Loop Header: Depth=1
	v_mov_b64_e32 v[10:11], 0x7b
	s_wait_loadcnt 0x0
	ds_store_b64 v1, v[2:3]
	s_wait_dscnt 0x0
	s_barrier_signal -1
	s_barrier_wait -1
	s_and_saveexec_b32 s1, vcc_lo
; %bb.3:                                ;   in Loop: Header=BB50_2 Depth=1
	ds_load_b64 v[10:11], v16
; %bb.4:                                ;   in Loop: Header=BB50_2 Depth=1
	s_or_b32 exec_lo, exec_lo, s1
	v_lshlrev_b64_e32 v[12:13], 1, v[4:5]
	v_lshlrev_b64_e32 v[18:19], 1, v[6:7]
	;; [unrolled: 1-line block ×4, first 2 shown]
	s_add_co_i32 s0, s0, -1
	s_wait_dscnt 0x0
	s_cmp_lg_u32 s0, 0
	v_sub_nc_u64_e32 v[14:15], v[12:13], v[10:11]
	v_sub_nc_u64_e32 v[12:13], v[18:19], v[4:5]
	;; [unrolled: 1-line block ×4, first 2 shown]
	s_barrier_signal -1
	s_barrier_wait -1
	s_cbranch_scc0 .LBB50_7
; %bb.5:                                ;   in Loop: Header=BB50_2 Depth=1
	v_mov_b64_e32 v[4:5], v[14:15]
	v_mov_b64_e32 v[6:7], v[12:13]
	;; [unrolled: 1-line block ×3, first 2 shown]
	s_branch .LBB50_2
.LBB50_6:
	s_wait_loadcnt 0x1
	v_mov_b64_e32 v[10:11], v[8:9]
	v_mov_b64_e32 v[12:13], v[6:7]
	;; [unrolled: 1-line block ×3, first 2 shown]
.LBB50_7:
	s_add_nc_u64 s[0:1], s[6:7], s[2:3]
	s_clause 0x2
	global_store_b64 v0, v[14:15], s[0:1] scale_offset
	global_store_b64 v0, v[12:13], s[0:1] offset:2048 scale_offset
	global_store_b64 v0, v[10:11], s[0:1] offset:4096 scale_offset
	s_wait_loadcnt 0x0
	global_store_b64 v0, v[2:3], s[0:1] offset:6144 scale_offset
	s_endpgm
	.section	.rodata,"a",@progbits
	.p2align	6, 0x0
	.amdhsa_kernel _Z6kernelI13subtract_leftLj256ELj4ELb1EJPxS1_jEEvDpT3_
		.amdhsa_group_segment_fixed_size 4096
		.amdhsa_private_segment_fixed_size 0
		.amdhsa_kernarg_size 20
		.amdhsa_user_sgpr_count 2
		.amdhsa_user_sgpr_dispatch_ptr 0
		.amdhsa_user_sgpr_queue_ptr 0
		.amdhsa_user_sgpr_kernarg_segment_ptr 1
		.amdhsa_user_sgpr_dispatch_id 0
		.amdhsa_user_sgpr_kernarg_preload_length 0
		.amdhsa_user_sgpr_kernarg_preload_offset 0
		.amdhsa_user_sgpr_private_segment_size 0
		.amdhsa_wavefront_size32 1
		.amdhsa_uses_dynamic_stack 0
		.amdhsa_enable_private_segment 0
		.amdhsa_system_sgpr_workgroup_id_x 1
		.amdhsa_system_sgpr_workgroup_id_y 0
		.amdhsa_system_sgpr_workgroup_id_z 0
		.amdhsa_system_sgpr_workgroup_info 0
		.amdhsa_system_vgpr_workitem_id 0
		.amdhsa_next_free_vgpr 22
		.amdhsa_next_free_sgpr 9
		.amdhsa_named_barrier_count 0
		.amdhsa_reserve_vcc 1
		.amdhsa_float_round_mode_32 0
		.amdhsa_float_round_mode_16_64 0
		.amdhsa_float_denorm_mode_32 3
		.amdhsa_float_denorm_mode_16_64 3
		.amdhsa_fp16_overflow 0
		.amdhsa_memory_ordered 1
		.amdhsa_forward_progress 1
		.amdhsa_inst_pref_size 3
		.amdhsa_round_robin_scheduling 0
		.amdhsa_exception_fp_ieee_invalid_op 0
		.amdhsa_exception_fp_denorm_src 0
		.amdhsa_exception_fp_ieee_div_zero 0
		.amdhsa_exception_fp_ieee_overflow 0
		.amdhsa_exception_fp_ieee_underflow 0
		.amdhsa_exception_fp_ieee_inexact 0
		.amdhsa_exception_int_div_zero 0
	.end_amdhsa_kernel
	.section	.text._Z6kernelI13subtract_leftLj256ELj4ELb1EJPxS1_jEEvDpT3_,"axG",@progbits,_Z6kernelI13subtract_leftLj256ELj4ELb1EJPxS1_jEEvDpT3_,comdat
.Lfunc_end50:
	.size	_Z6kernelI13subtract_leftLj256ELj4ELb1EJPxS1_jEEvDpT3_, .Lfunc_end50-_Z6kernelI13subtract_leftLj256ELj4ELb1EJPxS1_jEEvDpT3_
                                        ; -- End function
	.set _Z6kernelI13subtract_leftLj256ELj4ELb1EJPxS1_jEEvDpT3_.num_vgpr, 22
	.set _Z6kernelI13subtract_leftLj256ELj4ELb1EJPxS1_jEEvDpT3_.num_agpr, 0
	.set _Z6kernelI13subtract_leftLj256ELj4ELb1EJPxS1_jEEvDpT3_.numbered_sgpr, 9
	.set _Z6kernelI13subtract_leftLj256ELj4ELb1EJPxS1_jEEvDpT3_.num_named_barrier, 0
	.set _Z6kernelI13subtract_leftLj256ELj4ELb1EJPxS1_jEEvDpT3_.private_seg_size, 0
	.set _Z6kernelI13subtract_leftLj256ELj4ELb1EJPxS1_jEEvDpT3_.uses_vcc, 1
	.set _Z6kernelI13subtract_leftLj256ELj4ELb1EJPxS1_jEEvDpT3_.uses_flat_scratch, 0
	.set _Z6kernelI13subtract_leftLj256ELj4ELb1EJPxS1_jEEvDpT3_.has_dyn_sized_stack, 0
	.set _Z6kernelI13subtract_leftLj256ELj4ELb1EJPxS1_jEEvDpT3_.has_recursion, 0
	.set _Z6kernelI13subtract_leftLj256ELj4ELb1EJPxS1_jEEvDpT3_.has_indirect_call, 0
	.section	.AMDGPU.csdata,"",@progbits
; Kernel info:
; codeLenInByte = 356
; TotalNumSgprs: 11
; NumVgprs: 22
; ScratchSize: 0
; MemoryBound: 0
; FloatMode: 240
; IeeeMode: 1
; LDSByteSize: 4096 bytes/workgroup (compile time only)
; SGPRBlocks: 0
; VGPRBlocks: 1
; NumSGPRsForWavesPerEU: 11
; NumVGPRsForWavesPerEU: 22
; NamedBarCnt: 0
; Occupancy: 16
; WaveLimiterHint : 1
; COMPUTE_PGM_RSRC2:SCRATCH_EN: 0
; COMPUTE_PGM_RSRC2:USER_SGPR: 2
; COMPUTE_PGM_RSRC2:TRAP_HANDLER: 0
; COMPUTE_PGM_RSRC2:TGID_X_EN: 1
; COMPUTE_PGM_RSRC2:TGID_Y_EN: 0
; COMPUTE_PGM_RSRC2:TGID_Z_EN: 0
; COMPUTE_PGM_RSRC2:TIDIG_COMP_CNT: 0
	.section	.text._Z6kernelI13subtract_leftLj256ELj8ELb1EJPxS1_jEEvDpT3_,"axG",@progbits,_Z6kernelI13subtract_leftLj256ELj8ELb1EJPxS1_jEEvDpT3_,comdat
	.protected	_Z6kernelI13subtract_leftLj256ELj8ELb1EJPxS1_jEEvDpT3_ ; -- Begin function _Z6kernelI13subtract_leftLj256ELj8ELb1EJPxS1_jEEvDpT3_
	.globl	_Z6kernelI13subtract_leftLj256ELj8ELb1EJPxS1_jEEvDpT3_
	.p2align	8
	.type	_Z6kernelI13subtract_leftLj256ELj8ELb1EJPxS1_jEEvDpT3_,@function
_Z6kernelI13subtract_leftLj256ELj8ELb1EJPxS1_jEEvDpT3_: ; @_Z6kernelI13subtract_leftLj256ELj8ELb1EJPxS1_jEEvDpT3_
; %bb.0:
	s_load_b128 s[4:7], s[0:1], 0x0
	s_bfe_u32 s2, ttmp6, 0x4000c
	s_and_b32 s3, ttmp6, 15
	s_add_co_i32 s2, s2, 1
	s_getreg_b32 s8, hwreg(HW_REG_IB_STS2, 6, 4)
	s_mul_i32 s2, ttmp9, s2
	s_wait_xcnt 0x0
	s_load_b32 s0, s[0:1], 0x10
	s_add_co_i32 s3, s3, s2
	s_cmp_eq_u32 s8, 0
	s_cselect_b32 s2, ttmp9, s3
	s_mov_b32 s3, 0
	s_lshl_b32 s2, s2, 11
	s_delay_alu instid0(SALU_CYCLE_1)
	s_lshl_b64 s[2:3], s[2:3], 3
	s_wait_kmcnt 0x0
	s_add_nc_u64 s[4:5], s[4:5], s[2:3]
	s_clause 0x7
	global_load_b64 v[16:17], v0, s[4:5] scale_offset
	global_load_b64 v[14:15], v0, s[4:5] offset:2048 scale_offset
	global_load_b64 v[12:13], v0, s[4:5] offset:4096 scale_offset
	;; [unrolled: 1-line block ×7, first 2 shown]
	s_cmp_eq_u32 s0, 0
	s_cbranch_scc1 .LBB51_5
; %bb.1:
	v_lshlrev_b32_e32 v1, 3, v0
	v_cmp_ne_u32_e32 vcc_lo, 0, v0
	s_delay_alu instid0(VALU_DEP_2)
	v_add_nc_u32_e32 v20, -8, v1
	s_branch .LBB51_3
.LBB51_2:                               ;   in Loop: Header=BB51_3 Depth=1
	s_or_b32 exec_lo, exec_lo, s1
	v_sub_nc_u64_e32 v[22:23], v[2:3], v[4:5]
	s_wait_dscnt 0x0
	v_sub_nc_u64_e32 v[18:19], v[16:17], v[18:19]
	v_sub_nc_u64_e32 v[24:25], v[14:15], v[16:17]
	;; [unrolled: 1-line block ×7, first 2 shown]
	v_add_nc_u64_e32 v[16:17], v[18:19], v[16:17]
	v_add_nc_u64_e32 v[14:15], v[24:25], v[14:15]
	;; [unrolled: 1-line block ×8, first 2 shown]
	s_add_co_i32 s0, s0, -1
	s_delay_alu instid0(SALU_CYCLE_1)
	s_cmp_lg_u32 s0, 0
	s_barrier_signal -1
	s_barrier_wait -1
	s_cbranch_scc0 .LBB51_5
.LBB51_3:                               ; =>This Inner Loop Header: Depth=1
	v_mov_b64_e32 v[18:19], 0x7b
	s_wait_loadcnt 0x0
	ds_store_b64 v1, v[2:3]
	s_wait_dscnt 0x0
	s_barrier_signal -1
	s_barrier_wait -1
	s_and_saveexec_b32 s1, vcc_lo
	s_cbranch_execz .LBB51_2
; %bb.4:                                ;   in Loop: Header=BB51_3 Depth=1
	ds_load_b64 v[18:19], v20
	s_branch .LBB51_2
.LBB51_5:
	s_add_nc_u64 s[0:1], s[6:7], s[2:3]
	s_wait_loadcnt 0x7
	global_store_b64 v0, v[16:17], s[0:1] scale_offset
	s_wait_loadcnt 0x6
	global_store_b64 v0, v[14:15], s[0:1] offset:2048 scale_offset
	s_wait_loadcnt 0x5
	global_store_b64 v0, v[12:13], s[0:1] offset:4096 scale_offset
	;; [unrolled: 2-line block ×7, first 2 shown]
	s_endpgm
	.section	.rodata,"a",@progbits
	.p2align	6, 0x0
	.amdhsa_kernel _Z6kernelI13subtract_leftLj256ELj8ELb1EJPxS1_jEEvDpT3_
		.amdhsa_group_segment_fixed_size 4096
		.amdhsa_private_segment_fixed_size 0
		.amdhsa_kernarg_size 20
		.amdhsa_user_sgpr_count 2
		.amdhsa_user_sgpr_dispatch_ptr 0
		.amdhsa_user_sgpr_queue_ptr 0
		.amdhsa_user_sgpr_kernarg_segment_ptr 1
		.amdhsa_user_sgpr_dispatch_id 0
		.amdhsa_user_sgpr_kernarg_preload_length 0
		.amdhsa_user_sgpr_kernarg_preload_offset 0
		.amdhsa_user_sgpr_private_segment_size 0
		.amdhsa_wavefront_size32 1
		.amdhsa_uses_dynamic_stack 0
		.amdhsa_enable_private_segment 0
		.amdhsa_system_sgpr_workgroup_id_x 1
		.amdhsa_system_sgpr_workgroup_id_y 0
		.amdhsa_system_sgpr_workgroup_id_z 0
		.amdhsa_system_sgpr_workgroup_info 0
		.amdhsa_system_vgpr_workitem_id 0
		.amdhsa_next_free_vgpr 36
		.amdhsa_next_free_sgpr 9
		.amdhsa_named_barrier_count 0
		.amdhsa_reserve_vcc 1
		.amdhsa_float_round_mode_32 0
		.amdhsa_float_round_mode_16_64 0
		.amdhsa_float_denorm_mode_32 3
		.amdhsa_float_denorm_mode_16_64 3
		.amdhsa_fp16_overflow 0
		.amdhsa_memory_ordered 1
		.amdhsa_forward_progress 1
		.amdhsa_inst_pref_size 4
		.amdhsa_round_robin_scheduling 0
		.amdhsa_exception_fp_ieee_invalid_op 0
		.amdhsa_exception_fp_denorm_src 0
		.amdhsa_exception_fp_ieee_div_zero 0
		.amdhsa_exception_fp_ieee_overflow 0
		.amdhsa_exception_fp_ieee_underflow 0
		.amdhsa_exception_fp_ieee_inexact 0
		.amdhsa_exception_int_div_zero 0
	.end_amdhsa_kernel
	.section	.text._Z6kernelI13subtract_leftLj256ELj8ELb1EJPxS1_jEEvDpT3_,"axG",@progbits,_Z6kernelI13subtract_leftLj256ELj8ELb1EJPxS1_jEEvDpT3_,comdat
.Lfunc_end51:
	.size	_Z6kernelI13subtract_leftLj256ELj8ELb1EJPxS1_jEEvDpT3_, .Lfunc_end51-_Z6kernelI13subtract_leftLj256ELj8ELb1EJPxS1_jEEvDpT3_
                                        ; -- End function
	.set _Z6kernelI13subtract_leftLj256ELj8ELb1EJPxS1_jEEvDpT3_.num_vgpr, 36
	.set _Z6kernelI13subtract_leftLj256ELj8ELb1EJPxS1_jEEvDpT3_.num_agpr, 0
	.set _Z6kernelI13subtract_leftLj256ELj8ELb1EJPxS1_jEEvDpT3_.numbered_sgpr, 9
	.set _Z6kernelI13subtract_leftLj256ELj8ELb1EJPxS1_jEEvDpT3_.num_named_barrier, 0
	.set _Z6kernelI13subtract_leftLj256ELj8ELb1EJPxS1_jEEvDpT3_.private_seg_size, 0
	.set _Z6kernelI13subtract_leftLj256ELj8ELb1EJPxS1_jEEvDpT3_.uses_vcc, 1
	.set _Z6kernelI13subtract_leftLj256ELj8ELb1EJPxS1_jEEvDpT3_.uses_flat_scratch, 0
	.set _Z6kernelI13subtract_leftLj256ELj8ELb1EJPxS1_jEEvDpT3_.has_dyn_sized_stack, 0
	.set _Z6kernelI13subtract_leftLj256ELj8ELb1EJPxS1_jEEvDpT3_.has_recursion, 0
	.set _Z6kernelI13subtract_leftLj256ELj8ELb1EJPxS1_jEEvDpT3_.has_indirect_call, 0
	.section	.AMDGPU.csdata,"",@progbits
; Kernel info:
; codeLenInByte = 492
; TotalNumSgprs: 11
; NumVgprs: 36
; ScratchSize: 0
; MemoryBound: 0
; FloatMode: 240
; IeeeMode: 1
; LDSByteSize: 4096 bytes/workgroup (compile time only)
; SGPRBlocks: 0
; VGPRBlocks: 2
; NumSGPRsForWavesPerEU: 11
; NumVGPRsForWavesPerEU: 36
; NamedBarCnt: 0
; Occupancy: 16
; WaveLimiterHint : 1
; COMPUTE_PGM_RSRC2:SCRATCH_EN: 0
; COMPUTE_PGM_RSRC2:USER_SGPR: 2
; COMPUTE_PGM_RSRC2:TRAP_HANDLER: 0
; COMPUTE_PGM_RSRC2:TGID_X_EN: 1
; COMPUTE_PGM_RSRC2:TGID_Y_EN: 0
; COMPUTE_PGM_RSRC2:TGID_Z_EN: 0
; COMPUTE_PGM_RSRC2:TIDIG_COMP_CNT: 0
	.section	.text._Z6kernelI13subtract_leftLj256ELj16ELb1EJPxS1_jEEvDpT3_,"axG",@progbits,_Z6kernelI13subtract_leftLj256ELj16ELb1EJPxS1_jEEvDpT3_,comdat
	.protected	_Z6kernelI13subtract_leftLj256ELj16ELb1EJPxS1_jEEvDpT3_ ; -- Begin function _Z6kernelI13subtract_leftLj256ELj16ELb1EJPxS1_jEEvDpT3_
	.globl	_Z6kernelI13subtract_leftLj256ELj16ELb1EJPxS1_jEEvDpT3_
	.p2align	8
	.type	_Z6kernelI13subtract_leftLj256ELj16ELb1EJPxS1_jEEvDpT3_,@function
_Z6kernelI13subtract_leftLj256ELj16ELb1EJPxS1_jEEvDpT3_: ; @_Z6kernelI13subtract_leftLj256ELj16ELb1EJPxS1_jEEvDpT3_
; %bb.0:
	s_load_b128 s[4:7], s[0:1], 0x0
	s_bfe_u32 s2, ttmp6, 0x4000c
	s_and_b32 s3, ttmp6, 15
	s_add_co_i32 s2, s2, 1
	s_getreg_b32 s8, hwreg(HW_REG_IB_STS2, 6, 4)
	s_mul_i32 s2, ttmp9, s2
	s_wait_xcnt 0x0
	s_load_b32 s0, s[0:1], 0x10
	s_add_co_i32 s3, s3, s2
	s_cmp_eq_u32 s8, 0
	s_cselect_b32 s2, ttmp9, s3
	s_mov_b32 s3, 0
	s_lshl_b32 s2, s2, 12
	s_delay_alu instid0(SALU_CYCLE_1)
	s_lshl_b64 s[2:3], s[2:3], 3
	s_wait_kmcnt 0x0
	s_add_nc_u64 s[4:5], s[4:5], s[2:3]
	s_clause 0xf
	global_load_b64 v[32:33], v0, s[4:5] scale_offset
	global_load_b64 v[30:31], v0, s[4:5] offset:2048 scale_offset
	global_load_b64 v[28:29], v0, s[4:5] offset:4096 scale_offset
	;; [unrolled: 1-line block ×15, first 2 shown]
	s_cmp_eq_u32 s0, 0
	s_cbranch_scc1 .LBB52_5
; %bb.1:
	v_lshlrev_b32_e32 v1, 3, v0
	v_cmp_ne_u32_e32 vcc_lo, 0, v0
	s_delay_alu instid0(VALU_DEP_2)
	v_add_nc_u32_e32 v36, -8, v1
	s_branch .LBB52_3
.LBB52_2:                               ;   in Loop: Header=BB52_3 Depth=1
	s_or_b32 exec_lo, exec_lo, s1
	s_wait_dscnt 0x0
	v_sub_nc_u64_e32 v[34:35], v[32:33], v[34:35]
	v_sub_nc_u64_e32 v[54:55], v[30:31], v[32:33]
	;; [unrolled: 1-line block ×14, first 2 shown]
	v_add_nc_u64_e32 v[32:33], v[34:35], v[32:33]
	v_sub_nc_u64_e32 v[34:35], v[20:21], v[22:23]
	v_add_nc_u64_e32 v[30:31], v[54:55], v[30:31]
	v_sub_nc_u64_e32 v[54:55], v[16:17], v[18:19]
	v_add_nc_u64_e32 v[28:29], v[58:59], v[28:29]
	v_add_nc_u64_e32 v[26:27], v[60:61], v[26:27]
	;; [unrolled: 1-line block ×14, first 2 shown]
	s_add_co_i32 s0, s0, -1
	s_delay_alu instid0(SALU_CYCLE_1)
	s_cmp_lg_u32 s0, 0
	s_barrier_signal -1
	s_barrier_wait -1
	s_cbranch_scc0 .LBB52_5
.LBB52_3:                               ; =>This Inner Loop Header: Depth=1
	v_mov_b64_e32 v[34:35], 0x7b
	s_wait_loadcnt 0x0
	ds_store_b64 v1, v[2:3]
	s_wait_dscnt 0x0
	s_barrier_signal -1
	s_barrier_wait -1
	s_and_saveexec_b32 s1, vcc_lo
	s_cbranch_execz .LBB52_2
; %bb.4:                                ;   in Loop: Header=BB52_3 Depth=1
	ds_load_b64 v[34:35], v36
	s_branch .LBB52_2
.LBB52_5:
	s_add_nc_u64 s[0:1], s[6:7], s[2:3]
	s_wait_loadcnt 0xf
	global_store_b64 v0, v[32:33], s[0:1] scale_offset
	s_wait_loadcnt 0xe
	global_store_b64 v0, v[30:31], s[0:1] offset:2048 scale_offset
	s_wait_loadcnt 0xd
	global_store_b64 v0, v[28:29], s[0:1] offset:4096 scale_offset
	;; [unrolled: 2-line block ×15, first 2 shown]
	s_endpgm
	.section	.rodata,"a",@progbits
	.p2align	6, 0x0
	.amdhsa_kernel _Z6kernelI13subtract_leftLj256ELj16ELb1EJPxS1_jEEvDpT3_
		.amdhsa_group_segment_fixed_size 4096
		.amdhsa_private_segment_fixed_size 0
		.amdhsa_kernarg_size 20
		.amdhsa_user_sgpr_count 2
		.amdhsa_user_sgpr_dispatch_ptr 0
		.amdhsa_user_sgpr_queue_ptr 0
		.amdhsa_user_sgpr_kernarg_segment_ptr 1
		.amdhsa_user_sgpr_dispatch_id 0
		.amdhsa_user_sgpr_kernarg_preload_length 0
		.amdhsa_user_sgpr_kernarg_preload_offset 0
		.amdhsa_user_sgpr_private_segment_size 0
		.amdhsa_wavefront_size32 1
		.amdhsa_uses_dynamic_stack 0
		.amdhsa_enable_private_segment 0
		.amdhsa_system_sgpr_workgroup_id_x 1
		.amdhsa_system_sgpr_workgroup_id_y 0
		.amdhsa_system_sgpr_workgroup_id_z 0
		.amdhsa_system_sgpr_workgroup_info 0
		.amdhsa_system_vgpr_workitem_id 0
		.amdhsa_next_free_vgpr 64
		.amdhsa_next_free_sgpr 9
		.amdhsa_named_barrier_count 0
		.amdhsa_reserve_vcc 1
		.amdhsa_float_round_mode_32 0
		.amdhsa_float_round_mode_16_64 0
		.amdhsa_float_denorm_mode_32 3
		.amdhsa_float_denorm_mode_16_64 3
		.amdhsa_fp16_overflow 0
		.amdhsa_memory_ordered 1
		.amdhsa_forward_progress 1
		.amdhsa_inst_pref_size 7
		.amdhsa_round_robin_scheduling 0
		.amdhsa_exception_fp_ieee_invalid_op 0
		.amdhsa_exception_fp_denorm_src 0
		.amdhsa_exception_fp_ieee_div_zero 0
		.amdhsa_exception_fp_ieee_overflow 0
		.amdhsa_exception_fp_ieee_underflow 0
		.amdhsa_exception_fp_ieee_inexact 0
		.amdhsa_exception_int_div_zero 0
	.end_amdhsa_kernel
	.section	.text._Z6kernelI13subtract_leftLj256ELj16ELb1EJPxS1_jEEvDpT3_,"axG",@progbits,_Z6kernelI13subtract_leftLj256ELj16ELb1EJPxS1_jEEvDpT3_,comdat
.Lfunc_end52:
	.size	_Z6kernelI13subtract_leftLj256ELj16ELb1EJPxS1_jEEvDpT3_, .Lfunc_end52-_Z6kernelI13subtract_leftLj256ELj16ELb1EJPxS1_jEEvDpT3_
                                        ; -- End function
	.set _Z6kernelI13subtract_leftLj256ELj16ELb1EJPxS1_jEEvDpT3_.num_vgpr, 64
	.set _Z6kernelI13subtract_leftLj256ELj16ELb1EJPxS1_jEEvDpT3_.num_agpr, 0
	.set _Z6kernelI13subtract_leftLj256ELj16ELb1EJPxS1_jEEvDpT3_.numbered_sgpr, 9
	.set _Z6kernelI13subtract_leftLj256ELj16ELb1EJPxS1_jEEvDpT3_.num_named_barrier, 0
	.set _Z6kernelI13subtract_leftLj256ELj16ELb1EJPxS1_jEEvDpT3_.private_seg_size, 0
	.set _Z6kernelI13subtract_leftLj256ELj16ELb1EJPxS1_jEEvDpT3_.uses_vcc, 1
	.set _Z6kernelI13subtract_leftLj256ELj16ELb1EJPxS1_jEEvDpT3_.uses_flat_scratch, 0
	.set _Z6kernelI13subtract_leftLj256ELj16ELb1EJPxS1_jEEvDpT3_.has_dyn_sized_stack, 0
	.set _Z6kernelI13subtract_leftLj256ELj16ELb1EJPxS1_jEEvDpT3_.has_recursion, 0
	.set _Z6kernelI13subtract_leftLj256ELj16ELb1EJPxS1_jEEvDpT3_.has_indirect_call, 0
	.section	.AMDGPU.csdata,"",@progbits
; Kernel info:
; codeLenInByte = 780
; TotalNumSgprs: 11
; NumVgprs: 64
; ScratchSize: 0
; MemoryBound: 0
; FloatMode: 240
; IeeeMode: 1
; LDSByteSize: 4096 bytes/workgroup (compile time only)
; SGPRBlocks: 0
; VGPRBlocks: 3
; NumSGPRsForWavesPerEU: 11
; NumVGPRsForWavesPerEU: 64
; NamedBarCnt: 0
; Occupancy: 16
; WaveLimiterHint : 1
; COMPUTE_PGM_RSRC2:SCRATCH_EN: 0
; COMPUTE_PGM_RSRC2:USER_SGPR: 2
; COMPUTE_PGM_RSRC2:TRAP_HANDLER: 0
; COMPUTE_PGM_RSRC2:TGID_X_EN: 1
; COMPUTE_PGM_RSRC2:TGID_Y_EN: 0
; COMPUTE_PGM_RSRC2:TGID_Z_EN: 0
; COMPUTE_PGM_RSRC2:TIDIG_COMP_CNT: 0
	.section	.text._Z6kernelI13subtract_leftLj256ELj32ELb1EJPxS1_jEEvDpT3_,"axG",@progbits,_Z6kernelI13subtract_leftLj256ELj32ELb1EJPxS1_jEEvDpT3_,comdat
	.protected	_Z6kernelI13subtract_leftLj256ELj32ELb1EJPxS1_jEEvDpT3_ ; -- Begin function _Z6kernelI13subtract_leftLj256ELj32ELb1EJPxS1_jEEvDpT3_
	.globl	_Z6kernelI13subtract_leftLj256ELj32ELb1EJPxS1_jEEvDpT3_
	.p2align	8
	.type	_Z6kernelI13subtract_leftLj256ELj32ELb1EJPxS1_jEEvDpT3_,@function
_Z6kernelI13subtract_leftLj256ELj32ELb1EJPxS1_jEEvDpT3_: ; @_Z6kernelI13subtract_leftLj256ELj32ELb1EJPxS1_jEEvDpT3_
; %bb.0:
	s_load_b128 s[4:7], s[0:1], 0x0
	s_bfe_u32 s2, ttmp6, 0x4000c
	s_and_b32 s3, ttmp6, 15
	s_add_co_i32 s2, s2, 1
	s_getreg_b32 s8, hwreg(HW_REG_IB_STS2, 6, 4)
	s_mul_i32 s2, ttmp9, s2
	s_wait_xcnt 0x0
	s_load_b32 s0, s[0:1], 0x10
	s_add_co_i32 s3, s3, s2
	s_cmp_eq_u32 s8, 0
	s_cselect_b32 s2, ttmp9, s3
	s_mov_b32 s3, 0
	s_lshl_b32 s2, s2, 13
	s_delay_alu instid0(SALU_CYCLE_1)
	s_lshl_b64 s[2:3], s[2:3], 3
	s_wait_kmcnt 0x0
	s_add_nc_u64 s[4:5], s[4:5], s[2:3]
	s_clause 0x1f
	global_load_b64 v[52:53], v0, s[4:5] scale_offset
	global_load_b64 v[50:51], v0, s[4:5] offset:2048 scale_offset
	global_load_b64 v[48:49], v0, s[4:5] offset:4096 scale_offset
	;; [unrolled: 1-line block ×31, first 2 shown]
	s_cmp_eq_u32 s0, 0
	s_cbranch_scc1 .LBB53_5
; %bb.1:
	v_lshlrev_b32_e32 v1, 3, v0
	v_cmp_ne_u32_e32 vcc_lo, 0, v0
	s_delay_alu instid0(VALU_DEP_2)
	v_add_nc_u32_e32 v68, -8, v1
	s_branch .LBB53_3
.LBB53_2:                               ;   in Loop: Header=BB53_3 Depth=1
	s_or_b32 exec_lo, exec_lo, s1
	s_wait_dscnt 0x0
	v_sub_nc_u64_e32 v[66:67], v[52:53], v[66:67]
	v_sub_nc_u64_e32 v[70:71], v[50:51], v[52:53]
	;; [unrolled: 1-line block ×6, first 2 shown]
	s_add_co_i32 s0, s0, -1
	v_add_nc_u64_e32 v[52:53], v[66:67], v[52:53]
	v_sub_nc_u64_e32 v[66:67], v[44:45], v[46:47]
	v_add_nc_u64_e32 v[50:51], v[70:71], v[50:51]
	v_sub_nc_u64_e32 v[70:71], v[42:43], v[44:45]
	;; [unrolled: 2-line block ×26, first 2 shown]
	v_add_nc_u64_e32 v[64:65], v[74:75], v[64:65]
	v_add_nc_u64_e32 v[60:61], v[76:77], v[60:61]
	;; [unrolled: 1-line block ×5, first 2 shown]
	s_cmp_lg_u32 s0, 0
	v_add_nc_u64_e32 v[54:55], v[70:71], v[54:55]
	s_barrier_signal -1
	s_barrier_wait -1
	s_cbranch_scc0 .LBB53_5
.LBB53_3:                               ; =>This Inner Loop Header: Depth=1
	v_mov_b64_e32 v[66:67], 0x7b
	s_wait_loadcnt 0x0
	ds_store_b64 v1, v[54:55]
	s_wait_dscnt 0x0
	s_barrier_signal -1
	s_barrier_wait -1
	s_and_saveexec_b32 s1, vcc_lo
	s_cbranch_execz .LBB53_2
; %bb.4:                                ;   in Loop: Header=BB53_3 Depth=1
	ds_load_b64 v[66:67], v68
	s_branch .LBB53_2
.LBB53_5:
	s_add_nc_u64 s[0:1], s[6:7], s[2:3]
	s_wait_loadcnt 0x1f
	global_store_b64 v0, v[52:53], s[0:1] scale_offset
	s_wait_loadcnt 0x1e
	global_store_b64 v0, v[50:51], s[0:1] offset:2048 scale_offset
	s_wait_loadcnt 0x1d
	global_store_b64 v0, v[48:49], s[0:1] offset:4096 scale_offset
	;; [unrolled: 2-line block ×31, first 2 shown]
	s_sendmsg sendmsg(MSG_DEALLOC_VGPRS)
	s_endpgm
	.section	.rodata,"a",@progbits
	.p2align	6, 0x0
	.amdhsa_kernel _Z6kernelI13subtract_leftLj256ELj32ELb1EJPxS1_jEEvDpT3_
		.amdhsa_group_segment_fixed_size 4096
		.amdhsa_private_segment_fixed_size 0
		.amdhsa_kernarg_size 20
		.amdhsa_user_sgpr_count 2
		.amdhsa_user_sgpr_dispatch_ptr 0
		.amdhsa_user_sgpr_queue_ptr 0
		.amdhsa_user_sgpr_kernarg_segment_ptr 1
		.amdhsa_user_sgpr_dispatch_id 0
		.amdhsa_user_sgpr_kernarg_preload_length 0
		.amdhsa_user_sgpr_kernarg_preload_offset 0
		.amdhsa_user_sgpr_private_segment_size 0
		.amdhsa_wavefront_size32 1
		.amdhsa_uses_dynamic_stack 0
		.amdhsa_enable_private_segment 0
		.amdhsa_system_sgpr_workgroup_id_x 1
		.amdhsa_system_sgpr_workgroup_id_y 0
		.amdhsa_system_sgpr_workgroup_id_z 0
		.amdhsa_system_sgpr_workgroup_info 0
		.amdhsa_system_vgpr_workitem_id 0
		.amdhsa_next_free_vgpr 80
		.amdhsa_next_free_sgpr 9
		.amdhsa_named_barrier_count 0
		.amdhsa_reserve_vcc 1
		.amdhsa_float_round_mode_32 0
		.amdhsa_float_round_mode_16_64 0
		.amdhsa_float_denorm_mode_32 3
		.amdhsa_float_denorm_mode_16_64 3
		.amdhsa_fp16_overflow 0
		.amdhsa_memory_ordered 1
		.amdhsa_forward_progress 1
		.amdhsa_inst_pref_size 11
		.amdhsa_round_robin_scheduling 0
		.amdhsa_exception_fp_ieee_invalid_op 0
		.amdhsa_exception_fp_denorm_src 0
		.amdhsa_exception_fp_ieee_div_zero 0
		.amdhsa_exception_fp_ieee_overflow 0
		.amdhsa_exception_fp_ieee_underflow 0
		.amdhsa_exception_fp_ieee_inexact 0
		.amdhsa_exception_int_div_zero 0
	.end_amdhsa_kernel
	.section	.text._Z6kernelI13subtract_leftLj256ELj32ELb1EJPxS1_jEEvDpT3_,"axG",@progbits,_Z6kernelI13subtract_leftLj256ELj32ELb1EJPxS1_jEEvDpT3_,comdat
.Lfunc_end53:
	.size	_Z6kernelI13subtract_leftLj256ELj32ELb1EJPxS1_jEEvDpT3_, .Lfunc_end53-_Z6kernelI13subtract_leftLj256ELj32ELb1EJPxS1_jEEvDpT3_
                                        ; -- End function
	.set _Z6kernelI13subtract_leftLj256ELj32ELb1EJPxS1_jEEvDpT3_.num_vgpr, 80
	.set _Z6kernelI13subtract_leftLj256ELj32ELb1EJPxS1_jEEvDpT3_.num_agpr, 0
	.set _Z6kernelI13subtract_leftLj256ELj32ELb1EJPxS1_jEEvDpT3_.numbered_sgpr, 9
	.set _Z6kernelI13subtract_leftLj256ELj32ELb1EJPxS1_jEEvDpT3_.num_named_barrier, 0
	.set _Z6kernelI13subtract_leftLj256ELj32ELb1EJPxS1_jEEvDpT3_.private_seg_size, 0
	.set _Z6kernelI13subtract_leftLj256ELj32ELb1EJPxS1_jEEvDpT3_.uses_vcc, 1
	.set _Z6kernelI13subtract_leftLj256ELj32ELb1EJPxS1_jEEvDpT3_.uses_flat_scratch, 0
	.set _Z6kernelI13subtract_leftLj256ELj32ELb1EJPxS1_jEEvDpT3_.has_dyn_sized_stack, 0
	.set _Z6kernelI13subtract_leftLj256ELj32ELb1EJPxS1_jEEvDpT3_.has_recursion, 0
	.set _Z6kernelI13subtract_leftLj256ELj32ELb1EJPxS1_jEEvDpT3_.has_indirect_call, 0
	.section	.AMDGPU.csdata,"",@progbits
; Kernel info:
; codeLenInByte = 1356
; TotalNumSgprs: 11
; NumVgprs: 80
; ScratchSize: 0
; MemoryBound: 0
; FloatMode: 240
; IeeeMode: 1
; LDSByteSize: 4096 bytes/workgroup (compile time only)
; SGPRBlocks: 0
; VGPRBlocks: 4
; NumSGPRsForWavesPerEU: 11
; NumVGPRsForWavesPerEU: 80
; NamedBarCnt: 0
; Occupancy: 12
; WaveLimiterHint : 1
; COMPUTE_PGM_RSRC2:SCRATCH_EN: 0
; COMPUTE_PGM_RSRC2:USER_SGPR: 2
; COMPUTE_PGM_RSRC2:TRAP_HANDLER: 0
; COMPUTE_PGM_RSRC2:TGID_X_EN: 1
; COMPUTE_PGM_RSRC2:TGID_Y_EN: 0
; COMPUTE_PGM_RSRC2:TGID_Z_EN: 0
; COMPUTE_PGM_RSRC2:TIDIG_COMP_CNT: 0
	.section	.text._Z6kernelI13subtract_leftLj256ELj1ELb1EJPdS1_jEEvDpT3_,"axG",@progbits,_Z6kernelI13subtract_leftLj256ELj1ELb1EJPdS1_jEEvDpT3_,comdat
	.protected	_Z6kernelI13subtract_leftLj256ELj1ELb1EJPdS1_jEEvDpT3_ ; -- Begin function _Z6kernelI13subtract_leftLj256ELj1ELb1EJPdS1_jEEvDpT3_
	.globl	_Z6kernelI13subtract_leftLj256ELj1ELb1EJPdS1_jEEvDpT3_
	.p2align	8
	.type	_Z6kernelI13subtract_leftLj256ELj1ELb1EJPdS1_jEEvDpT3_,@function
_Z6kernelI13subtract_leftLj256ELj1ELb1EJPdS1_jEEvDpT3_: ; @_Z6kernelI13subtract_leftLj256ELj1ELb1EJPdS1_jEEvDpT3_
; %bb.0:
	s_load_b128 s[4:7], s[0:1], 0x0
	s_bfe_u32 s2, ttmp6, 0x4000c
	s_and_b32 s3, ttmp6, 15
	s_add_co_i32 s2, s2, 1
	s_getreg_b32 s8, hwreg(HW_REG_IB_STS2, 6, 4)
	s_mul_i32 s2, ttmp9, s2
	s_wait_xcnt 0x0
	s_load_b32 s0, s[0:1], 0x10
	s_add_co_i32 s3, s3, s2
	s_cmp_eq_u32 s8, 0
	s_cselect_b32 s2, ttmp9, s3
	s_mov_b32 s3, 0
	s_lshl_b32 s2, s2, 8
	s_delay_alu instid0(SALU_CYCLE_1)
	s_lshl_b64 s[2:3], s[2:3], 3
	s_wait_kmcnt 0x0
	s_add_nc_u64 s[4:5], s[4:5], s[2:3]
	global_load_b64 v[2:3], v0, s[4:5] scale_offset
	s_cmp_eq_u32 s0, 0
	s_cbranch_scc1 .LBB54_5
; %bb.1:
	v_lshlrev_b32_e32 v1, 3, v0
	v_cmp_ne_u32_e32 vcc_lo, 0, v0
	s_delay_alu instid0(VALU_DEP_2)
	v_add_nc_u32_e32 v6, -8, v1
	s_branch .LBB54_3
.LBB54_2:                               ;   in Loop: Header=BB54_3 Depth=1
	s_or_b32 exec_lo, exec_lo, s1
	s_wait_dscnt 0x0
	v_add_f64_e64 v[4:5], v[2:3], -v[4:5]
	s_add_co_i32 s0, s0, -1
	s_delay_alu instid0(SALU_CYCLE_1) | instskip(SKIP_2) | instid1(VALU_DEP_1)
	s_cmp_lg_u32 s0, 0
	s_barrier_signal -1
	s_barrier_wait -1
	v_add_f64_e32 v[2:3], v[2:3], v[4:5]
	s_cbranch_scc0 .LBB54_5
.LBB54_3:                               ; =>This Inner Loop Header: Depth=1
	v_mov_b64_e32 v[4:5], 0x405ec00000000000
	s_wait_loadcnt 0x0
	ds_store_b64 v1, v[2:3]
	s_wait_dscnt 0x0
	s_barrier_signal -1
	s_barrier_wait -1
	s_and_saveexec_b32 s1, vcc_lo
	s_cbranch_execz .LBB54_2
; %bb.4:                                ;   in Loop: Header=BB54_3 Depth=1
	ds_load_b64 v[4:5], v6
	s_branch .LBB54_2
.LBB54_5:
	s_add_nc_u64 s[0:1], s[6:7], s[2:3]
	s_wait_loadcnt 0x0
	global_store_b64 v0, v[2:3], s[0:1] scale_offset
	s_endpgm
	.section	.rodata,"a",@progbits
	.p2align	6, 0x0
	.amdhsa_kernel _Z6kernelI13subtract_leftLj256ELj1ELb1EJPdS1_jEEvDpT3_
		.amdhsa_group_segment_fixed_size 4096
		.amdhsa_private_segment_fixed_size 0
		.amdhsa_kernarg_size 20
		.amdhsa_user_sgpr_count 2
		.amdhsa_user_sgpr_dispatch_ptr 0
		.amdhsa_user_sgpr_queue_ptr 0
		.amdhsa_user_sgpr_kernarg_segment_ptr 1
		.amdhsa_user_sgpr_dispatch_id 0
		.amdhsa_user_sgpr_kernarg_preload_length 0
		.amdhsa_user_sgpr_kernarg_preload_offset 0
		.amdhsa_user_sgpr_private_segment_size 0
		.amdhsa_wavefront_size32 1
		.amdhsa_uses_dynamic_stack 0
		.amdhsa_enable_private_segment 0
		.amdhsa_system_sgpr_workgroup_id_x 1
		.amdhsa_system_sgpr_workgroup_id_y 0
		.amdhsa_system_sgpr_workgroup_id_z 0
		.amdhsa_system_sgpr_workgroup_info 0
		.amdhsa_system_vgpr_workitem_id 0
		.amdhsa_next_free_vgpr 7
		.amdhsa_next_free_sgpr 9
		.amdhsa_named_barrier_count 0
		.amdhsa_reserve_vcc 1
		.amdhsa_float_round_mode_32 0
		.amdhsa_float_round_mode_16_64 0
		.amdhsa_float_denorm_mode_32 3
		.amdhsa_float_denorm_mode_16_64 3
		.amdhsa_fp16_overflow 0
		.amdhsa_memory_ordered 1
		.amdhsa_forward_progress 1
		.amdhsa_inst_pref_size 2
		.amdhsa_round_robin_scheduling 0
		.amdhsa_exception_fp_ieee_invalid_op 0
		.amdhsa_exception_fp_denorm_src 0
		.amdhsa_exception_fp_ieee_div_zero 0
		.amdhsa_exception_fp_ieee_overflow 0
		.amdhsa_exception_fp_ieee_underflow 0
		.amdhsa_exception_fp_ieee_inexact 0
		.amdhsa_exception_int_div_zero 0
	.end_amdhsa_kernel
	.section	.text._Z6kernelI13subtract_leftLj256ELj1ELb1EJPdS1_jEEvDpT3_,"axG",@progbits,_Z6kernelI13subtract_leftLj256ELj1ELb1EJPdS1_jEEvDpT3_,comdat
.Lfunc_end54:
	.size	_Z6kernelI13subtract_leftLj256ELj1ELb1EJPdS1_jEEvDpT3_, .Lfunc_end54-_Z6kernelI13subtract_leftLj256ELj1ELb1EJPdS1_jEEvDpT3_
                                        ; -- End function
	.set _Z6kernelI13subtract_leftLj256ELj1ELb1EJPdS1_jEEvDpT3_.num_vgpr, 7
	.set _Z6kernelI13subtract_leftLj256ELj1ELb1EJPdS1_jEEvDpT3_.num_agpr, 0
	.set _Z6kernelI13subtract_leftLj256ELj1ELb1EJPdS1_jEEvDpT3_.numbered_sgpr, 9
	.set _Z6kernelI13subtract_leftLj256ELj1ELb1EJPdS1_jEEvDpT3_.num_named_barrier, 0
	.set _Z6kernelI13subtract_leftLj256ELj1ELb1EJPdS1_jEEvDpT3_.private_seg_size, 0
	.set _Z6kernelI13subtract_leftLj256ELj1ELb1EJPdS1_jEEvDpT3_.uses_vcc, 1
	.set _Z6kernelI13subtract_leftLj256ELj1ELb1EJPdS1_jEEvDpT3_.uses_flat_scratch, 0
	.set _Z6kernelI13subtract_leftLj256ELj1ELb1EJPdS1_jEEvDpT3_.has_dyn_sized_stack, 0
	.set _Z6kernelI13subtract_leftLj256ELj1ELb1EJPdS1_jEEvDpT3_.has_recursion, 0
	.set _Z6kernelI13subtract_leftLj256ELj1ELb1EJPdS1_jEEvDpT3_.has_indirect_call, 0
	.section	.AMDGPU.csdata,"",@progbits
; Kernel info:
; codeLenInByte = 244
; TotalNumSgprs: 11
; NumVgprs: 7
; ScratchSize: 0
; MemoryBound: 0
; FloatMode: 240
; IeeeMode: 1
; LDSByteSize: 4096 bytes/workgroup (compile time only)
; SGPRBlocks: 0
; VGPRBlocks: 0
; NumSGPRsForWavesPerEU: 11
; NumVGPRsForWavesPerEU: 7
; NamedBarCnt: 0
; Occupancy: 16
; WaveLimiterHint : 0
; COMPUTE_PGM_RSRC2:SCRATCH_EN: 0
; COMPUTE_PGM_RSRC2:USER_SGPR: 2
; COMPUTE_PGM_RSRC2:TRAP_HANDLER: 0
; COMPUTE_PGM_RSRC2:TGID_X_EN: 1
; COMPUTE_PGM_RSRC2:TGID_Y_EN: 0
; COMPUTE_PGM_RSRC2:TGID_Z_EN: 0
; COMPUTE_PGM_RSRC2:TIDIG_COMP_CNT: 0
	.section	.text._Z6kernelI13subtract_leftLj256ELj3ELb1EJPdS1_jEEvDpT3_,"axG",@progbits,_Z6kernelI13subtract_leftLj256ELj3ELb1EJPdS1_jEEvDpT3_,comdat
	.protected	_Z6kernelI13subtract_leftLj256ELj3ELb1EJPdS1_jEEvDpT3_ ; -- Begin function _Z6kernelI13subtract_leftLj256ELj3ELb1EJPdS1_jEEvDpT3_
	.globl	_Z6kernelI13subtract_leftLj256ELj3ELb1EJPdS1_jEEvDpT3_
	.p2align	8
	.type	_Z6kernelI13subtract_leftLj256ELj3ELb1EJPdS1_jEEvDpT3_,@function
_Z6kernelI13subtract_leftLj256ELj3ELb1EJPdS1_jEEvDpT3_: ; @_Z6kernelI13subtract_leftLj256ELj3ELb1EJPdS1_jEEvDpT3_
; %bb.0:
	s_load_b128 s[4:7], s[0:1], 0x0
	s_bfe_u32 s2, ttmp6, 0x4000c
	s_and_b32 s3, ttmp6, 15
	s_add_co_i32 s2, s2, 1
	s_getreg_b32 s8, hwreg(HW_REG_IB_STS2, 6, 4)
	s_mul_i32 s2, ttmp9, s2
	s_wait_xcnt 0x0
	s_load_b32 s0, s[0:1], 0x10
	s_add_co_i32 s3, s3, s2
	s_cmp_eq_u32 s8, 0
	s_cselect_b32 s2, ttmp9, s3
	s_mov_b32 s3, 0
	s_mulk_i32 s2, 0x300
	s_delay_alu instid0(SALU_CYCLE_1)
	s_lshl_b64 s[2:3], s[2:3], 3
	s_wait_kmcnt 0x0
	s_add_nc_u64 s[4:5], s[4:5], s[2:3]
	s_clause 0x2
	global_load_b64 v[6:7], v0, s[4:5] scale_offset
	global_load_b64 v[4:5], v0, s[4:5] offset:2048 scale_offset
	global_load_b64 v[2:3], v0, s[4:5] offset:4096 scale_offset
	s_cmp_eq_u32 s0, 0
	s_cbranch_scc1 .LBB55_5
; %bb.1:
	v_lshlrev_b32_e32 v1, 3, v0
	v_cmp_ne_u32_e32 vcc_lo, 0, v0
	s_delay_alu instid0(VALU_DEP_2)
	v_add_nc_u32_e32 v10, -8, v1
	s_branch .LBB55_3
.LBB55_2:                               ;   in Loop: Header=BB55_3 Depth=1
	s_or_b32 exec_lo, exec_lo, s1
	s_wait_dscnt 0x0
	v_add_f64_e64 v[8:9], v[6:7], -v[8:9]
	v_add_f64_e64 v[12:13], v[4:5], -v[6:7]
	;; [unrolled: 1-line block ×3, first 2 shown]
	s_add_co_i32 s0, s0, -1
	s_delay_alu instid0(SALU_CYCLE_1) | instskip(SKIP_2) | instid1(VALU_DEP_3)
	s_cmp_lg_u32 s0, 0
	s_barrier_signal -1
	s_barrier_wait -1
	v_add_f64_e32 v[6:7], v[6:7], v[8:9]
	s_delay_alu instid0(VALU_DEP_3) | instskip(NEXT) | instid1(VALU_DEP_3)
	v_add_f64_e32 v[4:5], v[4:5], v[12:13]
	v_add_f64_e32 v[2:3], v[2:3], v[14:15]
	s_cbranch_scc0 .LBB55_5
.LBB55_3:                               ; =>This Inner Loop Header: Depth=1
	v_mov_b64_e32 v[8:9], 0x405ec00000000000
	s_wait_loadcnt 0x0
	ds_store_b64 v1, v[2:3]
	s_wait_dscnt 0x0
	s_barrier_signal -1
	s_barrier_wait -1
	s_and_saveexec_b32 s1, vcc_lo
	s_cbranch_execz .LBB55_2
; %bb.4:                                ;   in Loop: Header=BB55_3 Depth=1
	ds_load_b64 v[8:9], v10
	s_branch .LBB55_2
.LBB55_5:
	s_add_nc_u64 s[0:1], s[6:7], s[2:3]
	s_wait_loadcnt 0x2
	global_store_b64 v0, v[6:7], s[0:1] scale_offset
	s_wait_loadcnt 0x1
	global_store_b64 v0, v[4:5], s[0:1] offset:2048 scale_offset
	s_wait_loadcnt 0x0
	global_store_b64 v0, v[2:3], s[0:1] offset:4096 scale_offset
	s_endpgm
	.section	.rodata,"a",@progbits
	.p2align	6, 0x0
	.amdhsa_kernel _Z6kernelI13subtract_leftLj256ELj3ELb1EJPdS1_jEEvDpT3_
		.amdhsa_group_segment_fixed_size 4096
		.amdhsa_private_segment_fixed_size 0
		.amdhsa_kernarg_size 20
		.amdhsa_user_sgpr_count 2
		.amdhsa_user_sgpr_dispatch_ptr 0
		.amdhsa_user_sgpr_queue_ptr 0
		.amdhsa_user_sgpr_kernarg_segment_ptr 1
		.amdhsa_user_sgpr_dispatch_id 0
		.amdhsa_user_sgpr_kernarg_preload_length 0
		.amdhsa_user_sgpr_kernarg_preload_offset 0
		.amdhsa_user_sgpr_private_segment_size 0
		.amdhsa_wavefront_size32 1
		.amdhsa_uses_dynamic_stack 0
		.amdhsa_enable_private_segment 0
		.amdhsa_system_sgpr_workgroup_id_x 1
		.amdhsa_system_sgpr_workgroup_id_y 0
		.amdhsa_system_sgpr_workgroup_id_z 0
		.amdhsa_system_sgpr_workgroup_info 0
		.amdhsa_system_vgpr_workitem_id 0
		.amdhsa_next_free_vgpr 16
		.amdhsa_next_free_sgpr 9
		.amdhsa_named_barrier_count 0
		.amdhsa_reserve_vcc 1
		.amdhsa_float_round_mode_32 0
		.amdhsa_float_round_mode_16_64 0
		.amdhsa_float_denorm_mode_32 3
		.amdhsa_float_denorm_mode_16_64 3
		.amdhsa_fp16_overflow 0
		.amdhsa_memory_ordered 1
		.amdhsa_forward_progress 1
		.amdhsa_inst_pref_size 3
		.amdhsa_round_robin_scheduling 0
		.amdhsa_exception_fp_ieee_invalid_op 0
		.amdhsa_exception_fp_denorm_src 0
		.amdhsa_exception_fp_ieee_div_zero 0
		.amdhsa_exception_fp_ieee_overflow 0
		.amdhsa_exception_fp_ieee_underflow 0
		.amdhsa_exception_fp_ieee_inexact 0
		.amdhsa_exception_int_div_zero 0
	.end_amdhsa_kernel
	.section	.text._Z6kernelI13subtract_leftLj256ELj3ELb1EJPdS1_jEEvDpT3_,"axG",@progbits,_Z6kernelI13subtract_leftLj256ELj3ELb1EJPdS1_jEEvDpT3_,comdat
.Lfunc_end55:
	.size	_Z6kernelI13subtract_leftLj256ELj3ELb1EJPdS1_jEEvDpT3_, .Lfunc_end55-_Z6kernelI13subtract_leftLj256ELj3ELb1EJPdS1_jEEvDpT3_
                                        ; -- End function
	.set _Z6kernelI13subtract_leftLj256ELj3ELb1EJPdS1_jEEvDpT3_.num_vgpr, 16
	.set _Z6kernelI13subtract_leftLj256ELj3ELb1EJPdS1_jEEvDpT3_.num_agpr, 0
	.set _Z6kernelI13subtract_leftLj256ELj3ELb1EJPdS1_jEEvDpT3_.numbered_sgpr, 9
	.set _Z6kernelI13subtract_leftLj256ELj3ELb1EJPdS1_jEEvDpT3_.num_named_barrier, 0
	.set _Z6kernelI13subtract_leftLj256ELj3ELb1EJPdS1_jEEvDpT3_.private_seg_size, 0
	.set _Z6kernelI13subtract_leftLj256ELj3ELb1EJPdS1_jEEvDpT3_.uses_vcc, 1
	.set _Z6kernelI13subtract_leftLj256ELj3ELb1EJPdS1_jEEvDpT3_.uses_flat_scratch, 0
	.set _Z6kernelI13subtract_leftLj256ELj3ELb1EJPdS1_jEEvDpT3_.has_dyn_sized_stack, 0
	.set _Z6kernelI13subtract_leftLj256ELj3ELb1EJPdS1_jEEvDpT3_.has_recursion, 0
	.set _Z6kernelI13subtract_leftLj256ELj3ELb1EJPdS1_jEEvDpT3_.has_indirect_call, 0
	.section	.AMDGPU.csdata,"",@progbits
; Kernel info:
; codeLenInByte = 332
; TotalNumSgprs: 11
; NumVgprs: 16
; ScratchSize: 0
; MemoryBound: 0
; FloatMode: 240
; IeeeMode: 1
; LDSByteSize: 4096 bytes/workgroup (compile time only)
; SGPRBlocks: 0
; VGPRBlocks: 0
; NumSGPRsForWavesPerEU: 11
; NumVGPRsForWavesPerEU: 16
; NamedBarCnt: 0
; Occupancy: 16
; WaveLimiterHint : 1
; COMPUTE_PGM_RSRC2:SCRATCH_EN: 0
; COMPUTE_PGM_RSRC2:USER_SGPR: 2
; COMPUTE_PGM_RSRC2:TRAP_HANDLER: 0
; COMPUTE_PGM_RSRC2:TGID_X_EN: 1
; COMPUTE_PGM_RSRC2:TGID_Y_EN: 0
; COMPUTE_PGM_RSRC2:TGID_Z_EN: 0
; COMPUTE_PGM_RSRC2:TIDIG_COMP_CNT: 0
	.section	.text._Z6kernelI13subtract_leftLj256ELj4ELb1EJPdS1_jEEvDpT3_,"axG",@progbits,_Z6kernelI13subtract_leftLj256ELj4ELb1EJPdS1_jEEvDpT3_,comdat
	.protected	_Z6kernelI13subtract_leftLj256ELj4ELb1EJPdS1_jEEvDpT3_ ; -- Begin function _Z6kernelI13subtract_leftLj256ELj4ELb1EJPdS1_jEEvDpT3_
	.globl	_Z6kernelI13subtract_leftLj256ELj4ELb1EJPdS1_jEEvDpT3_
	.p2align	8
	.type	_Z6kernelI13subtract_leftLj256ELj4ELb1EJPdS1_jEEvDpT3_,@function
_Z6kernelI13subtract_leftLj256ELj4ELb1EJPdS1_jEEvDpT3_: ; @_Z6kernelI13subtract_leftLj256ELj4ELb1EJPdS1_jEEvDpT3_
; %bb.0:
	s_load_b128 s[4:7], s[0:1], 0x0
	s_bfe_u32 s2, ttmp6, 0x4000c
	s_and_b32 s3, ttmp6, 15
	s_add_co_i32 s2, s2, 1
	s_getreg_b32 s8, hwreg(HW_REG_IB_STS2, 6, 4)
	s_mul_i32 s2, ttmp9, s2
	s_wait_xcnt 0x0
	s_load_b32 s0, s[0:1], 0x10
	s_add_co_i32 s3, s3, s2
	s_cmp_eq_u32 s8, 0
	s_cselect_b32 s2, ttmp9, s3
	s_mov_b32 s3, 0
	s_lshl_b32 s2, s2, 10
	s_delay_alu instid0(SALU_CYCLE_1)
	s_lshl_b64 s[2:3], s[2:3], 3
	s_wait_kmcnt 0x0
	s_add_nc_u64 s[4:5], s[4:5], s[2:3]
	s_clause 0x3
	global_load_b64 v[8:9], v0, s[4:5] scale_offset
	global_load_b64 v[6:7], v0, s[4:5] offset:2048 scale_offset
	global_load_b64 v[4:5], v0, s[4:5] offset:4096 scale_offset
	;; [unrolled: 1-line block ×3, first 2 shown]
	s_cmp_eq_u32 s0, 0
	s_cbranch_scc1 .LBB56_5
; %bb.1:
	v_lshlrev_b32_e32 v1, 3, v0
	v_cmp_ne_u32_e32 vcc_lo, 0, v0
	s_delay_alu instid0(VALU_DEP_2)
	v_add_nc_u32_e32 v12, -8, v1
	s_branch .LBB56_3
.LBB56_2:                               ;   in Loop: Header=BB56_3 Depth=1
	s_or_b32 exec_lo, exec_lo, s1
	s_wait_dscnt 0x0
	v_add_f64_e64 v[10:11], v[8:9], -v[10:11]
	v_add_f64_e64 v[14:15], v[6:7], -v[8:9]
	;; [unrolled: 1-line block ×4, first 2 shown]
	s_add_co_i32 s0, s0, -1
	s_delay_alu instid0(SALU_CYCLE_1) | instskip(SKIP_2) | instid1(VALU_DEP_4)
	s_cmp_lg_u32 s0, 0
	s_barrier_signal -1
	s_barrier_wait -1
	v_add_f64_e32 v[8:9], v[8:9], v[10:11]
	s_delay_alu instid0(VALU_DEP_4) | instskip(NEXT) | instid1(VALU_DEP_4)
	v_add_f64_e32 v[6:7], v[6:7], v[14:15]
	v_add_f64_e32 v[4:5], v[4:5], v[16:17]
	s_delay_alu instid0(VALU_DEP_4)
	v_add_f64_e32 v[2:3], v[2:3], v[18:19]
	s_cbranch_scc0 .LBB56_5
.LBB56_3:                               ; =>This Inner Loop Header: Depth=1
	v_mov_b64_e32 v[10:11], 0x405ec00000000000
	s_wait_loadcnt 0x0
	ds_store_b64 v1, v[2:3]
	s_wait_dscnt 0x0
	s_barrier_signal -1
	s_barrier_wait -1
	s_and_saveexec_b32 s1, vcc_lo
	s_cbranch_execz .LBB56_2
; %bb.4:                                ;   in Loop: Header=BB56_3 Depth=1
	ds_load_b64 v[10:11], v12
	s_branch .LBB56_2
.LBB56_5:
	s_add_nc_u64 s[0:1], s[6:7], s[2:3]
	s_wait_loadcnt 0x3
	global_store_b64 v0, v[8:9], s[0:1] scale_offset
	s_wait_loadcnt 0x2
	global_store_b64 v0, v[6:7], s[0:1] offset:2048 scale_offset
	s_wait_loadcnt 0x1
	global_store_b64 v0, v[4:5], s[0:1] offset:4096 scale_offset
	;; [unrolled: 2-line block ×3, first 2 shown]
	s_endpgm
	.section	.rodata,"a",@progbits
	.p2align	6, 0x0
	.amdhsa_kernel _Z6kernelI13subtract_leftLj256ELj4ELb1EJPdS1_jEEvDpT3_
		.amdhsa_group_segment_fixed_size 4096
		.amdhsa_private_segment_fixed_size 0
		.amdhsa_kernarg_size 20
		.amdhsa_user_sgpr_count 2
		.amdhsa_user_sgpr_dispatch_ptr 0
		.amdhsa_user_sgpr_queue_ptr 0
		.amdhsa_user_sgpr_kernarg_segment_ptr 1
		.amdhsa_user_sgpr_dispatch_id 0
		.amdhsa_user_sgpr_kernarg_preload_length 0
		.amdhsa_user_sgpr_kernarg_preload_offset 0
		.amdhsa_user_sgpr_private_segment_size 0
		.amdhsa_wavefront_size32 1
		.amdhsa_uses_dynamic_stack 0
		.amdhsa_enable_private_segment 0
		.amdhsa_system_sgpr_workgroup_id_x 1
		.amdhsa_system_sgpr_workgroup_id_y 0
		.amdhsa_system_sgpr_workgroup_id_z 0
		.amdhsa_system_sgpr_workgroup_info 0
		.amdhsa_system_vgpr_workitem_id 0
		.amdhsa_next_free_vgpr 20
		.amdhsa_next_free_sgpr 9
		.amdhsa_named_barrier_count 0
		.amdhsa_reserve_vcc 1
		.amdhsa_float_round_mode_32 0
		.amdhsa_float_round_mode_16_64 0
		.amdhsa_float_denorm_mode_32 3
		.amdhsa_float_denorm_mode_16_64 3
		.amdhsa_fp16_overflow 0
		.amdhsa_memory_ordered 1
		.amdhsa_forward_progress 1
		.amdhsa_inst_pref_size 3
		.amdhsa_round_robin_scheduling 0
		.amdhsa_exception_fp_ieee_invalid_op 0
		.amdhsa_exception_fp_denorm_src 0
		.amdhsa_exception_fp_ieee_div_zero 0
		.amdhsa_exception_fp_ieee_overflow 0
		.amdhsa_exception_fp_ieee_underflow 0
		.amdhsa_exception_fp_ieee_inexact 0
		.amdhsa_exception_int_div_zero 0
	.end_amdhsa_kernel
	.section	.text._Z6kernelI13subtract_leftLj256ELj4ELb1EJPdS1_jEEvDpT3_,"axG",@progbits,_Z6kernelI13subtract_leftLj256ELj4ELb1EJPdS1_jEEvDpT3_,comdat
.Lfunc_end56:
	.size	_Z6kernelI13subtract_leftLj256ELj4ELb1EJPdS1_jEEvDpT3_, .Lfunc_end56-_Z6kernelI13subtract_leftLj256ELj4ELb1EJPdS1_jEEvDpT3_
                                        ; -- End function
	.set _Z6kernelI13subtract_leftLj256ELj4ELb1EJPdS1_jEEvDpT3_.num_vgpr, 20
	.set _Z6kernelI13subtract_leftLj256ELj4ELb1EJPdS1_jEEvDpT3_.num_agpr, 0
	.set _Z6kernelI13subtract_leftLj256ELj4ELb1EJPdS1_jEEvDpT3_.numbered_sgpr, 9
	.set _Z6kernelI13subtract_leftLj256ELj4ELb1EJPdS1_jEEvDpT3_.num_named_barrier, 0
	.set _Z6kernelI13subtract_leftLj256ELj4ELb1EJPdS1_jEEvDpT3_.private_seg_size, 0
	.set _Z6kernelI13subtract_leftLj256ELj4ELb1EJPdS1_jEEvDpT3_.uses_vcc, 1
	.set _Z6kernelI13subtract_leftLj256ELj4ELb1EJPdS1_jEEvDpT3_.uses_flat_scratch, 0
	.set _Z6kernelI13subtract_leftLj256ELj4ELb1EJPdS1_jEEvDpT3_.has_dyn_sized_stack, 0
	.set _Z6kernelI13subtract_leftLj256ELj4ELb1EJPdS1_jEEvDpT3_.has_recursion, 0
	.set _Z6kernelI13subtract_leftLj256ELj4ELb1EJPdS1_jEEvDpT3_.has_indirect_call, 0
	.section	.AMDGPU.csdata,"",@progbits
; Kernel info:
; codeLenInByte = 376
; TotalNumSgprs: 11
; NumVgprs: 20
; ScratchSize: 0
; MemoryBound: 0
; FloatMode: 240
; IeeeMode: 1
; LDSByteSize: 4096 bytes/workgroup (compile time only)
; SGPRBlocks: 0
; VGPRBlocks: 1
; NumSGPRsForWavesPerEU: 11
; NumVGPRsForWavesPerEU: 20
; NamedBarCnt: 0
; Occupancy: 16
; WaveLimiterHint : 1
; COMPUTE_PGM_RSRC2:SCRATCH_EN: 0
; COMPUTE_PGM_RSRC2:USER_SGPR: 2
; COMPUTE_PGM_RSRC2:TRAP_HANDLER: 0
; COMPUTE_PGM_RSRC2:TGID_X_EN: 1
; COMPUTE_PGM_RSRC2:TGID_Y_EN: 0
; COMPUTE_PGM_RSRC2:TGID_Z_EN: 0
; COMPUTE_PGM_RSRC2:TIDIG_COMP_CNT: 0
	.section	.text._Z6kernelI13subtract_leftLj256ELj8ELb1EJPdS1_jEEvDpT3_,"axG",@progbits,_Z6kernelI13subtract_leftLj256ELj8ELb1EJPdS1_jEEvDpT3_,comdat
	.protected	_Z6kernelI13subtract_leftLj256ELj8ELb1EJPdS1_jEEvDpT3_ ; -- Begin function _Z6kernelI13subtract_leftLj256ELj8ELb1EJPdS1_jEEvDpT3_
	.globl	_Z6kernelI13subtract_leftLj256ELj8ELb1EJPdS1_jEEvDpT3_
	.p2align	8
	.type	_Z6kernelI13subtract_leftLj256ELj8ELb1EJPdS1_jEEvDpT3_,@function
_Z6kernelI13subtract_leftLj256ELj8ELb1EJPdS1_jEEvDpT3_: ; @_Z6kernelI13subtract_leftLj256ELj8ELb1EJPdS1_jEEvDpT3_
; %bb.0:
	s_load_b128 s[4:7], s[0:1], 0x0
	s_bfe_u32 s2, ttmp6, 0x4000c
	s_and_b32 s3, ttmp6, 15
	s_add_co_i32 s2, s2, 1
	s_getreg_b32 s8, hwreg(HW_REG_IB_STS2, 6, 4)
	s_mul_i32 s2, ttmp9, s2
	s_wait_xcnt 0x0
	s_load_b32 s0, s[0:1], 0x10
	s_add_co_i32 s3, s3, s2
	s_cmp_eq_u32 s8, 0
	s_cselect_b32 s2, ttmp9, s3
	s_mov_b32 s3, 0
	s_lshl_b32 s2, s2, 11
	s_delay_alu instid0(SALU_CYCLE_1)
	s_lshl_b64 s[2:3], s[2:3], 3
	s_wait_kmcnt 0x0
	s_add_nc_u64 s[4:5], s[4:5], s[2:3]
	s_clause 0x7
	global_load_b64 v[16:17], v0, s[4:5] scale_offset
	global_load_b64 v[14:15], v0, s[4:5] offset:2048 scale_offset
	global_load_b64 v[12:13], v0, s[4:5] offset:4096 scale_offset
	global_load_b64 v[10:11], v0, s[4:5] offset:6144 scale_offset
	global_load_b64 v[8:9], v0, s[4:5] offset:8192 scale_offset
	global_load_b64 v[6:7], v0, s[4:5] offset:10240 scale_offset
	global_load_b64 v[4:5], v0, s[4:5] offset:12288 scale_offset
	global_load_b64 v[2:3], v0, s[4:5] offset:14336 scale_offset
	s_cmp_eq_u32 s0, 0
	s_cbranch_scc1 .LBB57_5
; %bb.1:
	v_lshlrev_b32_e32 v1, 3, v0
	v_cmp_ne_u32_e32 vcc_lo, 0, v0
	s_delay_alu instid0(VALU_DEP_2)
	v_add_nc_u32_e32 v20, -8, v1
	s_branch .LBB57_3
.LBB57_2:                               ;   in Loop: Header=BB57_3 Depth=1
	s_or_b32 exec_lo, exec_lo, s1
	s_wait_dscnt 0x0
	v_add_f64_e64 v[18:19], v[16:17], -v[18:19]
	v_add_f64_e64 v[22:23], v[14:15], -v[16:17]
	;; [unrolled: 1-line block ×8, first 2 shown]
	s_add_co_i32 s0, s0, -1
	s_delay_alu instid0(SALU_CYCLE_1)
	s_cmp_lg_u32 s0, 0
	s_barrier_signal -1
	s_barrier_wait -1
	v_add_f64_e32 v[16:17], v[16:17], v[18:19]
	v_add_f64_e32 v[14:15], v[14:15], v[22:23]
	;; [unrolled: 1-line block ×8, first 2 shown]
	s_cbranch_scc0 .LBB57_5
.LBB57_3:                               ; =>This Inner Loop Header: Depth=1
	v_mov_b64_e32 v[18:19], 0x405ec00000000000
	s_wait_loadcnt 0x0
	ds_store_b64 v1, v[2:3]
	s_wait_dscnt 0x0
	s_barrier_signal -1
	s_barrier_wait -1
	s_and_saveexec_b32 s1, vcc_lo
	s_cbranch_execz .LBB57_2
; %bb.4:                                ;   in Loop: Header=BB57_3 Depth=1
	ds_load_b64 v[18:19], v20
	s_branch .LBB57_2
.LBB57_5:
	s_add_nc_u64 s[0:1], s[6:7], s[2:3]
	s_wait_loadcnt 0x7
	global_store_b64 v0, v[16:17], s[0:1] scale_offset
	s_wait_loadcnt 0x6
	global_store_b64 v0, v[14:15], s[0:1] offset:2048 scale_offset
	s_wait_loadcnt 0x5
	global_store_b64 v0, v[12:13], s[0:1] offset:4096 scale_offset
	;; [unrolled: 2-line block ×7, first 2 shown]
	s_endpgm
	.section	.rodata,"a",@progbits
	.p2align	6, 0x0
	.amdhsa_kernel _Z6kernelI13subtract_leftLj256ELj8ELb1EJPdS1_jEEvDpT3_
		.amdhsa_group_segment_fixed_size 4096
		.amdhsa_private_segment_fixed_size 0
		.amdhsa_kernarg_size 20
		.amdhsa_user_sgpr_count 2
		.amdhsa_user_sgpr_dispatch_ptr 0
		.amdhsa_user_sgpr_queue_ptr 0
		.amdhsa_user_sgpr_kernarg_segment_ptr 1
		.amdhsa_user_sgpr_dispatch_id 0
		.amdhsa_user_sgpr_kernarg_preload_length 0
		.amdhsa_user_sgpr_kernarg_preload_offset 0
		.amdhsa_user_sgpr_private_segment_size 0
		.amdhsa_wavefront_size32 1
		.amdhsa_uses_dynamic_stack 0
		.amdhsa_enable_private_segment 0
		.amdhsa_system_sgpr_workgroup_id_x 1
		.amdhsa_system_sgpr_workgroup_id_y 0
		.amdhsa_system_sgpr_workgroup_id_z 0
		.amdhsa_system_sgpr_workgroup_info 0
		.amdhsa_system_vgpr_workitem_id 0
		.amdhsa_next_free_vgpr 36
		.amdhsa_next_free_sgpr 9
		.amdhsa_named_barrier_count 0
		.amdhsa_reserve_vcc 1
		.amdhsa_float_round_mode_32 0
		.amdhsa_float_round_mode_16_64 0
		.amdhsa_float_denorm_mode_32 3
		.amdhsa_float_denorm_mode_16_64 3
		.amdhsa_fp16_overflow 0
		.amdhsa_memory_ordered 1
		.amdhsa_forward_progress 1
		.amdhsa_inst_pref_size 5
		.amdhsa_round_robin_scheduling 0
		.amdhsa_exception_fp_ieee_invalid_op 0
		.amdhsa_exception_fp_denorm_src 0
		.amdhsa_exception_fp_ieee_div_zero 0
		.amdhsa_exception_fp_ieee_overflow 0
		.amdhsa_exception_fp_ieee_underflow 0
		.amdhsa_exception_fp_ieee_inexact 0
		.amdhsa_exception_int_div_zero 0
	.end_amdhsa_kernel
	.section	.text._Z6kernelI13subtract_leftLj256ELj8ELb1EJPdS1_jEEvDpT3_,"axG",@progbits,_Z6kernelI13subtract_leftLj256ELj8ELb1EJPdS1_jEEvDpT3_,comdat
.Lfunc_end57:
	.size	_Z6kernelI13subtract_leftLj256ELj8ELb1EJPdS1_jEEvDpT3_, .Lfunc_end57-_Z6kernelI13subtract_leftLj256ELj8ELb1EJPdS1_jEEvDpT3_
                                        ; -- End function
	.set _Z6kernelI13subtract_leftLj256ELj8ELb1EJPdS1_jEEvDpT3_.num_vgpr, 36
	.set _Z6kernelI13subtract_leftLj256ELj8ELb1EJPdS1_jEEvDpT3_.num_agpr, 0
	.set _Z6kernelI13subtract_leftLj256ELj8ELb1EJPdS1_jEEvDpT3_.numbered_sgpr, 9
	.set _Z6kernelI13subtract_leftLj256ELj8ELb1EJPdS1_jEEvDpT3_.num_named_barrier, 0
	.set _Z6kernelI13subtract_leftLj256ELj8ELb1EJPdS1_jEEvDpT3_.private_seg_size, 0
	.set _Z6kernelI13subtract_leftLj256ELj8ELb1EJPdS1_jEEvDpT3_.uses_vcc, 1
	.set _Z6kernelI13subtract_leftLj256ELj8ELb1EJPdS1_jEEvDpT3_.uses_flat_scratch, 0
	.set _Z6kernelI13subtract_leftLj256ELj8ELb1EJPdS1_jEEvDpT3_.has_dyn_sized_stack, 0
	.set _Z6kernelI13subtract_leftLj256ELj8ELb1EJPdS1_jEEvDpT3_.has_recursion, 0
	.set _Z6kernelI13subtract_leftLj256ELj8ELb1EJPdS1_jEEvDpT3_.has_indirect_call, 0
	.section	.AMDGPU.csdata,"",@progbits
; Kernel info:
; codeLenInByte = 528
; TotalNumSgprs: 11
; NumVgprs: 36
; ScratchSize: 0
; MemoryBound: 0
; FloatMode: 240
; IeeeMode: 1
; LDSByteSize: 4096 bytes/workgroup (compile time only)
; SGPRBlocks: 0
; VGPRBlocks: 2
; NumSGPRsForWavesPerEU: 11
; NumVGPRsForWavesPerEU: 36
; NamedBarCnt: 0
; Occupancy: 16
; WaveLimiterHint : 1
; COMPUTE_PGM_RSRC2:SCRATCH_EN: 0
; COMPUTE_PGM_RSRC2:USER_SGPR: 2
; COMPUTE_PGM_RSRC2:TRAP_HANDLER: 0
; COMPUTE_PGM_RSRC2:TGID_X_EN: 1
; COMPUTE_PGM_RSRC2:TGID_Y_EN: 0
; COMPUTE_PGM_RSRC2:TGID_Z_EN: 0
; COMPUTE_PGM_RSRC2:TIDIG_COMP_CNT: 0
	.section	.text._Z6kernelI13subtract_leftLj256ELj16ELb1EJPdS1_jEEvDpT3_,"axG",@progbits,_Z6kernelI13subtract_leftLj256ELj16ELb1EJPdS1_jEEvDpT3_,comdat
	.protected	_Z6kernelI13subtract_leftLj256ELj16ELb1EJPdS1_jEEvDpT3_ ; -- Begin function _Z6kernelI13subtract_leftLj256ELj16ELb1EJPdS1_jEEvDpT3_
	.globl	_Z6kernelI13subtract_leftLj256ELj16ELb1EJPdS1_jEEvDpT3_
	.p2align	8
	.type	_Z6kernelI13subtract_leftLj256ELj16ELb1EJPdS1_jEEvDpT3_,@function
_Z6kernelI13subtract_leftLj256ELj16ELb1EJPdS1_jEEvDpT3_: ; @_Z6kernelI13subtract_leftLj256ELj16ELb1EJPdS1_jEEvDpT3_
; %bb.0:
	s_load_b128 s[4:7], s[0:1], 0x0
	s_bfe_u32 s2, ttmp6, 0x4000c
	s_and_b32 s3, ttmp6, 15
	s_add_co_i32 s2, s2, 1
	s_getreg_b32 s8, hwreg(HW_REG_IB_STS2, 6, 4)
	s_mul_i32 s2, ttmp9, s2
	s_wait_xcnt 0x0
	s_load_b32 s0, s[0:1], 0x10
	s_add_co_i32 s3, s3, s2
	s_cmp_eq_u32 s8, 0
	s_cselect_b32 s2, ttmp9, s3
	s_mov_b32 s3, 0
	s_lshl_b32 s2, s2, 12
	s_delay_alu instid0(SALU_CYCLE_1)
	s_lshl_b64 s[2:3], s[2:3], 3
	s_wait_kmcnt 0x0
	s_add_nc_u64 s[4:5], s[4:5], s[2:3]
	s_clause 0xf
	global_load_b64 v[32:33], v0, s[4:5] scale_offset
	global_load_b64 v[30:31], v0, s[4:5] offset:2048 scale_offset
	global_load_b64 v[28:29], v0, s[4:5] offset:4096 scale_offset
	;; [unrolled: 1-line block ×15, first 2 shown]
	s_cmp_eq_u32 s0, 0
	s_cbranch_scc1 .LBB58_5
; %bb.1:
	v_lshlrev_b32_e32 v1, 3, v0
	v_cmp_ne_u32_e32 vcc_lo, 0, v0
	s_delay_alu instid0(VALU_DEP_2)
	v_add_nc_u32_e32 v36, -8, v1
	s_branch .LBB58_3
.LBB58_2:                               ;   in Loop: Header=BB58_3 Depth=1
	s_or_b32 exec_lo, exec_lo, s1
	s_wait_dscnt 0x0
	v_add_f64_e64 v[34:35], v[32:33], -v[34:35]
	v_add_f64_e64 v[38:39], v[30:31], -v[32:33]
	;; [unrolled: 1-line block ×14, first 2 shown]
	s_add_co_i32 s0, s0, -1
	s_delay_alu instid0(SALU_CYCLE_1)
	s_cmp_lg_u32 s0, 0
	s_barrier_signal -1
	s_barrier_wait -1
	v_add_f64_e32 v[32:33], v[32:33], v[34:35]
	v_add_f64_e64 v[34:35], v[6:7], -v[8:9]
	v_add_f64_e32 v[30:31], v[30:31], v[38:39]
	v_add_f64_e64 v[38:39], v[2:3], -v[4:5]
	v_add_f64_e32 v[28:29], v[28:29], v[44:45]
	v_add_f64_e32 v[26:27], v[26:27], v[46:47]
	;; [unrolled: 1-line block ×14, first 2 shown]
	s_cbranch_scc0 .LBB58_5
.LBB58_3:                               ; =>This Inner Loop Header: Depth=1
	v_mov_b64_e32 v[34:35], 0x405ec00000000000
	s_wait_loadcnt 0x0
	ds_store_b64 v1, v[2:3]
	s_wait_dscnt 0x0
	s_barrier_signal -1
	s_barrier_wait -1
	s_and_saveexec_b32 s1, vcc_lo
	s_cbranch_execz .LBB58_2
; %bb.4:                                ;   in Loop: Header=BB58_3 Depth=1
	ds_load_b64 v[34:35], v36
	s_branch .LBB58_2
.LBB58_5:
	s_add_nc_u64 s[0:1], s[6:7], s[2:3]
	s_wait_loadcnt 0xf
	global_store_b64 v0, v[32:33], s[0:1] scale_offset
	s_wait_loadcnt 0xe
	global_store_b64 v0, v[30:31], s[0:1] offset:2048 scale_offset
	s_wait_loadcnt 0xd
	global_store_b64 v0, v[28:29], s[0:1] offset:4096 scale_offset
	;; [unrolled: 2-line block ×15, first 2 shown]
	s_endpgm
	.section	.rodata,"a",@progbits
	.p2align	6, 0x0
	.amdhsa_kernel _Z6kernelI13subtract_leftLj256ELj16ELb1EJPdS1_jEEvDpT3_
		.amdhsa_group_segment_fixed_size 4096
		.amdhsa_private_segment_fixed_size 0
		.amdhsa_kernarg_size 20
		.amdhsa_user_sgpr_count 2
		.amdhsa_user_sgpr_dispatch_ptr 0
		.amdhsa_user_sgpr_queue_ptr 0
		.amdhsa_user_sgpr_kernarg_segment_ptr 1
		.amdhsa_user_sgpr_dispatch_id 0
		.amdhsa_user_sgpr_kernarg_preload_length 0
		.amdhsa_user_sgpr_kernarg_preload_offset 0
		.amdhsa_user_sgpr_private_segment_size 0
		.amdhsa_wavefront_size32 1
		.amdhsa_uses_dynamic_stack 0
		.amdhsa_enable_private_segment 0
		.amdhsa_system_sgpr_workgroup_id_x 1
		.amdhsa_system_sgpr_workgroup_id_y 0
		.amdhsa_system_sgpr_workgroup_id_z 0
		.amdhsa_system_sgpr_workgroup_info 0
		.amdhsa_system_vgpr_workitem_id 0
		.amdhsa_next_free_vgpr 64
		.amdhsa_next_free_sgpr 9
		.amdhsa_named_barrier_count 0
		.amdhsa_reserve_vcc 1
		.amdhsa_float_round_mode_32 0
		.amdhsa_float_round_mode_16_64 0
		.amdhsa_float_denorm_mode_32 3
		.amdhsa_float_denorm_mode_16_64 3
		.amdhsa_fp16_overflow 0
		.amdhsa_memory_ordered 1
		.amdhsa_forward_progress 1
		.amdhsa_inst_pref_size 7
		.amdhsa_round_robin_scheduling 0
		.amdhsa_exception_fp_ieee_invalid_op 0
		.amdhsa_exception_fp_denorm_src 0
		.amdhsa_exception_fp_ieee_div_zero 0
		.amdhsa_exception_fp_ieee_overflow 0
		.amdhsa_exception_fp_ieee_underflow 0
		.amdhsa_exception_fp_ieee_inexact 0
		.amdhsa_exception_int_div_zero 0
	.end_amdhsa_kernel
	.section	.text._Z6kernelI13subtract_leftLj256ELj16ELb1EJPdS1_jEEvDpT3_,"axG",@progbits,_Z6kernelI13subtract_leftLj256ELj16ELb1EJPdS1_jEEvDpT3_,comdat
.Lfunc_end58:
	.size	_Z6kernelI13subtract_leftLj256ELj16ELb1EJPdS1_jEEvDpT3_, .Lfunc_end58-_Z6kernelI13subtract_leftLj256ELj16ELb1EJPdS1_jEEvDpT3_
                                        ; -- End function
	.set _Z6kernelI13subtract_leftLj256ELj16ELb1EJPdS1_jEEvDpT3_.num_vgpr, 64
	.set _Z6kernelI13subtract_leftLj256ELj16ELb1EJPdS1_jEEvDpT3_.num_agpr, 0
	.set _Z6kernelI13subtract_leftLj256ELj16ELb1EJPdS1_jEEvDpT3_.numbered_sgpr, 9
	.set _Z6kernelI13subtract_leftLj256ELj16ELb1EJPdS1_jEEvDpT3_.num_named_barrier, 0
	.set _Z6kernelI13subtract_leftLj256ELj16ELb1EJPdS1_jEEvDpT3_.private_seg_size, 0
	.set _Z6kernelI13subtract_leftLj256ELj16ELb1EJPdS1_jEEvDpT3_.uses_vcc, 1
	.set _Z6kernelI13subtract_leftLj256ELj16ELb1EJPdS1_jEEvDpT3_.uses_flat_scratch, 0
	.set _Z6kernelI13subtract_leftLj256ELj16ELb1EJPdS1_jEEvDpT3_.has_dyn_sized_stack, 0
	.set _Z6kernelI13subtract_leftLj256ELj16ELb1EJPdS1_jEEvDpT3_.has_recursion, 0
	.set _Z6kernelI13subtract_leftLj256ELj16ELb1EJPdS1_jEEvDpT3_.has_indirect_call, 0
	.section	.AMDGPU.csdata,"",@progbits
; Kernel info:
; codeLenInByte = 848
; TotalNumSgprs: 11
; NumVgprs: 64
; ScratchSize: 0
; MemoryBound: 0
; FloatMode: 240
; IeeeMode: 1
; LDSByteSize: 4096 bytes/workgroup (compile time only)
; SGPRBlocks: 0
; VGPRBlocks: 3
; NumSGPRsForWavesPerEU: 11
; NumVGPRsForWavesPerEU: 64
; NamedBarCnt: 0
; Occupancy: 16
; WaveLimiterHint : 1
; COMPUTE_PGM_RSRC2:SCRATCH_EN: 0
; COMPUTE_PGM_RSRC2:USER_SGPR: 2
; COMPUTE_PGM_RSRC2:TRAP_HANDLER: 0
; COMPUTE_PGM_RSRC2:TGID_X_EN: 1
; COMPUTE_PGM_RSRC2:TGID_Y_EN: 0
; COMPUTE_PGM_RSRC2:TGID_Z_EN: 0
; COMPUTE_PGM_RSRC2:TIDIG_COMP_CNT: 0
	.section	.text._Z6kernelI13subtract_leftLj256ELj32ELb1EJPdS1_jEEvDpT3_,"axG",@progbits,_Z6kernelI13subtract_leftLj256ELj32ELb1EJPdS1_jEEvDpT3_,comdat
	.protected	_Z6kernelI13subtract_leftLj256ELj32ELb1EJPdS1_jEEvDpT3_ ; -- Begin function _Z6kernelI13subtract_leftLj256ELj32ELb1EJPdS1_jEEvDpT3_
	.globl	_Z6kernelI13subtract_leftLj256ELj32ELb1EJPdS1_jEEvDpT3_
	.p2align	8
	.type	_Z6kernelI13subtract_leftLj256ELj32ELb1EJPdS1_jEEvDpT3_,@function
_Z6kernelI13subtract_leftLj256ELj32ELb1EJPdS1_jEEvDpT3_: ; @_Z6kernelI13subtract_leftLj256ELj32ELb1EJPdS1_jEEvDpT3_
; %bb.0:
	s_load_b128 s[4:7], s[0:1], 0x0
	s_bfe_u32 s2, ttmp6, 0x4000c
	s_and_b32 s3, ttmp6, 15
	s_add_co_i32 s2, s2, 1
	s_getreg_b32 s8, hwreg(HW_REG_IB_STS2, 6, 4)
	s_mul_i32 s2, ttmp9, s2
	s_wait_xcnt 0x0
	s_load_b32 s0, s[0:1], 0x10
	s_add_co_i32 s3, s3, s2
	s_cmp_eq_u32 s8, 0
	s_cselect_b32 s2, ttmp9, s3
	s_mov_b32 s3, 0
	s_lshl_b32 s2, s2, 13
	s_delay_alu instid0(SALU_CYCLE_1)
	s_lshl_b64 s[2:3], s[2:3], 3
	s_wait_kmcnt 0x0
	s_add_nc_u64 s[4:5], s[4:5], s[2:3]
	s_clause 0x1f
	global_load_b64 v[52:53], v0, s[4:5] scale_offset
	global_load_b64 v[50:51], v0, s[4:5] offset:2048 scale_offset
	global_load_b64 v[48:49], v0, s[4:5] offset:4096 scale_offset
	;; [unrolled: 1-line block ×31, first 2 shown]
	s_cmp_eq_u32 s0, 0
	s_cbranch_scc1 .LBB59_5
; %bb.1:
	v_lshlrev_b32_e32 v1, 3, v0
	v_cmp_ne_u32_e32 vcc_lo, 0, v0
	s_delay_alu instid0(VALU_DEP_2)
	v_add_nc_u32_e32 v68, -8, v1
	s_branch .LBB59_3
.LBB59_2:                               ;   in Loop: Header=BB59_3 Depth=1
	s_or_b32 exec_lo, exec_lo, s1
	s_wait_dscnt 0x0
	v_add_f64_e64 v[66:67], v[52:53], -v[66:67]
	v_add_f64_e64 v[70:71], v[50:51], -v[52:53]
	;; [unrolled: 1-line block ×6, first 2 shown]
	s_add_co_i32 s0, s0, -1
	s_delay_alu instid0(SALU_CYCLE_1)
	s_cmp_lg_u32 s0, 0
	s_barrier_signal -1
	s_barrier_wait -1
	v_add_f64_e32 v[52:53], v[52:53], v[66:67]
	v_add_f64_e64 v[66:67], v[40:41], -v[42:43]
	v_add_f64_e32 v[50:51], v[50:51], v[70:71]
	v_add_f64_e64 v[70:71], v[38:39], -v[40:41]
	v_add_f64_e32 v[48:49], v[48:49], v[72:73]
	v_add_f64_e64 v[72:73], v[36:37], -v[38:39]
	v_add_f64_e32 v[46:47], v[46:47], v[74:75]
	v_add_f64_e64 v[74:75], v[34:35], -v[36:37]
	v_add_f64_e32 v[44:45], v[44:45], v[76:77]
	v_add_f64_e64 v[76:77], v[32:33], -v[34:35]
	v_add_f64_e32 v[42:43], v[42:43], v[78:79]
	v_add_f64_e64 v[78:79], v[30:31], -v[32:33]
	v_add_f64_e32 v[40:41], v[40:41], v[66:67]
	v_add_f64_e64 v[66:67], v[28:29], -v[30:31]
	v_add_f64_e32 v[38:39], v[38:39], v[70:71]
	v_add_f64_e64 v[70:71], v[26:27], -v[28:29]
	v_add_f64_e32 v[36:37], v[36:37], v[72:73]
	v_add_f64_e64 v[72:73], v[24:25], -v[26:27]
	v_add_f64_e32 v[34:35], v[34:35], v[74:75]
	v_add_f64_e64 v[74:75], v[22:23], -v[24:25]
	v_add_f64_e32 v[32:33], v[32:33], v[76:77]
	v_add_f64_e64 v[76:77], v[20:21], -v[22:23]
	v_add_f64_e32 v[30:31], v[30:31], v[78:79]
	v_add_f64_e64 v[78:79], v[18:19], -v[20:21]
	v_add_f64_e32 v[28:29], v[28:29], v[66:67]
	v_add_f64_e64 v[66:67], v[16:17], -v[18:19]
	v_add_f64_e32 v[26:27], v[26:27], v[70:71]
	v_add_f64_e64 v[70:71], v[14:15], -v[16:17]
	v_add_f64_e32 v[24:25], v[24:25], v[72:73]
	v_add_f64_e64 v[72:73], v[12:13], -v[14:15]
	v_add_f64_e32 v[22:23], v[22:23], v[74:75]
	v_add_f64_e64 v[74:75], v[10:11], -v[12:13]
	v_add_f64_e32 v[20:21], v[20:21], v[76:77]
	v_add_f64_e64 v[76:77], v[8:9], -v[10:11]
	v_add_f64_e32 v[18:19], v[18:19], v[78:79]
	v_add_f64_e64 v[78:79], v[6:7], -v[8:9]
	v_add_f64_e32 v[16:17], v[16:17], v[66:67]
	v_add_f64_e64 v[66:67], v[4:5], -v[6:7]
	v_add_f64_e32 v[14:15], v[14:15], v[70:71]
	v_add_f64_e64 v[70:71], v[2:3], -v[4:5]
	v_add_f64_e32 v[12:13], v[12:13], v[72:73]
	v_add_f64_e64 v[72:73], v[56:57], -v[58:59]
	v_add_f64_e32 v[10:11], v[10:11], v[74:75]
	v_add_f64_e64 v[74:75], v[60:61], -v[62:63]
	v_add_f64_e32 v[8:9], v[8:9], v[76:77]
	v_add_f64_e64 v[76:77], v[64:65], -v[2:3]
	v_add_f64_e32 v[6:7], v[6:7], v[78:79]
	v_add_f64_e64 v[78:79], v[62:63], -v[64:65]
	v_add_f64_e32 v[4:5], v[4:5], v[66:67]
	v_add_f64_e64 v[66:67], v[58:59], -v[60:61]
	v_add_f64_e32 v[2:3], v[2:3], v[70:71]
	v_add_f64_e64 v[70:71], v[54:55], -v[56:57]
	v_add_f64_e32 v[56:57], v[56:57], v[72:73]
	v_add_f64_e32 v[60:61], v[60:61], v[74:75]
	;; [unrolled: 1-line block ×6, first 2 shown]
	s_cbranch_scc0 .LBB59_5
.LBB59_3:                               ; =>This Inner Loop Header: Depth=1
	v_mov_b64_e32 v[66:67], 0x405ec00000000000
	s_wait_loadcnt 0x0
	ds_store_b64 v1, v[54:55]
	s_wait_dscnt 0x0
	s_barrier_signal -1
	s_barrier_wait -1
	s_and_saveexec_b32 s1, vcc_lo
	s_cbranch_execz .LBB59_2
; %bb.4:                                ;   in Loop: Header=BB59_3 Depth=1
	ds_load_b64 v[66:67], v68
	s_branch .LBB59_2
.LBB59_5:
	s_add_nc_u64 s[0:1], s[6:7], s[2:3]
	s_wait_loadcnt 0x1f
	global_store_b64 v0, v[52:53], s[0:1] scale_offset
	s_wait_loadcnt 0x1e
	global_store_b64 v0, v[50:51], s[0:1] offset:2048 scale_offset
	s_wait_loadcnt 0x1d
	global_store_b64 v0, v[48:49], s[0:1] offset:4096 scale_offset
	s_wait_loadcnt 0x1c
	global_store_b64 v0, v[46:47], s[0:1] offset:6144 scale_offset
	s_wait_loadcnt 0x1b
	global_store_b64 v0, v[44:45], s[0:1] offset:8192 scale_offset
	s_wait_loadcnt 0x1a
	global_store_b64 v0, v[42:43], s[0:1] offset:10240 scale_offset
	s_wait_loadcnt 0x19
	global_store_b64 v0, v[40:41], s[0:1] offset:12288 scale_offset
	s_wait_loadcnt 0x18
	global_store_b64 v0, v[38:39], s[0:1] offset:14336 scale_offset
	s_wait_loadcnt 0x17
	global_store_b64 v0, v[36:37], s[0:1] offset:16384 scale_offset
	s_wait_loadcnt 0x16
	global_store_b64 v0, v[34:35], s[0:1] offset:18432 scale_offset
	s_wait_loadcnt 0x15
	global_store_b64 v0, v[32:33], s[0:1] offset:20480 scale_offset
	s_wait_loadcnt 0x14
	global_store_b64 v0, v[30:31], s[0:1] offset:22528 scale_offset
	s_wait_loadcnt 0x13
	global_store_b64 v0, v[28:29], s[0:1] offset:24576 scale_offset
	s_wait_loadcnt 0x12
	global_store_b64 v0, v[26:27], s[0:1] offset:26624 scale_offset
	s_wait_loadcnt 0x11
	global_store_b64 v0, v[24:25], s[0:1] offset:28672 scale_offset
	s_wait_loadcnt 0x10
	global_store_b64 v0, v[22:23], s[0:1] offset:30720 scale_offset
	s_wait_loadcnt 0xf
	global_store_b64 v0, v[20:21], s[0:1] offset:32768 scale_offset
	s_wait_loadcnt 0xe
	global_store_b64 v0, v[18:19], s[0:1] offset:34816 scale_offset
	s_wait_loadcnt 0xd
	global_store_b64 v0, v[16:17], s[0:1] offset:36864 scale_offset
	s_wait_loadcnt 0xc
	global_store_b64 v0, v[14:15], s[0:1] offset:38912 scale_offset
	s_wait_loadcnt 0xb
	global_store_b64 v0, v[12:13], s[0:1] offset:40960 scale_offset
	s_wait_loadcnt 0xa
	global_store_b64 v0, v[10:11], s[0:1] offset:43008 scale_offset
	s_wait_loadcnt 0x9
	global_store_b64 v0, v[8:9], s[0:1] offset:45056 scale_offset
	s_wait_loadcnt 0x8
	global_store_b64 v0, v[6:7], s[0:1] offset:47104 scale_offset
	s_wait_loadcnt 0x7
	global_store_b64 v0, v[4:5], s[0:1] offset:49152 scale_offset
	s_wait_loadcnt 0x6
	global_store_b64 v0, v[2:3], s[0:1] offset:51200 scale_offset
	s_wait_loadcnt 0x5
	global_store_b64 v0, v[64:65], s[0:1] offset:53248 scale_offset
	s_wait_loadcnt 0x4
	global_store_b64 v0, v[62:63], s[0:1] offset:55296 scale_offset
	s_wait_loadcnt 0x3
	global_store_b64 v0, v[60:61], s[0:1] offset:57344 scale_offset
	s_wait_loadcnt 0x2
	global_store_b64 v0, v[58:59], s[0:1] offset:59392 scale_offset
	s_wait_loadcnt 0x1
	global_store_b64 v0, v[56:57], s[0:1] offset:61440 scale_offset
	s_wait_loadcnt 0x0
	global_store_b64 v0, v[54:55], s[0:1] offset:63488 scale_offset
	s_sendmsg sendmsg(MSG_DEALLOC_VGPRS)
	s_endpgm
	.section	.rodata,"a",@progbits
	.p2align	6, 0x0
	.amdhsa_kernel _Z6kernelI13subtract_leftLj256ELj32ELb1EJPdS1_jEEvDpT3_
		.amdhsa_group_segment_fixed_size 4096
		.amdhsa_private_segment_fixed_size 0
		.amdhsa_kernarg_size 20
		.amdhsa_user_sgpr_count 2
		.amdhsa_user_sgpr_dispatch_ptr 0
		.amdhsa_user_sgpr_queue_ptr 0
		.amdhsa_user_sgpr_kernarg_segment_ptr 1
		.amdhsa_user_sgpr_dispatch_id 0
		.amdhsa_user_sgpr_kernarg_preload_length 0
		.amdhsa_user_sgpr_kernarg_preload_offset 0
		.amdhsa_user_sgpr_private_segment_size 0
		.amdhsa_wavefront_size32 1
		.amdhsa_uses_dynamic_stack 0
		.amdhsa_enable_private_segment 0
		.amdhsa_system_sgpr_workgroup_id_x 1
		.amdhsa_system_sgpr_workgroup_id_y 0
		.amdhsa_system_sgpr_workgroup_id_z 0
		.amdhsa_system_sgpr_workgroup_info 0
		.amdhsa_system_vgpr_workitem_id 0
		.amdhsa_next_free_vgpr 80
		.amdhsa_next_free_sgpr 9
		.amdhsa_named_barrier_count 0
		.amdhsa_reserve_vcc 1
		.amdhsa_float_round_mode_32 0
		.amdhsa_float_round_mode_16_64 0
		.amdhsa_float_denorm_mode_32 3
		.amdhsa_float_denorm_mode_16_64 3
		.amdhsa_fp16_overflow 0
		.amdhsa_memory_ordered 1
		.amdhsa_forward_progress 1
		.amdhsa_inst_pref_size 12
		.amdhsa_round_robin_scheduling 0
		.amdhsa_exception_fp_ieee_invalid_op 0
		.amdhsa_exception_fp_denorm_src 0
		.amdhsa_exception_fp_ieee_div_zero 0
		.amdhsa_exception_fp_ieee_overflow 0
		.amdhsa_exception_fp_ieee_underflow 0
		.amdhsa_exception_fp_ieee_inexact 0
		.amdhsa_exception_int_div_zero 0
	.end_amdhsa_kernel
	.section	.text._Z6kernelI13subtract_leftLj256ELj32ELb1EJPdS1_jEEvDpT3_,"axG",@progbits,_Z6kernelI13subtract_leftLj256ELj32ELb1EJPdS1_jEEvDpT3_,comdat
.Lfunc_end59:
	.size	_Z6kernelI13subtract_leftLj256ELj32ELb1EJPdS1_jEEvDpT3_, .Lfunc_end59-_Z6kernelI13subtract_leftLj256ELj32ELb1EJPdS1_jEEvDpT3_
                                        ; -- End function
	.set _Z6kernelI13subtract_leftLj256ELj32ELb1EJPdS1_jEEvDpT3_.num_vgpr, 80
	.set _Z6kernelI13subtract_leftLj256ELj32ELb1EJPdS1_jEEvDpT3_.num_agpr, 0
	.set _Z6kernelI13subtract_leftLj256ELj32ELb1EJPdS1_jEEvDpT3_.numbered_sgpr, 9
	.set _Z6kernelI13subtract_leftLj256ELj32ELb1EJPdS1_jEEvDpT3_.num_named_barrier, 0
	.set _Z6kernelI13subtract_leftLj256ELj32ELb1EJPdS1_jEEvDpT3_.private_seg_size, 0
	.set _Z6kernelI13subtract_leftLj256ELj32ELb1EJPdS1_jEEvDpT3_.uses_vcc, 1
	.set _Z6kernelI13subtract_leftLj256ELj32ELb1EJPdS1_jEEvDpT3_.uses_flat_scratch, 0
	.set _Z6kernelI13subtract_leftLj256ELj32ELb1EJPdS1_jEEvDpT3_.has_dyn_sized_stack, 0
	.set _Z6kernelI13subtract_leftLj256ELj32ELb1EJPdS1_jEEvDpT3_.has_recursion, 0
	.set _Z6kernelI13subtract_leftLj256ELj32ELb1EJPdS1_jEEvDpT3_.has_indirect_call, 0
	.section	.AMDGPU.csdata,"",@progbits
; Kernel info:
; codeLenInByte = 1492
; TotalNumSgprs: 11
; NumVgprs: 80
; ScratchSize: 0
; MemoryBound: 0
; FloatMode: 240
; IeeeMode: 1
; LDSByteSize: 4096 bytes/workgroup (compile time only)
; SGPRBlocks: 0
; VGPRBlocks: 4
; NumSGPRsForWavesPerEU: 11
; NumVGPRsForWavesPerEU: 80
; NamedBarCnt: 0
; Occupancy: 12
; WaveLimiterHint : 1
; COMPUTE_PGM_RSRC2:SCRATCH_EN: 0
; COMPUTE_PGM_RSRC2:USER_SGPR: 2
; COMPUTE_PGM_RSRC2:TRAP_HANDLER: 0
; COMPUTE_PGM_RSRC2:TGID_X_EN: 1
; COMPUTE_PGM_RSRC2:TGID_Y_EN: 0
; COMPUTE_PGM_RSRC2:TGID_Z_EN: 0
; COMPUTE_PGM_RSRC2:TIDIG_COMP_CNT: 0
	.section	.text._Z6kernelI14subtract_rightLj256ELj1ELb0EJPiS1_jEEvDpT3_,"axG",@progbits,_Z6kernelI14subtract_rightLj256ELj1ELb0EJPiS1_jEEvDpT3_,comdat
	.protected	_Z6kernelI14subtract_rightLj256ELj1ELb0EJPiS1_jEEvDpT3_ ; -- Begin function _Z6kernelI14subtract_rightLj256ELj1ELb0EJPiS1_jEEvDpT3_
	.globl	_Z6kernelI14subtract_rightLj256ELj1ELb0EJPiS1_jEEvDpT3_
	.p2align	8
	.type	_Z6kernelI14subtract_rightLj256ELj1ELb0EJPiS1_jEEvDpT3_,@function
_Z6kernelI14subtract_rightLj256ELj1ELb0EJPiS1_jEEvDpT3_: ; @_Z6kernelI14subtract_rightLj256ELj1ELb0EJPiS1_jEEvDpT3_
; %bb.0:
	s_load_b128 s[4:7], s[0:1], 0x0
	s_bfe_u32 s2, ttmp6, 0x4000c
	s_and_b32 s3, ttmp6, 15
	s_add_co_i32 s2, s2, 1
	s_getreg_b32 s8, hwreg(HW_REG_IB_STS2, 6, 4)
	s_mul_i32 s2, ttmp9, s2
	s_wait_xcnt 0x0
	s_load_b32 s0, s[0:1], 0x10
	s_add_co_i32 s3, s3, s2
	s_cmp_eq_u32 s8, 0
	s_cselect_b32 s2, ttmp9, s3
	s_mov_b32 s3, 0
	s_lshl_b32 s2, s2, 8
	s_delay_alu instid0(SALU_CYCLE_1)
	s_lshl_b64 s[2:3], s[2:3], 2
	s_wait_kmcnt 0x0
	s_add_nc_u64 s[4:5], s[4:5], s[2:3]
	global_load_b32 v1, v0, s[4:5] scale_offset
	s_cmp_eq_u32 s0, 0
	s_cbranch_scc1 .LBB60_5
; %bb.1:
	v_lshlrev_b32_e32 v2, 2, v0
	v_cmp_ne_u32_e32 vcc_lo, 0xff, v0
	s_branch .LBB60_3
.LBB60_2:                               ;   in Loop: Header=BB60_3 Depth=1
	s_or_b32 exec_lo, exec_lo, s1
	s_delay_alu instid0(VALU_DEP_1) | instskip(SKIP_1) | instid1(SALU_CYCLE_1)
	v_add_nc_u32_e32 v1, v3, v1
	s_add_co_i32 s0, s0, -1
	s_cmp_lg_u32 s0, 0
	s_barrier_signal -1
	s_barrier_wait -1
	s_cbranch_scc0 .LBB60_5
.LBB60_3:                               ; =>This Inner Loop Header: Depth=1
	s_wait_loadcnt 0x0
	v_mov_b32_e32 v3, v1
	ds_store_b32 v2, v1 offset:1024
	s_wait_dscnt 0x0
	s_barrier_signal -1
	s_barrier_wait -1
	s_and_saveexec_b32 s1, vcc_lo
	s_cbranch_execz .LBB60_2
; %bb.4:                                ;   in Loop: Header=BB60_3 Depth=1
	ds_load_b32 v3, v2 offset:1028
	s_wait_dscnt 0x0
	v_sub_nc_u32_e32 v3, v1, v3
	s_branch .LBB60_2
.LBB60_5:
	s_add_nc_u64 s[0:1], s[6:7], s[2:3]
	s_wait_loadcnt 0x0
	global_store_b32 v0, v1, s[0:1] scale_offset
	s_endpgm
	.section	.rodata,"a",@progbits
	.p2align	6, 0x0
	.amdhsa_kernel _Z6kernelI14subtract_rightLj256ELj1ELb0EJPiS1_jEEvDpT3_
		.amdhsa_group_segment_fixed_size 2048
		.amdhsa_private_segment_fixed_size 0
		.amdhsa_kernarg_size 20
		.amdhsa_user_sgpr_count 2
		.amdhsa_user_sgpr_dispatch_ptr 0
		.amdhsa_user_sgpr_queue_ptr 0
		.amdhsa_user_sgpr_kernarg_segment_ptr 1
		.amdhsa_user_sgpr_dispatch_id 0
		.amdhsa_user_sgpr_kernarg_preload_length 0
		.amdhsa_user_sgpr_kernarg_preload_offset 0
		.amdhsa_user_sgpr_private_segment_size 0
		.amdhsa_wavefront_size32 1
		.amdhsa_uses_dynamic_stack 0
		.amdhsa_enable_private_segment 0
		.amdhsa_system_sgpr_workgroup_id_x 1
		.amdhsa_system_sgpr_workgroup_id_y 0
		.amdhsa_system_sgpr_workgroup_id_z 0
		.amdhsa_system_sgpr_workgroup_info 0
		.amdhsa_system_vgpr_workitem_id 0
		.amdhsa_next_free_vgpr 4
		.amdhsa_next_free_sgpr 9
		.amdhsa_named_barrier_count 0
		.amdhsa_reserve_vcc 1
		.amdhsa_float_round_mode_32 0
		.amdhsa_float_round_mode_16_64 0
		.amdhsa_float_denorm_mode_32 3
		.amdhsa_float_denorm_mode_16_64 3
		.amdhsa_fp16_overflow 0
		.amdhsa_memory_ordered 1
		.amdhsa_forward_progress 1
		.amdhsa_inst_pref_size 2
		.amdhsa_round_robin_scheduling 0
		.amdhsa_exception_fp_ieee_invalid_op 0
		.amdhsa_exception_fp_denorm_src 0
		.amdhsa_exception_fp_ieee_div_zero 0
		.amdhsa_exception_fp_ieee_overflow 0
		.amdhsa_exception_fp_ieee_underflow 0
		.amdhsa_exception_fp_ieee_inexact 0
		.amdhsa_exception_int_div_zero 0
	.end_amdhsa_kernel
	.section	.text._Z6kernelI14subtract_rightLj256ELj1ELb0EJPiS1_jEEvDpT3_,"axG",@progbits,_Z6kernelI14subtract_rightLj256ELj1ELb0EJPiS1_jEEvDpT3_,comdat
.Lfunc_end60:
	.size	_Z6kernelI14subtract_rightLj256ELj1ELb0EJPiS1_jEEvDpT3_, .Lfunc_end60-_Z6kernelI14subtract_rightLj256ELj1ELb0EJPiS1_jEEvDpT3_
                                        ; -- End function
	.set _Z6kernelI14subtract_rightLj256ELj1ELb0EJPiS1_jEEvDpT3_.num_vgpr, 4
	.set _Z6kernelI14subtract_rightLj256ELj1ELb0EJPiS1_jEEvDpT3_.num_agpr, 0
	.set _Z6kernelI14subtract_rightLj256ELj1ELb0EJPiS1_jEEvDpT3_.numbered_sgpr, 9
	.set _Z6kernelI14subtract_rightLj256ELj1ELb0EJPiS1_jEEvDpT3_.num_named_barrier, 0
	.set _Z6kernelI14subtract_rightLj256ELj1ELb0EJPiS1_jEEvDpT3_.private_seg_size, 0
	.set _Z6kernelI14subtract_rightLj256ELj1ELb0EJPiS1_jEEvDpT3_.uses_vcc, 1
	.set _Z6kernelI14subtract_rightLj256ELj1ELb0EJPiS1_jEEvDpT3_.uses_flat_scratch, 0
	.set _Z6kernelI14subtract_rightLj256ELj1ELb0EJPiS1_jEEvDpT3_.has_dyn_sized_stack, 0
	.set _Z6kernelI14subtract_rightLj256ELj1ELb0EJPiS1_jEEvDpT3_.has_recursion, 0
	.set _Z6kernelI14subtract_rightLj256ELj1ELb0EJPiS1_jEEvDpT3_.has_indirect_call, 0
	.section	.AMDGPU.csdata,"",@progbits
; Kernel info:
; codeLenInByte = 228
; TotalNumSgprs: 11
; NumVgprs: 4
; ScratchSize: 0
; MemoryBound: 0
; FloatMode: 240
; IeeeMode: 1
; LDSByteSize: 2048 bytes/workgroup (compile time only)
; SGPRBlocks: 0
; VGPRBlocks: 0
; NumSGPRsForWavesPerEU: 11
; NumVGPRsForWavesPerEU: 4
; NamedBarCnt: 0
; Occupancy: 16
; WaveLimiterHint : 0
; COMPUTE_PGM_RSRC2:SCRATCH_EN: 0
; COMPUTE_PGM_RSRC2:USER_SGPR: 2
; COMPUTE_PGM_RSRC2:TRAP_HANDLER: 0
; COMPUTE_PGM_RSRC2:TGID_X_EN: 1
; COMPUTE_PGM_RSRC2:TGID_Y_EN: 0
; COMPUTE_PGM_RSRC2:TGID_Z_EN: 0
; COMPUTE_PGM_RSRC2:TIDIG_COMP_CNT: 0
	.section	.text._Z6kernelI14subtract_rightLj256ELj3ELb0EJPiS1_jEEvDpT3_,"axG",@progbits,_Z6kernelI14subtract_rightLj256ELj3ELb0EJPiS1_jEEvDpT3_,comdat
	.protected	_Z6kernelI14subtract_rightLj256ELj3ELb0EJPiS1_jEEvDpT3_ ; -- Begin function _Z6kernelI14subtract_rightLj256ELj3ELb0EJPiS1_jEEvDpT3_
	.globl	_Z6kernelI14subtract_rightLj256ELj3ELb0EJPiS1_jEEvDpT3_
	.p2align	8
	.type	_Z6kernelI14subtract_rightLj256ELj3ELb0EJPiS1_jEEvDpT3_,@function
_Z6kernelI14subtract_rightLj256ELj3ELb0EJPiS1_jEEvDpT3_: ; @_Z6kernelI14subtract_rightLj256ELj3ELb0EJPiS1_jEEvDpT3_
; %bb.0:
	s_load_b128 s[4:7], s[0:1], 0x0
	s_bfe_u32 s2, ttmp6, 0x4000c
	s_and_b32 s3, ttmp6, 15
	s_add_co_i32 s2, s2, 1
	s_getreg_b32 s8, hwreg(HW_REG_IB_STS2, 6, 4)
	s_mul_i32 s2, ttmp9, s2
	s_wait_xcnt 0x0
	s_load_b32 s0, s[0:1], 0x10
	s_add_co_i32 s3, s3, s2
	s_cmp_eq_u32 s8, 0
	s_cselect_b32 s2, ttmp9, s3
	s_mov_b32 s3, 0
	s_mulk_i32 s2, 0x300
	s_delay_alu instid0(SALU_CYCLE_1)
	s_lshl_b64 s[2:3], s[2:3], 2
	s_wait_kmcnt 0x0
	s_add_nc_u64 s[4:5], s[4:5], s[2:3]
	s_clause 0x2
	global_load_b32 v3, v0, s[4:5] scale_offset
	global_load_b32 v2, v0, s[4:5] offset:1024 scale_offset
	global_load_b32 v1, v0, s[4:5] offset:2048 scale_offset
	s_cmp_eq_u32 s0, 0
	s_cbranch_scc1 .LBB61_5
; %bb.1:
	v_lshlrev_b32_e32 v4, 2, v0
	v_cmp_ne_u32_e32 vcc_lo, 0xff, v0
	s_branch .LBB61_3
.LBB61_2:                               ;   in Loop: Header=BB61_3 Depth=1
	s_or_b32 exec_lo, exec_lo, s1
	v_dual_sub_nc_u32 v6, v3, v2 :: v_dual_sub_nc_u32 v7, v2, v1
	s_delay_alu instid0(VALU_DEP_2) | instskip(SKIP_1) | instid1(VALU_DEP_2)
	v_add_nc_u32_e32 v1, v5, v1
	s_add_co_i32 s0, s0, -1
	v_dual_add_nc_u32 v3, v6, v3 :: v_dual_add_nc_u32 v2, v7, v2
	s_cmp_lg_u32 s0, 0
	s_barrier_signal -1
	s_barrier_wait -1
	s_cbranch_scc0 .LBB61_5
.LBB61_3:                               ; =>This Inner Loop Header: Depth=1
	s_wait_loadcnt 0x0
	v_mov_b32_e32 v5, v1
	ds_store_b32 v4, v3 offset:1024
	s_wait_dscnt 0x0
	s_barrier_signal -1
	s_barrier_wait -1
	s_and_saveexec_b32 s1, vcc_lo
	s_cbranch_execz .LBB61_2
; %bb.4:                                ;   in Loop: Header=BB61_3 Depth=1
	ds_load_b32 v5, v4 offset:1028
	s_wait_dscnt 0x0
	v_sub_nc_u32_e32 v5, v1, v5
	s_branch .LBB61_2
.LBB61_5:
	s_add_nc_u64 s[0:1], s[6:7], s[2:3]
	s_wait_loadcnt 0x2
	global_store_b32 v0, v3, s[0:1] scale_offset
	s_wait_loadcnt 0x1
	global_store_b32 v0, v2, s[0:1] offset:1024 scale_offset
	s_wait_loadcnt 0x0
	global_store_b32 v0, v1, s[0:1] offset:2048 scale_offset
	s_endpgm
	.section	.rodata,"a",@progbits
	.p2align	6, 0x0
	.amdhsa_kernel _Z6kernelI14subtract_rightLj256ELj3ELb0EJPiS1_jEEvDpT3_
		.amdhsa_group_segment_fixed_size 2048
		.amdhsa_private_segment_fixed_size 0
		.amdhsa_kernarg_size 20
		.amdhsa_user_sgpr_count 2
		.amdhsa_user_sgpr_dispatch_ptr 0
		.amdhsa_user_sgpr_queue_ptr 0
		.amdhsa_user_sgpr_kernarg_segment_ptr 1
		.amdhsa_user_sgpr_dispatch_id 0
		.amdhsa_user_sgpr_kernarg_preload_length 0
		.amdhsa_user_sgpr_kernarg_preload_offset 0
		.amdhsa_user_sgpr_private_segment_size 0
		.amdhsa_wavefront_size32 1
		.amdhsa_uses_dynamic_stack 0
		.amdhsa_enable_private_segment 0
		.amdhsa_system_sgpr_workgroup_id_x 1
		.amdhsa_system_sgpr_workgroup_id_y 0
		.amdhsa_system_sgpr_workgroup_id_z 0
		.amdhsa_system_sgpr_workgroup_info 0
		.amdhsa_system_vgpr_workitem_id 0
		.amdhsa_next_free_vgpr 8
		.amdhsa_next_free_sgpr 9
		.amdhsa_named_barrier_count 0
		.amdhsa_reserve_vcc 1
		.amdhsa_float_round_mode_32 0
		.amdhsa_float_round_mode_16_64 0
		.amdhsa_float_denorm_mode_32 3
		.amdhsa_float_denorm_mode_16_64 3
		.amdhsa_fp16_overflow 0
		.amdhsa_memory_ordered 1
		.amdhsa_forward_progress 1
		.amdhsa_inst_pref_size 3
		.amdhsa_round_robin_scheduling 0
		.amdhsa_exception_fp_ieee_invalid_op 0
		.amdhsa_exception_fp_denorm_src 0
		.amdhsa_exception_fp_ieee_div_zero 0
		.amdhsa_exception_fp_ieee_overflow 0
		.amdhsa_exception_fp_ieee_underflow 0
		.amdhsa_exception_fp_ieee_inexact 0
		.amdhsa_exception_int_div_zero 0
	.end_amdhsa_kernel
	.section	.text._Z6kernelI14subtract_rightLj256ELj3ELb0EJPiS1_jEEvDpT3_,"axG",@progbits,_Z6kernelI14subtract_rightLj256ELj3ELb0EJPiS1_jEEvDpT3_,comdat
.Lfunc_end61:
	.size	_Z6kernelI14subtract_rightLj256ELj3ELb0EJPiS1_jEEvDpT3_, .Lfunc_end61-_Z6kernelI14subtract_rightLj256ELj3ELb0EJPiS1_jEEvDpT3_
                                        ; -- End function
	.set _Z6kernelI14subtract_rightLj256ELj3ELb0EJPiS1_jEEvDpT3_.num_vgpr, 8
	.set _Z6kernelI14subtract_rightLj256ELj3ELb0EJPiS1_jEEvDpT3_.num_agpr, 0
	.set _Z6kernelI14subtract_rightLj256ELj3ELb0EJPiS1_jEEvDpT3_.numbered_sgpr, 9
	.set _Z6kernelI14subtract_rightLj256ELj3ELb0EJPiS1_jEEvDpT3_.num_named_barrier, 0
	.set _Z6kernelI14subtract_rightLj256ELj3ELb0EJPiS1_jEEvDpT3_.private_seg_size, 0
	.set _Z6kernelI14subtract_rightLj256ELj3ELb0EJPiS1_jEEvDpT3_.uses_vcc, 1
	.set _Z6kernelI14subtract_rightLj256ELj3ELb0EJPiS1_jEEvDpT3_.uses_flat_scratch, 0
	.set _Z6kernelI14subtract_rightLj256ELj3ELb0EJPiS1_jEEvDpT3_.has_dyn_sized_stack, 0
	.set _Z6kernelI14subtract_rightLj256ELj3ELb0EJPiS1_jEEvDpT3_.has_recursion, 0
	.set _Z6kernelI14subtract_rightLj256ELj3ELb0EJPiS1_jEEvDpT3_.has_indirect_call, 0
	.section	.AMDGPU.csdata,"",@progbits
; Kernel info:
; codeLenInByte = 312
; TotalNumSgprs: 11
; NumVgprs: 8
; ScratchSize: 0
; MemoryBound: 0
; FloatMode: 240
; IeeeMode: 1
; LDSByteSize: 2048 bytes/workgroup (compile time only)
; SGPRBlocks: 0
; VGPRBlocks: 0
; NumSGPRsForWavesPerEU: 11
; NumVGPRsForWavesPerEU: 8
; NamedBarCnt: 0
; Occupancy: 16
; WaveLimiterHint : 1
; COMPUTE_PGM_RSRC2:SCRATCH_EN: 0
; COMPUTE_PGM_RSRC2:USER_SGPR: 2
; COMPUTE_PGM_RSRC2:TRAP_HANDLER: 0
; COMPUTE_PGM_RSRC2:TGID_X_EN: 1
; COMPUTE_PGM_RSRC2:TGID_Y_EN: 0
; COMPUTE_PGM_RSRC2:TGID_Z_EN: 0
; COMPUTE_PGM_RSRC2:TIDIG_COMP_CNT: 0
	.section	.text._Z6kernelI14subtract_rightLj256ELj4ELb0EJPiS1_jEEvDpT3_,"axG",@progbits,_Z6kernelI14subtract_rightLj256ELj4ELb0EJPiS1_jEEvDpT3_,comdat
	.protected	_Z6kernelI14subtract_rightLj256ELj4ELb0EJPiS1_jEEvDpT3_ ; -- Begin function _Z6kernelI14subtract_rightLj256ELj4ELb0EJPiS1_jEEvDpT3_
	.globl	_Z6kernelI14subtract_rightLj256ELj4ELb0EJPiS1_jEEvDpT3_
	.p2align	8
	.type	_Z6kernelI14subtract_rightLj256ELj4ELb0EJPiS1_jEEvDpT3_,@function
_Z6kernelI14subtract_rightLj256ELj4ELb0EJPiS1_jEEvDpT3_: ; @_Z6kernelI14subtract_rightLj256ELj4ELb0EJPiS1_jEEvDpT3_
; %bb.0:
	s_load_b128 s[4:7], s[0:1], 0x0
	s_bfe_u32 s2, ttmp6, 0x4000c
	s_and_b32 s3, ttmp6, 15
	s_add_co_i32 s2, s2, 1
	s_getreg_b32 s8, hwreg(HW_REG_IB_STS2, 6, 4)
	s_mul_i32 s2, ttmp9, s2
	s_wait_xcnt 0x0
	s_load_b32 s0, s[0:1], 0x10
	s_add_co_i32 s3, s3, s2
	s_cmp_eq_u32 s8, 0
	s_cselect_b32 s2, ttmp9, s3
	s_mov_b32 s3, 0
	s_lshl_b32 s2, s2, 10
	s_delay_alu instid0(SALU_CYCLE_1)
	s_lshl_b64 s[2:3], s[2:3], 2
	s_wait_kmcnt 0x0
	s_add_nc_u64 s[4:5], s[4:5], s[2:3]
	s_clause 0x3
	global_load_b32 v4, v0, s[4:5] scale_offset
	global_load_b32 v3, v0, s[4:5] offset:1024 scale_offset
	global_load_b32 v2, v0, s[4:5] offset:2048 scale_offset
	global_load_b32 v1, v0, s[4:5] offset:3072 scale_offset
	s_cmp_eq_u32 s0, 0
	s_cbranch_scc1 .LBB62_5
; %bb.1:
	v_lshlrev_b32_e32 v5, 2, v0
	v_cmp_ne_u32_e32 vcc_lo, 0xff, v0
	s_branch .LBB62_3
.LBB62_2:                               ;   in Loop: Header=BB62_3 Depth=1
	s_or_b32 exec_lo, exec_lo, s1
	v_dual_sub_nc_u32 v7, v4, v3 :: v_dual_sub_nc_u32 v8, v3, v2
	v_sub_nc_u32_e32 v9, v2, v1
	v_add_nc_u32_e32 v1, v6, v1
	s_add_co_i32 s0, s0, -1
	s_delay_alu instid0(VALU_DEP_3) | instskip(NEXT) | instid1(VALU_DEP_3)
	v_dual_add_nc_u32 v4, v7, v4 :: v_dual_add_nc_u32 v3, v8, v3
	v_add_nc_u32_e32 v2, v9, v2
	s_cmp_lg_u32 s0, 0
	s_barrier_signal -1
	s_barrier_wait -1
	s_cbranch_scc0 .LBB62_5
.LBB62_3:                               ; =>This Inner Loop Header: Depth=1
	s_wait_loadcnt 0x0
	v_mov_b32_e32 v6, v1
	ds_store_b32 v5, v4 offset:1024
	s_wait_dscnt 0x0
	s_barrier_signal -1
	s_barrier_wait -1
	s_and_saveexec_b32 s1, vcc_lo
	s_cbranch_execz .LBB62_2
; %bb.4:                                ;   in Loop: Header=BB62_3 Depth=1
	ds_load_b32 v6, v5 offset:1028
	s_wait_dscnt 0x0
	v_sub_nc_u32_e32 v6, v1, v6
	s_branch .LBB62_2
.LBB62_5:
	s_add_nc_u64 s[0:1], s[6:7], s[2:3]
	s_wait_loadcnt 0x3
	global_store_b32 v0, v4, s[0:1] scale_offset
	s_wait_loadcnt 0x2
	global_store_b32 v0, v3, s[0:1] offset:1024 scale_offset
	s_wait_loadcnt 0x1
	global_store_b32 v0, v2, s[0:1] offset:2048 scale_offset
	s_wait_loadcnt 0x0
	global_store_b32 v0, v1, s[0:1] offset:3072 scale_offset
	s_endpgm
	.section	.rodata,"a",@progbits
	.p2align	6, 0x0
	.amdhsa_kernel _Z6kernelI14subtract_rightLj256ELj4ELb0EJPiS1_jEEvDpT3_
		.amdhsa_group_segment_fixed_size 2048
		.amdhsa_private_segment_fixed_size 0
		.amdhsa_kernarg_size 20
		.amdhsa_user_sgpr_count 2
		.amdhsa_user_sgpr_dispatch_ptr 0
		.amdhsa_user_sgpr_queue_ptr 0
		.amdhsa_user_sgpr_kernarg_segment_ptr 1
		.amdhsa_user_sgpr_dispatch_id 0
		.amdhsa_user_sgpr_kernarg_preload_length 0
		.amdhsa_user_sgpr_kernarg_preload_offset 0
		.amdhsa_user_sgpr_private_segment_size 0
		.amdhsa_wavefront_size32 1
		.amdhsa_uses_dynamic_stack 0
		.amdhsa_enable_private_segment 0
		.amdhsa_system_sgpr_workgroup_id_x 1
		.amdhsa_system_sgpr_workgroup_id_y 0
		.amdhsa_system_sgpr_workgroup_id_z 0
		.amdhsa_system_sgpr_workgroup_info 0
		.amdhsa_system_vgpr_workitem_id 0
		.amdhsa_next_free_vgpr 10
		.amdhsa_next_free_sgpr 9
		.amdhsa_named_barrier_count 0
		.amdhsa_reserve_vcc 1
		.amdhsa_float_round_mode_32 0
		.amdhsa_float_round_mode_16_64 0
		.amdhsa_float_denorm_mode_32 3
		.amdhsa_float_denorm_mode_16_64 3
		.amdhsa_fp16_overflow 0
		.amdhsa_memory_ordered 1
		.amdhsa_forward_progress 1
		.amdhsa_inst_pref_size 3
		.amdhsa_round_robin_scheduling 0
		.amdhsa_exception_fp_ieee_invalid_op 0
		.amdhsa_exception_fp_denorm_src 0
		.amdhsa_exception_fp_ieee_div_zero 0
		.amdhsa_exception_fp_ieee_overflow 0
		.amdhsa_exception_fp_ieee_underflow 0
		.amdhsa_exception_fp_ieee_inexact 0
		.amdhsa_exception_int_div_zero 0
	.end_amdhsa_kernel
	.section	.text._Z6kernelI14subtract_rightLj256ELj4ELb0EJPiS1_jEEvDpT3_,"axG",@progbits,_Z6kernelI14subtract_rightLj256ELj4ELb0EJPiS1_jEEvDpT3_,comdat
.Lfunc_end62:
	.size	_Z6kernelI14subtract_rightLj256ELj4ELb0EJPiS1_jEEvDpT3_, .Lfunc_end62-_Z6kernelI14subtract_rightLj256ELj4ELb0EJPiS1_jEEvDpT3_
                                        ; -- End function
	.set _Z6kernelI14subtract_rightLj256ELj4ELb0EJPiS1_jEEvDpT3_.num_vgpr, 10
	.set _Z6kernelI14subtract_rightLj256ELj4ELb0EJPiS1_jEEvDpT3_.num_agpr, 0
	.set _Z6kernelI14subtract_rightLj256ELj4ELb0EJPiS1_jEEvDpT3_.numbered_sgpr, 9
	.set _Z6kernelI14subtract_rightLj256ELj4ELb0EJPiS1_jEEvDpT3_.num_named_barrier, 0
	.set _Z6kernelI14subtract_rightLj256ELj4ELb0EJPiS1_jEEvDpT3_.private_seg_size, 0
	.set _Z6kernelI14subtract_rightLj256ELj4ELb0EJPiS1_jEEvDpT3_.uses_vcc, 1
	.set _Z6kernelI14subtract_rightLj256ELj4ELb0EJPiS1_jEEvDpT3_.uses_flat_scratch, 0
	.set _Z6kernelI14subtract_rightLj256ELj4ELb0EJPiS1_jEEvDpT3_.has_dyn_sized_stack, 0
	.set _Z6kernelI14subtract_rightLj256ELj4ELb0EJPiS1_jEEvDpT3_.has_recursion, 0
	.set _Z6kernelI14subtract_rightLj256ELj4ELb0EJPiS1_jEEvDpT3_.has_indirect_call, 0
	.section	.AMDGPU.csdata,"",@progbits
; Kernel info:
; codeLenInByte = 348
; TotalNumSgprs: 11
; NumVgprs: 10
; ScratchSize: 0
; MemoryBound: 0
; FloatMode: 240
; IeeeMode: 1
; LDSByteSize: 2048 bytes/workgroup (compile time only)
; SGPRBlocks: 0
; VGPRBlocks: 0
; NumSGPRsForWavesPerEU: 11
; NumVGPRsForWavesPerEU: 10
; NamedBarCnt: 0
; Occupancy: 16
; WaveLimiterHint : 1
; COMPUTE_PGM_RSRC2:SCRATCH_EN: 0
; COMPUTE_PGM_RSRC2:USER_SGPR: 2
; COMPUTE_PGM_RSRC2:TRAP_HANDLER: 0
; COMPUTE_PGM_RSRC2:TGID_X_EN: 1
; COMPUTE_PGM_RSRC2:TGID_Y_EN: 0
; COMPUTE_PGM_RSRC2:TGID_Z_EN: 0
; COMPUTE_PGM_RSRC2:TIDIG_COMP_CNT: 0
	.section	.text._Z6kernelI14subtract_rightLj256ELj8ELb0EJPiS1_jEEvDpT3_,"axG",@progbits,_Z6kernelI14subtract_rightLj256ELj8ELb0EJPiS1_jEEvDpT3_,comdat
	.protected	_Z6kernelI14subtract_rightLj256ELj8ELb0EJPiS1_jEEvDpT3_ ; -- Begin function _Z6kernelI14subtract_rightLj256ELj8ELb0EJPiS1_jEEvDpT3_
	.globl	_Z6kernelI14subtract_rightLj256ELj8ELb0EJPiS1_jEEvDpT3_
	.p2align	8
	.type	_Z6kernelI14subtract_rightLj256ELj8ELb0EJPiS1_jEEvDpT3_,@function
_Z6kernelI14subtract_rightLj256ELj8ELb0EJPiS1_jEEvDpT3_: ; @_Z6kernelI14subtract_rightLj256ELj8ELb0EJPiS1_jEEvDpT3_
; %bb.0:
	s_load_b128 s[4:7], s[0:1], 0x0
	s_bfe_u32 s2, ttmp6, 0x4000c
	s_and_b32 s3, ttmp6, 15
	s_add_co_i32 s2, s2, 1
	s_getreg_b32 s8, hwreg(HW_REG_IB_STS2, 6, 4)
	s_mul_i32 s2, ttmp9, s2
	s_wait_xcnt 0x0
	s_load_b32 s0, s[0:1], 0x10
	s_add_co_i32 s3, s3, s2
	s_cmp_eq_u32 s8, 0
	s_cselect_b32 s2, ttmp9, s3
	s_mov_b32 s3, 0
	s_lshl_b32 s2, s2, 11
	s_delay_alu instid0(SALU_CYCLE_1)
	s_lshl_b64 s[2:3], s[2:3], 2
	s_wait_kmcnt 0x0
	s_add_nc_u64 s[4:5], s[4:5], s[2:3]
	s_clause 0x7
	global_load_b32 v8, v0, s[4:5] scale_offset
	global_load_b32 v6, v0, s[4:5] offset:1024 scale_offset
	global_load_b32 v7, v0, s[4:5] offset:2048 scale_offset
	;; [unrolled: 1-line block ×7, first 2 shown]
	s_cmp_eq_u32 s0, 0
	s_cbranch_scc1 .LBB63_5
; %bb.1:
	v_lshlrev_b32_e32 v9, 2, v0
	v_cmp_ne_u32_e32 vcc_lo, 0xff, v0
	s_branch .LBB63_3
.LBB63_2:                               ;   in Loop: Header=BB63_3 Depth=1
	s_or_b32 exec_lo, exec_lo, s1
	v_dual_lshlrev_b32 v8, 1, v8 :: v_dual_lshlrev_b32 v11, 1, v6
	v_dual_lshlrev_b32 v12, 1, v7 :: v_dual_lshlrev_b32 v13, 1, v5
	v_lshlrev_b32_e32 v15, 1, v2
	s_delay_alu instid0(VALU_DEP_3) | instskip(SKIP_1) | instid1(VALU_DEP_4)
	v_dual_sub_nc_u32 v8, v8, v6 :: v_dual_sub_nc_u32 v6, v11, v7
	v_dual_lshlrev_b32 v11, 1, v4 :: v_dual_lshlrev_b32 v14, 1, v3
	v_dual_sub_nc_u32 v7, v12, v5 :: v_dual_sub_nc_u32 v5, v13, v4
	s_add_co_i32 s0, s0, -1
	s_delay_alu instid0(VALU_DEP_2)
	v_dual_sub_nc_u32 v4, v11, v3 :: v_dual_sub_nc_u32 v3, v14, v2
	v_dual_sub_nc_u32 v2, v15, v1 :: v_dual_add_nc_u32 v1, v10, v1
	s_cmp_lg_u32 s0, 0
	s_barrier_signal -1
	s_barrier_wait -1
	s_cbranch_scc0 .LBB63_5
.LBB63_3:                               ; =>This Inner Loop Header: Depth=1
	s_wait_loadcnt 0x0
	v_mov_b32_e32 v10, v1
	ds_store_b32 v9, v8 offset:1024
	s_wait_dscnt 0x0
	s_barrier_signal -1
	s_barrier_wait -1
	s_and_saveexec_b32 s1, vcc_lo
	s_cbranch_execz .LBB63_2
; %bb.4:                                ;   in Loop: Header=BB63_3 Depth=1
	ds_load_b32 v10, v9 offset:1028
	s_wait_dscnt 0x0
	v_sub_nc_u32_e32 v10, v1, v10
	s_branch .LBB63_2
.LBB63_5:
	s_add_nc_u64 s[0:1], s[6:7], s[2:3]
	s_wait_loadcnt 0x7
	global_store_b32 v0, v8, s[0:1] scale_offset
	s_wait_loadcnt 0x6
	global_store_b32 v0, v6, s[0:1] offset:1024 scale_offset
	s_wait_loadcnt 0x5
	global_store_b32 v0, v7, s[0:1] offset:2048 scale_offset
	;; [unrolled: 2-line block ×7, first 2 shown]
	s_endpgm
	.section	.rodata,"a",@progbits
	.p2align	6, 0x0
	.amdhsa_kernel _Z6kernelI14subtract_rightLj256ELj8ELb0EJPiS1_jEEvDpT3_
		.amdhsa_group_segment_fixed_size 2048
		.amdhsa_private_segment_fixed_size 0
		.amdhsa_kernarg_size 20
		.amdhsa_user_sgpr_count 2
		.amdhsa_user_sgpr_dispatch_ptr 0
		.amdhsa_user_sgpr_queue_ptr 0
		.amdhsa_user_sgpr_kernarg_segment_ptr 1
		.amdhsa_user_sgpr_dispatch_id 0
		.amdhsa_user_sgpr_kernarg_preload_length 0
		.amdhsa_user_sgpr_kernarg_preload_offset 0
		.amdhsa_user_sgpr_private_segment_size 0
		.amdhsa_wavefront_size32 1
		.amdhsa_uses_dynamic_stack 0
		.amdhsa_enable_private_segment 0
		.amdhsa_system_sgpr_workgroup_id_x 1
		.amdhsa_system_sgpr_workgroup_id_y 0
		.amdhsa_system_sgpr_workgroup_id_z 0
		.amdhsa_system_sgpr_workgroup_info 0
		.amdhsa_system_vgpr_workitem_id 0
		.amdhsa_next_free_vgpr 16
		.amdhsa_next_free_sgpr 9
		.amdhsa_named_barrier_count 0
		.amdhsa_reserve_vcc 1
		.amdhsa_float_round_mode_32 0
		.amdhsa_float_round_mode_16_64 0
		.amdhsa_float_denorm_mode_32 3
		.amdhsa_float_denorm_mode_16_64 3
		.amdhsa_fp16_overflow 0
		.amdhsa_memory_ordered 1
		.amdhsa_forward_progress 1
		.amdhsa_inst_pref_size 5
		.amdhsa_round_robin_scheduling 0
		.amdhsa_exception_fp_ieee_invalid_op 0
		.amdhsa_exception_fp_denorm_src 0
		.amdhsa_exception_fp_ieee_div_zero 0
		.amdhsa_exception_fp_ieee_overflow 0
		.amdhsa_exception_fp_ieee_underflow 0
		.amdhsa_exception_fp_ieee_inexact 0
		.amdhsa_exception_int_div_zero 0
	.end_amdhsa_kernel
	.section	.text._Z6kernelI14subtract_rightLj256ELj8ELb0EJPiS1_jEEvDpT3_,"axG",@progbits,_Z6kernelI14subtract_rightLj256ELj8ELb0EJPiS1_jEEvDpT3_,comdat
.Lfunc_end63:
	.size	_Z6kernelI14subtract_rightLj256ELj8ELb0EJPiS1_jEEvDpT3_, .Lfunc_end63-_Z6kernelI14subtract_rightLj256ELj8ELb0EJPiS1_jEEvDpT3_
                                        ; -- End function
	.set _Z6kernelI14subtract_rightLj256ELj8ELb0EJPiS1_jEEvDpT3_.num_vgpr, 16
	.set _Z6kernelI14subtract_rightLj256ELj8ELb0EJPiS1_jEEvDpT3_.num_agpr, 0
	.set _Z6kernelI14subtract_rightLj256ELj8ELb0EJPiS1_jEEvDpT3_.numbered_sgpr, 9
	.set _Z6kernelI14subtract_rightLj256ELj8ELb0EJPiS1_jEEvDpT3_.num_named_barrier, 0
	.set _Z6kernelI14subtract_rightLj256ELj8ELb0EJPiS1_jEEvDpT3_.private_seg_size, 0
	.set _Z6kernelI14subtract_rightLj256ELj8ELb0EJPiS1_jEEvDpT3_.uses_vcc, 1
	.set _Z6kernelI14subtract_rightLj256ELj8ELb0EJPiS1_jEEvDpT3_.uses_flat_scratch, 0
	.set _Z6kernelI14subtract_rightLj256ELj8ELb0EJPiS1_jEEvDpT3_.has_dyn_sized_stack, 0
	.set _Z6kernelI14subtract_rightLj256ELj8ELb0EJPiS1_jEEvDpT3_.has_recursion, 0
	.set _Z6kernelI14subtract_rightLj256ELj8ELb0EJPiS1_jEEvDpT3_.has_indirect_call, 0
	.section	.AMDGPU.csdata,"",@progbits
; Kernel info:
; codeLenInByte = 516
; TotalNumSgprs: 11
; NumVgprs: 16
; ScratchSize: 0
; MemoryBound: 0
; FloatMode: 240
; IeeeMode: 1
; LDSByteSize: 2048 bytes/workgroup (compile time only)
; SGPRBlocks: 0
; VGPRBlocks: 0
; NumSGPRsForWavesPerEU: 11
; NumVGPRsForWavesPerEU: 16
; NamedBarCnt: 0
; Occupancy: 16
; WaveLimiterHint : 1
; COMPUTE_PGM_RSRC2:SCRATCH_EN: 0
; COMPUTE_PGM_RSRC2:USER_SGPR: 2
; COMPUTE_PGM_RSRC2:TRAP_HANDLER: 0
; COMPUTE_PGM_RSRC2:TGID_X_EN: 1
; COMPUTE_PGM_RSRC2:TGID_Y_EN: 0
; COMPUTE_PGM_RSRC2:TGID_Z_EN: 0
; COMPUTE_PGM_RSRC2:TIDIG_COMP_CNT: 0
	.section	.text._Z6kernelI14subtract_rightLj256ELj16ELb0EJPiS1_jEEvDpT3_,"axG",@progbits,_Z6kernelI14subtract_rightLj256ELj16ELb0EJPiS1_jEEvDpT3_,comdat
	.protected	_Z6kernelI14subtract_rightLj256ELj16ELb0EJPiS1_jEEvDpT3_ ; -- Begin function _Z6kernelI14subtract_rightLj256ELj16ELb0EJPiS1_jEEvDpT3_
	.globl	_Z6kernelI14subtract_rightLj256ELj16ELb0EJPiS1_jEEvDpT3_
	.p2align	8
	.type	_Z6kernelI14subtract_rightLj256ELj16ELb0EJPiS1_jEEvDpT3_,@function
_Z6kernelI14subtract_rightLj256ELj16ELb0EJPiS1_jEEvDpT3_: ; @_Z6kernelI14subtract_rightLj256ELj16ELb0EJPiS1_jEEvDpT3_
; %bb.0:
	s_load_b128 s[4:7], s[0:1], 0x0
	s_bfe_u32 s2, ttmp6, 0x4000c
	s_and_b32 s3, ttmp6, 15
	s_add_co_i32 s2, s2, 1
	s_getreg_b32 s8, hwreg(HW_REG_IB_STS2, 6, 4)
	s_mul_i32 s2, ttmp9, s2
	s_wait_xcnt 0x0
	s_load_b32 s0, s[0:1], 0x10
	s_add_co_i32 s3, s3, s2
	s_cmp_eq_u32 s8, 0
	s_cselect_b32 s2, ttmp9, s3
	s_mov_b32 s3, 0
	s_lshl_b32 s2, s2, 12
	s_delay_alu instid0(SALU_CYCLE_1)
	s_lshl_b64 s[2:3], s[2:3], 2
	s_wait_kmcnt 0x0
	s_add_nc_u64 s[4:5], s[4:5], s[2:3]
	s_clause 0xf
	global_load_b32 v16, v0, s[4:5] scale_offset
	global_load_b32 v15, v0, s[4:5] offset:1024 scale_offset
	global_load_b32 v14, v0, s[4:5] offset:2048 scale_offset
	;; [unrolled: 1-line block ×15, first 2 shown]
	s_cmp_eq_u32 s0, 0
	s_cbranch_scc1 .LBB64_5
; %bb.1:
	v_lshlrev_b32_e32 v17, 2, v0
	v_cmp_ne_u32_e32 vcc_lo, 0xff, v0
	s_branch .LBB64_3
.LBB64_2:                               ;   in Loop: Header=BB64_3 Depth=1
	s_or_b32 exec_lo, exec_lo, s1
	v_dual_sub_nc_u32 v19, v16, v15 :: v_dual_sub_nc_u32 v20, v15, v14
	v_dual_sub_nc_u32 v21, v14, v13 :: v_dual_sub_nc_u32 v22, v13, v12
	;; [unrolled: 1-line block ×7, first 2 shown]
	v_dual_sub_nc_u32 v33, v2, v1 :: v_dual_add_nc_u32 v16, v19, v16
	v_dual_add_nc_u32 v15, v20, v15 :: v_dual_add_nc_u32 v14, v21, v14
	v_dual_add_nc_u32 v13, v22, v13 :: v_dual_add_nc_u32 v12, v23, v12
	;; [unrolled: 1-line block ×7, first 2 shown]
	v_add_nc_u32_e32 v1, v18, v1
	s_add_co_i32 s0, s0, -1
	s_delay_alu instid0(SALU_CYCLE_1)
	s_cmp_lg_u32 s0, 0
	s_barrier_signal -1
	s_barrier_wait -1
	s_cbranch_scc0 .LBB64_5
.LBB64_3:                               ; =>This Inner Loop Header: Depth=1
	s_wait_loadcnt 0x0
	v_mov_b32_e32 v18, v1
	ds_store_b32 v17, v16 offset:1024
	s_wait_dscnt 0x0
	s_barrier_signal -1
	s_barrier_wait -1
	s_and_saveexec_b32 s1, vcc_lo
	s_cbranch_execz .LBB64_2
; %bb.4:                                ;   in Loop: Header=BB64_3 Depth=1
	ds_load_b32 v18, v17 offset:1028
	s_wait_dscnt 0x0
	v_sub_nc_u32_e32 v18, v1, v18
	s_branch .LBB64_2
.LBB64_5:
	s_add_nc_u64 s[0:1], s[6:7], s[2:3]
	s_wait_loadcnt 0xf
	global_store_b32 v0, v16, s[0:1] scale_offset
	s_wait_loadcnt 0xe
	global_store_b32 v0, v15, s[0:1] offset:1024 scale_offset
	s_wait_loadcnt 0xd
	global_store_b32 v0, v14, s[0:1] offset:2048 scale_offset
	;; [unrolled: 2-line block ×15, first 2 shown]
	s_endpgm
	.section	.rodata,"a",@progbits
	.p2align	6, 0x0
	.amdhsa_kernel _Z6kernelI14subtract_rightLj256ELj16ELb0EJPiS1_jEEvDpT3_
		.amdhsa_group_segment_fixed_size 2048
		.amdhsa_private_segment_fixed_size 0
		.amdhsa_kernarg_size 20
		.amdhsa_user_sgpr_count 2
		.amdhsa_user_sgpr_dispatch_ptr 0
		.amdhsa_user_sgpr_queue_ptr 0
		.amdhsa_user_sgpr_kernarg_segment_ptr 1
		.amdhsa_user_sgpr_dispatch_id 0
		.amdhsa_user_sgpr_kernarg_preload_length 0
		.amdhsa_user_sgpr_kernarg_preload_offset 0
		.amdhsa_user_sgpr_private_segment_size 0
		.amdhsa_wavefront_size32 1
		.amdhsa_uses_dynamic_stack 0
		.amdhsa_enable_private_segment 0
		.amdhsa_system_sgpr_workgroup_id_x 1
		.amdhsa_system_sgpr_workgroup_id_y 0
		.amdhsa_system_sgpr_workgroup_id_z 0
		.amdhsa_system_sgpr_workgroup_info 0
		.amdhsa_system_vgpr_workitem_id 0
		.amdhsa_next_free_vgpr 34
		.amdhsa_next_free_sgpr 9
		.amdhsa_named_barrier_count 0
		.amdhsa_reserve_vcc 1
		.amdhsa_float_round_mode_32 0
		.amdhsa_float_round_mode_16_64 0
		.amdhsa_float_denorm_mode_32 3
		.amdhsa_float_denorm_mode_16_64 3
		.amdhsa_fp16_overflow 0
		.amdhsa_memory_ordered 1
		.amdhsa_forward_progress 1
		.amdhsa_inst_pref_size 7
		.amdhsa_round_robin_scheduling 0
		.amdhsa_exception_fp_ieee_invalid_op 0
		.amdhsa_exception_fp_denorm_src 0
		.amdhsa_exception_fp_ieee_div_zero 0
		.amdhsa_exception_fp_ieee_overflow 0
		.amdhsa_exception_fp_ieee_underflow 0
		.amdhsa_exception_fp_ieee_inexact 0
		.amdhsa_exception_int_div_zero 0
	.end_amdhsa_kernel
	.section	.text._Z6kernelI14subtract_rightLj256ELj16ELb0EJPiS1_jEEvDpT3_,"axG",@progbits,_Z6kernelI14subtract_rightLj256ELj16ELb0EJPiS1_jEEvDpT3_,comdat
.Lfunc_end64:
	.size	_Z6kernelI14subtract_rightLj256ELj16ELb0EJPiS1_jEEvDpT3_, .Lfunc_end64-_Z6kernelI14subtract_rightLj256ELj16ELb0EJPiS1_jEEvDpT3_
                                        ; -- End function
	.set _Z6kernelI14subtract_rightLj256ELj16ELb0EJPiS1_jEEvDpT3_.num_vgpr, 34
	.set _Z6kernelI14subtract_rightLj256ELj16ELb0EJPiS1_jEEvDpT3_.num_agpr, 0
	.set _Z6kernelI14subtract_rightLj256ELj16ELb0EJPiS1_jEEvDpT3_.numbered_sgpr, 9
	.set _Z6kernelI14subtract_rightLj256ELj16ELb0EJPiS1_jEEvDpT3_.num_named_barrier, 0
	.set _Z6kernelI14subtract_rightLj256ELj16ELb0EJPiS1_jEEvDpT3_.private_seg_size, 0
	.set _Z6kernelI14subtract_rightLj256ELj16ELb0EJPiS1_jEEvDpT3_.uses_vcc, 1
	.set _Z6kernelI14subtract_rightLj256ELj16ELb0EJPiS1_jEEvDpT3_.uses_flat_scratch, 0
	.set _Z6kernelI14subtract_rightLj256ELj16ELb0EJPiS1_jEEvDpT3_.has_dyn_sized_stack, 0
	.set _Z6kernelI14subtract_rightLj256ELj16ELb0EJPiS1_jEEvDpT3_.has_recursion, 0
	.set _Z6kernelI14subtract_rightLj256ELj16ELb0EJPiS1_jEEvDpT3_.has_indirect_call, 0
	.section	.AMDGPU.csdata,"",@progbits
; Kernel info:
; codeLenInByte = 832
; TotalNumSgprs: 11
; NumVgprs: 34
; ScratchSize: 0
; MemoryBound: 0
; FloatMode: 240
; IeeeMode: 1
; LDSByteSize: 2048 bytes/workgroup (compile time only)
; SGPRBlocks: 0
; VGPRBlocks: 2
; NumSGPRsForWavesPerEU: 11
; NumVGPRsForWavesPerEU: 34
; NamedBarCnt: 0
; Occupancy: 16
; WaveLimiterHint : 1
; COMPUTE_PGM_RSRC2:SCRATCH_EN: 0
; COMPUTE_PGM_RSRC2:USER_SGPR: 2
; COMPUTE_PGM_RSRC2:TRAP_HANDLER: 0
; COMPUTE_PGM_RSRC2:TGID_X_EN: 1
; COMPUTE_PGM_RSRC2:TGID_Y_EN: 0
; COMPUTE_PGM_RSRC2:TGID_Z_EN: 0
; COMPUTE_PGM_RSRC2:TIDIG_COMP_CNT: 0
	.section	.text._Z6kernelI14subtract_rightLj256ELj32ELb0EJPiS1_jEEvDpT3_,"axG",@progbits,_Z6kernelI14subtract_rightLj256ELj32ELb0EJPiS1_jEEvDpT3_,comdat
	.protected	_Z6kernelI14subtract_rightLj256ELj32ELb0EJPiS1_jEEvDpT3_ ; -- Begin function _Z6kernelI14subtract_rightLj256ELj32ELb0EJPiS1_jEEvDpT3_
	.globl	_Z6kernelI14subtract_rightLj256ELj32ELb0EJPiS1_jEEvDpT3_
	.p2align	8
	.type	_Z6kernelI14subtract_rightLj256ELj32ELb0EJPiS1_jEEvDpT3_,@function
_Z6kernelI14subtract_rightLj256ELj32ELb0EJPiS1_jEEvDpT3_: ; @_Z6kernelI14subtract_rightLj256ELj32ELb0EJPiS1_jEEvDpT3_
; %bb.0:
	s_load_b128 s[4:7], s[0:1], 0x0
	s_bfe_u32 s2, ttmp6, 0x4000c
	s_and_b32 s3, ttmp6, 15
	s_add_co_i32 s2, s2, 1
	s_getreg_b32 s8, hwreg(HW_REG_IB_STS2, 6, 4)
	s_mul_i32 s2, ttmp9, s2
	s_wait_xcnt 0x0
	s_load_b32 s0, s[0:1], 0x10
	s_add_co_i32 s3, s3, s2
	s_cmp_eq_u32 s8, 0
	s_cselect_b32 s2, ttmp9, s3
	s_mov_b32 s3, 0
	s_lshl_b32 s2, s2, 13
	s_delay_alu instid0(SALU_CYCLE_1)
	s_lshl_b64 s[2:3], s[2:3], 2
	s_wait_kmcnt 0x0
	s_add_nc_u64 s[4:5], s[4:5], s[2:3]
	s_clause 0x1f
	global_load_b32 v32, v0, s[4:5] scale_offset
	global_load_b32 v31, v0, s[4:5] offset:1024 scale_offset
	global_load_b32 v30, v0, s[4:5] offset:2048 scale_offset
	;; [unrolled: 1-line block ×31, first 2 shown]
	s_cmp_eq_u32 s0, 0
	s_cbranch_scc1 .LBB65_5
; %bb.1:
	v_lshlrev_b32_e32 v33, 2, v0
	v_cmp_ne_u32_e32 vcc_lo, 0xff, v0
	s_branch .LBB65_3
.LBB65_2:                               ;   in Loop: Header=BB65_3 Depth=1
	s_or_b32 exec_lo, exec_lo, s1
	v_dual_sub_nc_u32 v35, v32, v31 :: v_dual_sub_nc_u32 v36, v31, v30
	v_dual_sub_nc_u32 v37, v30, v29 :: v_dual_sub_nc_u32 v38, v29, v28
	;; [unrolled: 1-line block ×13, first 2 shown]
	v_dual_sub_nc_u32 v61, v6, v5 :: v_dual_add_nc_u32 v32, v35, v32
	v_dual_sub_nc_u32 v35, v5, v4 :: v_dual_add_nc_u32 v31, v36, v31
	;; [unrolled: 1-line block ×5, first 2 shown]
	v_dual_add_nc_u32 v27, v40, v27 :: v_dual_add_nc_u32 v26, v41, v26
	v_dual_add_nc_u32 v25, v42, v25 :: v_dual_add_nc_u32 v24, v43, v24
	;; [unrolled: 1-line block ×13, first 2 shown]
	v_add_nc_u32_e32 v1, v34, v1
	s_add_co_i32 s0, s0, -1
	s_delay_alu instid0(SALU_CYCLE_1)
	s_cmp_lg_u32 s0, 0
	s_barrier_signal -1
	s_barrier_wait -1
	s_cbranch_scc0 .LBB65_5
.LBB65_3:                               ; =>This Inner Loop Header: Depth=1
	s_wait_loadcnt 0x0
	v_mov_b32_e32 v34, v1
	ds_store_b32 v33, v32 offset:1024
	s_wait_dscnt 0x0
	s_barrier_signal -1
	s_barrier_wait -1
	s_and_saveexec_b32 s1, vcc_lo
	s_cbranch_execz .LBB65_2
; %bb.4:                                ;   in Loop: Header=BB65_3 Depth=1
	ds_load_b32 v34, v33 offset:1028
	s_wait_dscnt 0x0
	v_sub_nc_u32_e32 v34, v1, v34
	s_branch .LBB65_2
.LBB65_5:
	s_add_nc_u64 s[0:1], s[6:7], s[2:3]
	s_wait_loadcnt 0x1f
	global_store_b32 v0, v32, s[0:1] scale_offset
	s_wait_loadcnt 0x1e
	global_store_b32 v0, v31, s[0:1] offset:1024 scale_offset
	s_wait_loadcnt 0x1d
	global_store_b32 v0, v30, s[0:1] offset:2048 scale_offset
	;; [unrolled: 2-line block ×31, first 2 shown]
	s_endpgm
	.section	.rodata,"a",@progbits
	.p2align	6, 0x0
	.amdhsa_kernel _Z6kernelI14subtract_rightLj256ELj32ELb0EJPiS1_jEEvDpT3_
		.amdhsa_group_segment_fixed_size 2048
		.amdhsa_private_segment_fixed_size 0
		.amdhsa_kernarg_size 20
		.amdhsa_user_sgpr_count 2
		.amdhsa_user_sgpr_dispatch_ptr 0
		.amdhsa_user_sgpr_queue_ptr 0
		.amdhsa_user_sgpr_kernarg_segment_ptr 1
		.amdhsa_user_sgpr_dispatch_id 0
		.amdhsa_user_sgpr_kernarg_preload_length 0
		.amdhsa_user_sgpr_kernarg_preload_offset 0
		.amdhsa_user_sgpr_private_segment_size 0
		.amdhsa_wavefront_size32 1
		.amdhsa_uses_dynamic_stack 0
		.amdhsa_enable_private_segment 0
		.amdhsa_system_sgpr_workgroup_id_x 1
		.amdhsa_system_sgpr_workgroup_id_y 0
		.amdhsa_system_sgpr_workgroup_id_z 0
		.amdhsa_system_sgpr_workgroup_info 0
		.amdhsa_system_vgpr_workitem_id 0
		.amdhsa_next_free_vgpr 62
		.amdhsa_next_free_sgpr 9
		.amdhsa_named_barrier_count 0
		.amdhsa_reserve_vcc 1
		.amdhsa_float_round_mode_32 0
		.amdhsa_float_round_mode_16_64 0
		.amdhsa_float_denorm_mode_32 3
		.amdhsa_float_denorm_mode_16_64 3
		.amdhsa_fp16_overflow 0
		.amdhsa_memory_ordered 1
		.amdhsa_forward_progress 1
		.amdhsa_inst_pref_size 12
		.amdhsa_round_robin_scheduling 0
		.amdhsa_exception_fp_ieee_invalid_op 0
		.amdhsa_exception_fp_denorm_src 0
		.amdhsa_exception_fp_ieee_div_zero 0
		.amdhsa_exception_fp_ieee_overflow 0
		.amdhsa_exception_fp_ieee_underflow 0
		.amdhsa_exception_fp_ieee_inexact 0
		.amdhsa_exception_int_div_zero 0
	.end_amdhsa_kernel
	.section	.text._Z6kernelI14subtract_rightLj256ELj32ELb0EJPiS1_jEEvDpT3_,"axG",@progbits,_Z6kernelI14subtract_rightLj256ELj32ELb0EJPiS1_jEEvDpT3_,comdat
.Lfunc_end65:
	.size	_Z6kernelI14subtract_rightLj256ELj32ELb0EJPiS1_jEEvDpT3_, .Lfunc_end65-_Z6kernelI14subtract_rightLj256ELj32ELb0EJPiS1_jEEvDpT3_
                                        ; -- End function
	.set _Z6kernelI14subtract_rightLj256ELj32ELb0EJPiS1_jEEvDpT3_.num_vgpr, 62
	.set _Z6kernelI14subtract_rightLj256ELj32ELb0EJPiS1_jEEvDpT3_.num_agpr, 0
	.set _Z6kernelI14subtract_rightLj256ELj32ELb0EJPiS1_jEEvDpT3_.numbered_sgpr, 9
	.set _Z6kernelI14subtract_rightLj256ELj32ELb0EJPiS1_jEEvDpT3_.num_named_barrier, 0
	.set _Z6kernelI14subtract_rightLj256ELj32ELb0EJPiS1_jEEvDpT3_.private_seg_size, 0
	.set _Z6kernelI14subtract_rightLj256ELj32ELb0EJPiS1_jEEvDpT3_.uses_vcc, 1
	.set _Z6kernelI14subtract_rightLj256ELj32ELb0EJPiS1_jEEvDpT3_.uses_flat_scratch, 0
	.set _Z6kernelI14subtract_rightLj256ELj32ELb0EJPiS1_jEEvDpT3_.has_dyn_sized_stack, 0
	.set _Z6kernelI14subtract_rightLj256ELj32ELb0EJPiS1_jEEvDpT3_.has_recursion, 0
	.set _Z6kernelI14subtract_rightLj256ELj32ELb0EJPiS1_jEEvDpT3_.has_indirect_call, 0
	.section	.AMDGPU.csdata,"",@progbits
; Kernel info:
; codeLenInByte = 1472
; TotalNumSgprs: 11
; NumVgprs: 62
; ScratchSize: 0
; MemoryBound: 0
; FloatMode: 240
; IeeeMode: 1
; LDSByteSize: 2048 bytes/workgroup (compile time only)
; SGPRBlocks: 0
; VGPRBlocks: 3
; NumSGPRsForWavesPerEU: 11
; NumVGPRsForWavesPerEU: 62
; NamedBarCnt: 0
; Occupancy: 16
; WaveLimiterHint : 1
; COMPUTE_PGM_RSRC2:SCRATCH_EN: 0
; COMPUTE_PGM_RSRC2:USER_SGPR: 2
; COMPUTE_PGM_RSRC2:TRAP_HANDLER: 0
; COMPUTE_PGM_RSRC2:TGID_X_EN: 1
; COMPUTE_PGM_RSRC2:TGID_Y_EN: 0
; COMPUTE_PGM_RSRC2:TGID_Z_EN: 0
; COMPUTE_PGM_RSRC2:TIDIG_COMP_CNT: 0
	.section	.text._Z6kernelI14subtract_rightLj256ELj1ELb0EJPfS1_jEEvDpT3_,"axG",@progbits,_Z6kernelI14subtract_rightLj256ELj1ELb0EJPfS1_jEEvDpT3_,comdat
	.protected	_Z6kernelI14subtract_rightLj256ELj1ELb0EJPfS1_jEEvDpT3_ ; -- Begin function _Z6kernelI14subtract_rightLj256ELj1ELb0EJPfS1_jEEvDpT3_
	.globl	_Z6kernelI14subtract_rightLj256ELj1ELb0EJPfS1_jEEvDpT3_
	.p2align	8
	.type	_Z6kernelI14subtract_rightLj256ELj1ELb0EJPfS1_jEEvDpT3_,@function
_Z6kernelI14subtract_rightLj256ELj1ELb0EJPfS1_jEEvDpT3_: ; @_Z6kernelI14subtract_rightLj256ELj1ELb0EJPfS1_jEEvDpT3_
; %bb.0:
	s_load_b128 s[4:7], s[0:1], 0x0
	s_bfe_u32 s2, ttmp6, 0x4000c
	s_and_b32 s3, ttmp6, 15
	s_add_co_i32 s2, s2, 1
	s_getreg_b32 s8, hwreg(HW_REG_IB_STS2, 6, 4)
	s_mul_i32 s2, ttmp9, s2
	s_wait_xcnt 0x0
	s_load_b32 s0, s[0:1], 0x10
	s_add_co_i32 s3, s3, s2
	s_cmp_eq_u32 s8, 0
	s_cselect_b32 s2, ttmp9, s3
	s_mov_b32 s3, 0
	s_lshl_b32 s2, s2, 8
	s_delay_alu instid0(SALU_CYCLE_1)
	s_lshl_b64 s[2:3], s[2:3], 2
	s_wait_kmcnt 0x0
	s_add_nc_u64 s[4:5], s[4:5], s[2:3]
	global_load_b32 v1, v0, s[4:5] scale_offset
	s_cmp_eq_u32 s0, 0
	s_cbranch_scc1 .LBB66_5
; %bb.1:
	v_lshlrev_b32_e32 v2, 2, v0
	v_cmp_ne_u32_e32 vcc_lo, 0xff, v0
	s_branch .LBB66_3
.LBB66_2:                               ;   in Loop: Header=BB66_3 Depth=1
	s_or_b32 exec_lo, exec_lo, s1
	s_delay_alu instid0(VALU_DEP_1) | instskip(SKIP_1) | instid1(SALU_CYCLE_1)
	v_add_f32_e32 v1, v1, v3
	s_add_co_i32 s0, s0, -1
	s_cmp_lg_u32 s0, 0
	s_barrier_signal -1
	s_barrier_wait -1
	s_cbranch_scc0 .LBB66_5
.LBB66_3:                               ; =>This Inner Loop Header: Depth=1
	s_wait_loadcnt 0x0
	v_mov_b32_e32 v3, v1
	ds_store_b32 v2, v1 offset:1024
	s_wait_dscnt 0x0
	s_barrier_signal -1
	s_barrier_wait -1
	s_and_saveexec_b32 s1, vcc_lo
	s_cbranch_execz .LBB66_2
; %bb.4:                                ;   in Loop: Header=BB66_3 Depth=1
	ds_load_b32 v3, v2 offset:1028
	s_wait_dscnt 0x0
	v_sub_f32_e32 v3, v1, v3
	s_branch .LBB66_2
.LBB66_5:
	s_add_nc_u64 s[0:1], s[6:7], s[2:3]
	s_wait_loadcnt 0x0
	global_store_b32 v0, v1, s[0:1] scale_offset
	s_endpgm
	.section	.rodata,"a",@progbits
	.p2align	6, 0x0
	.amdhsa_kernel _Z6kernelI14subtract_rightLj256ELj1ELb0EJPfS1_jEEvDpT3_
		.amdhsa_group_segment_fixed_size 2048
		.amdhsa_private_segment_fixed_size 0
		.amdhsa_kernarg_size 20
		.amdhsa_user_sgpr_count 2
		.amdhsa_user_sgpr_dispatch_ptr 0
		.amdhsa_user_sgpr_queue_ptr 0
		.amdhsa_user_sgpr_kernarg_segment_ptr 1
		.amdhsa_user_sgpr_dispatch_id 0
		.amdhsa_user_sgpr_kernarg_preload_length 0
		.amdhsa_user_sgpr_kernarg_preload_offset 0
		.amdhsa_user_sgpr_private_segment_size 0
		.amdhsa_wavefront_size32 1
		.amdhsa_uses_dynamic_stack 0
		.amdhsa_enable_private_segment 0
		.amdhsa_system_sgpr_workgroup_id_x 1
		.amdhsa_system_sgpr_workgroup_id_y 0
		.amdhsa_system_sgpr_workgroup_id_z 0
		.amdhsa_system_sgpr_workgroup_info 0
		.amdhsa_system_vgpr_workitem_id 0
		.amdhsa_next_free_vgpr 4
		.amdhsa_next_free_sgpr 9
		.amdhsa_named_barrier_count 0
		.amdhsa_reserve_vcc 1
		.amdhsa_float_round_mode_32 0
		.amdhsa_float_round_mode_16_64 0
		.amdhsa_float_denorm_mode_32 3
		.amdhsa_float_denorm_mode_16_64 3
		.amdhsa_fp16_overflow 0
		.amdhsa_memory_ordered 1
		.amdhsa_forward_progress 1
		.amdhsa_inst_pref_size 2
		.amdhsa_round_robin_scheduling 0
		.amdhsa_exception_fp_ieee_invalid_op 0
		.amdhsa_exception_fp_denorm_src 0
		.amdhsa_exception_fp_ieee_div_zero 0
		.amdhsa_exception_fp_ieee_overflow 0
		.amdhsa_exception_fp_ieee_underflow 0
		.amdhsa_exception_fp_ieee_inexact 0
		.amdhsa_exception_int_div_zero 0
	.end_amdhsa_kernel
	.section	.text._Z6kernelI14subtract_rightLj256ELj1ELb0EJPfS1_jEEvDpT3_,"axG",@progbits,_Z6kernelI14subtract_rightLj256ELj1ELb0EJPfS1_jEEvDpT3_,comdat
.Lfunc_end66:
	.size	_Z6kernelI14subtract_rightLj256ELj1ELb0EJPfS1_jEEvDpT3_, .Lfunc_end66-_Z6kernelI14subtract_rightLj256ELj1ELb0EJPfS1_jEEvDpT3_
                                        ; -- End function
	.set _Z6kernelI14subtract_rightLj256ELj1ELb0EJPfS1_jEEvDpT3_.num_vgpr, 4
	.set _Z6kernelI14subtract_rightLj256ELj1ELb0EJPfS1_jEEvDpT3_.num_agpr, 0
	.set _Z6kernelI14subtract_rightLj256ELj1ELb0EJPfS1_jEEvDpT3_.numbered_sgpr, 9
	.set _Z6kernelI14subtract_rightLj256ELj1ELb0EJPfS1_jEEvDpT3_.num_named_barrier, 0
	.set _Z6kernelI14subtract_rightLj256ELj1ELb0EJPfS1_jEEvDpT3_.private_seg_size, 0
	.set _Z6kernelI14subtract_rightLj256ELj1ELb0EJPfS1_jEEvDpT3_.uses_vcc, 1
	.set _Z6kernelI14subtract_rightLj256ELj1ELb0EJPfS1_jEEvDpT3_.uses_flat_scratch, 0
	.set _Z6kernelI14subtract_rightLj256ELj1ELb0EJPfS1_jEEvDpT3_.has_dyn_sized_stack, 0
	.set _Z6kernelI14subtract_rightLj256ELj1ELb0EJPfS1_jEEvDpT3_.has_recursion, 0
	.set _Z6kernelI14subtract_rightLj256ELj1ELb0EJPfS1_jEEvDpT3_.has_indirect_call, 0
	.section	.AMDGPU.csdata,"",@progbits
; Kernel info:
; codeLenInByte = 228
; TotalNumSgprs: 11
; NumVgprs: 4
; ScratchSize: 0
; MemoryBound: 0
; FloatMode: 240
; IeeeMode: 1
; LDSByteSize: 2048 bytes/workgroup (compile time only)
; SGPRBlocks: 0
; VGPRBlocks: 0
; NumSGPRsForWavesPerEU: 11
; NumVGPRsForWavesPerEU: 4
; NamedBarCnt: 0
; Occupancy: 16
; WaveLimiterHint : 0
; COMPUTE_PGM_RSRC2:SCRATCH_EN: 0
; COMPUTE_PGM_RSRC2:USER_SGPR: 2
; COMPUTE_PGM_RSRC2:TRAP_HANDLER: 0
; COMPUTE_PGM_RSRC2:TGID_X_EN: 1
; COMPUTE_PGM_RSRC2:TGID_Y_EN: 0
; COMPUTE_PGM_RSRC2:TGID_Z_EN: 0
; COMPUTE_PGM_RSRC2:TIDIG_COMP_CNT: 0
	.section	.text._Z6kernelI14subtract_rightLj256ELj3ELb0EJPfS1_jEEvDpT3_,"axG",@progbits,_Z6kernelI14subtract_rightLj256ELj3ELb0EJPfS1_jEEvDpT3_,comdat
	.protected	_Z6kernelI14subtract_rightLj256ELj3ELb0EJPfS1_jEEvDpT3_ ; -- Begin function _Z6kernelI14subtract_rightLj256ELj3ELb0EJPfS1_jEEvDpT3_
	.globl	_Z6kernelI14subtract_rightLj256ELj3ELb0EJPfS1_jEEvDpT3_
	.p2align	8
	.type	_Z6kernelI14subtract_rightLj256ELj3ELb0EJPfS1_jEEvDpT3_,@function
_Z6kernelI14subtract_rightLj256ELj3ELb0EJPfS1_jEEvDpT3_: ; @_Z6kernelI14subtract_rightLj256ELj3ELb0EJPfS1_jEEvDpT3_
; %bb.0:
	s_load_b128 s[4:7], s[0:1], 0x0
	s_bfe_u32 s2, ttmp6, 0x4000c
	s_and_b32 s3, ttmp6, 15
	s_add_co_i32 s2, s2, 1
	s_getreg_b32 s8, hwreg(HW_REG_IB_STS2, 6, 4)
	s_mul_i32 s2, ttmp9, s2
	s_wait_xcnt 0x0
	s_load_b32 s0, s[0:1], 0x10
	s_add_co_i32 s3, s3, s2
	s_cmp_eq_u32 s8, 0
	s_cselect_b32 s2, ttmp9, s3
	s_mov_b32 s3, 0
	s_mulk_i32 s2, 0x300
	s_delay_alu instid0(SALU_CYCLE_1)
	s_lshl_b64 s[2:3], s[2:3], 2
	s_wait_kmcnt 0x0
	s_add_nc_u64 s[4:5], s[4:5], s[2:3]
	s_clause 0x2
	global_load_b32 v2, v0, s[4:5] scale_offset
	global_load_b32 v3, v0, s[4:5] offset:1024 scale_offset
	global_load_b32 v5, v0, s[4:5] offset:2048 scale_offset
	s_cmp_eq_u32 s0, 0
	s_cbranch_scc1 .LBB67_5
; %bb.1:
	v_lshlrev_b32_e32 v1, 2, v0
	v_cmp_ne_u32_e32 vcc_lo, 0xff, v0
	s_branch .LBB67_3
.LBB67_2:                               ;   in Loop: Header=BB67_3 Depth=1
	s_or_b32 exec_lo, exec_lo, s1
	v_dual_add_f32 v2, v2, v6 :: v_dual_add_f32 v3, v3, v7
	s_delay_alu instid0(VALU_DEP_2) | instskip(SKIP_1) | instid1(SALU_CYCLE_1)
	v_add_f32_e32 v5, v5, v4
	s_add_co_i32 s0, s0, -1
	s_cmp_lg_u32 s0, 0
	s_barrier_signal -1
	s_barrier_wait -1
	s_cbranch_scc0 .LBB67_5
.LBB67_3:                               ; =>This Inner Loop Header: Depth=1
	s_wait_loadcnt 0x1
	v_mov_b32_e32 v4, v3
	ds_store_b32 v1, v2 offset:1024
	s_wait_loadcnt_dscnt 0x0
	s_barrier_signal -1
	s_barrier_wait -1
	v_pk_add_f32 v[6:7], v[2:3], v[4:5] neg_lo:[0,1] neg_hi:[0,1]
	v_mov_b32_e32 v4, v5
	s_and_saveexec_b32 s1, vcc_lo
	s_cbranch_execz .LBB67_2
; %bb.4:                                ;   in Loop: Header=BB67_3 Depth=1
	ds_load_b32 v4, v1 offset:1028
	s_wait_dscnt 0x0
	v_sub_f32_e32 v4, v5, v4
	s_branch .LBB67_2
.LBB67_5:
	s_add_nc_u64 s[0:1], s[6:7], s[2:3]
	s_wait_loadcnt 0x2
	global_store_b32 v0, v2, s[0:1] scale_offset
	s_wait_loadcnt 0x1
	global_store_b32 v0, v3, s[0:1] offset:1024 scale_offset
	s_wait_loadcnt 0x0
	global_store_b32 v0, v5, s[0:1] offset:2048 scale_offset
	s_endpgm
	.section	.rodata,"a",@progbits
	.p2align	6, 0x0
	.amdhsa_kernel _Z6kernelI14subtract_rightLj256ELj3ELb0EJPfS1_jEEvDpT3_
		.amdhsa_group_segment_fixed_size 2048
		.amdhsa_private_segment_fixed_size 0
		.amdhsa_kernarg_size 20
		.amdhsa_user_sgpr_count 2
		.amdhsa_user_sgpr_dispatch_ptr 0
		.amdhsa_user_sgpr_queue_ptr 0
		.amdhsa_user_sgpr_kernarg_segment_ptr 1
		.amdhsa_user_sgpr_dispatch_id 0
		.amdhsa_user_sgpr_kernarg_preload_length 0
		.amdhsa_user_sgpr_kernarg_preload_offset 0
		.amdhsa_user_sgpr_private_segment_size 0
		.amdhsa_wavefront_size32 1
		.amdhsa_uses_dynamic_stack 0
		.amdhsa_enable_private_segment 0
		.amdhsa_system_sgpr_workgroup_id_x 1
		.amdhsa_system_sgpr_workgroup_id_y 0
		.amdhsa_system_sgpr_workgroup_id_z 0
		.amdhsa_system_sgpr_workgroup_info 0
		.amdhsa_system_vgpr_workitem_id 0
		.amdhsa_next_free_vgpr 8
		.amdhsa_next_free_sgpr 9
		.amdhsa_named_barrier_count 0
		.amdhsa_reserve_vcc 1
		.amdhsa_float_round_mode_32 0
		.amdhsa_float_round_mode_16_64 0
		.amdhsa_float_denorm_mode_32 3
		.amdhsa_float_denorm_mode_16_64 3
		.amdhsa_fp16_overflow 0
		.amdhsa_memory_ordered 1
		.amdhsa_forward_progress 1
		.amdhsa_inst_pref_size 3
		.amdhsa_round_robin_scheduling 0
		.amdhsa_exception_fp_ieee_invalid_op 0
		.amdhsa_exception_fp_denorm_src 0
		.amdhsa_exception_fp_ieee_div_zero 0
		.amdhsa_exception_fp_ieee_overflow 0
		.amdhsa_exception_fp_ieee_underflow 0
		.amdhsa_exception_fp_ieee_inexact 0
		.amdhsa_exception_int_div_zero 0
	.end_amdhsa_kernel
	.section	.text._Z6kernelI14subtract_rightLj256ELj3ELb0EJPfS1_jEEvDpT3_,"axG",@progbits,_Z6kernelI14subtract_rightLj256ELj3ELb0EJPfS1_jEEvDpT3_,comdat
.Lfunc_end67:
	.size	_Z6kernelI14subtract_rightLj256ELj3ELb0EJPfS1_jEEvDpT3_, .Lfunc_end67-_Z6kernelI14subtract_rightLj256ELj3ELb0EJPfS1_jEEvDpT3_
                                        ; -- End function
	.set _Z6kernelI14subtract_rightLj256ELj3ELb0EJPfS1_jEEvDpT3_.num_vgpr, 8
	.set _Z6kernelI14subtract_rightLj256ELj3ELb0EJPfS1_jEEvDpT3_.num_agpr, 0
	.set _Z6kernelI14subtract_rightLj256ELj3ELb0EJPfS1_jEEvDpT3_.numbered_sgpr, 9
	.set _Z6kernelI14subtract_rightLj256ELj3ELb0EJPfS1_jEEvDpT3_.num_named_barrier, 0
	.set _Z6kernelI14subtract_rightLj256ELj3ELb0EJPfS1_jEEvDpT3_.private_seg_size, 0
	.set _Z6kernelI14subtract_rightLj256ELj3ELb0EJPfS1_jEEvDpT3_.uses_vcc, 1
	.set _Z6kernelI14subtract_rightLj256ELj3ELb0EJPfS1_jEEvDpT3_.uses_flat_scratch, 0
	.set _Z6kernelI14subtract_rightLj256ELj3ELb0EJPfS1_jEEvDpT3_.has_dyn_sized_stack, 0
	.set _Z6kernelI14subtract_rightLj256ELj3ELb0EJPfS1_jEEvDpT3_.has_recursion, 0
	.set _Z6kernelI14subtract_rightLj256ELj3ELb0EJPfS1_jEEvDpT3_.has_indirect_call, 0
	.section	.AMDGPU.csdata,"",@progbits
; Kernel info:
; codeLenInByte = 308
; TotalNumSgprs: 11
; NumVgprs: 8
; ScratchSize: 0
; MemoryBound: 0
; FloatMode: 240
; IeeeMode: 1
; LDSByteSize: 2048 bytes/workgroup (compile time only)
; SGPRBlocks: 0
; VGPRBlocks: 0
; NumSGPRsForWavesPerEU: 11
; NumVGPRsForWavesPerEU: 8
; NamedBarCnt: 0
; Occupancy: 16
; WaveLimiterHint : 1
; COMPUTE_PGM_RSRC2:SCRATCH_EN: 0
; COMPUTE_PGM_RSRC2:USER_SGPR: 2
; COMPUTE_PGM_RSRC2:TRAP_HANDLER: 0
; COMPUTE_PGM_RSRC2:TGID_X_EN: 1
; COMPUTE_PGM_RSRC2:TGID_Y_EN: 0
; COMPUTE_PGM_RSRC2:TGID_Z_EN: 0
; COMPUTE_PGM_RSRC2:TIDIG_COMP_CNT: 0
	.section	.text._Z6kernelI14subtract_rightLj256ELj4ELb0EJPfS1_jEEvDpT3_,"axG",@progbits,_Z6kernelI14subtract_rightLj256ELj4ELb0EJPfS1_jEEvDpT3_,comdat
	.protected	_Z6kernelI14subtract_rightLj256ELj4ELb0EJPfS1_jEEvDpT3_ ; -- Begin function _Z6kernelI14subtract_rightLj256ELj4ELb0EJPfS1_jEEvDpT3_
	.globl	_Z6kernelI14subtract_rightLj256ELj4ELb0EJPfS1_jEEvDpT3_
	.p2align	8
	.type	_Z6kernelI14subtract_rightLj256ELj4ELb0EJPfS1_jEEvDpT3_,@function
_Z6kernelI14subtract_rightLj256ELj4ELb0EJPfS1_jEEvDpT3_: ; @_Z6kernelI14subtract_rightLj256ELj4ELb0EJPfS1_jEEvDpT3_
; %bb.0:
	s_load_b128 s[4:7], s[0:1], 0x0
	s_bfe_u32 s2, ttmp6, 0x4000c
	s_and_b32 s3, ttmp6, 15
	s_add_co_i32 s2, s2, 1
	s_getreg_b32 s8, hwreg(HW_REG_IB_STS2, 6, 4)
	s_mul_i32 s2, ttmp9, s2
	s_wait_xcnt 0x0
	s_load_b32 s0, s[0:1], 0x10
	s_add_co_i32 s3, s3, s2
	s_cmp_eq_u32 s8, 0
	s_cselect_b32 s2, ttmp9, s3
	s_mov_b32 s3, 0
	s_lshl_b32 s2, s2, 10
	s_delay_alu instid0(SALU_CYCLE_1)
	s_lshl_b64 s[2:3], s[2:3], 2
	s_wait_kmcnt 0x0
	s_add_nc_u64 s[4:5], s[4:5], s[2:3]
	s_clause 0x3
	global_load_b32 v2, v0, s[4:5] scale_offset
	global_load_b32 v3, v0, s[4:5] offset:1024 scale_offset
	global_load_b32 v7, v0, s[4:5] offset:2048 scale_offset
	;; [unrolled: 1-line block ×3, first 2 shown]
	s_cmp_eq_u32 s0, 0
	s_cbranch_scc1 .LBB68_5
; %bb.1:
	v_lshlrev_b32_e32 v1, 2, v0
	v_cmp_ne_u32_e32 vcc_lo, 0xff, v0
	s_branch .LBB68_3
.LBB68_2:                               ;   in Loop: Header=BB68_3 Depth=1
	s_or_b32 exec_lo, exec_lo, s1
	v_mov_b32_e32 v4, v7
	v_pk_add_f32 v[2:3], v[2:3], v[8:9]
	s_add_co_i32 s0, s0, -1
	s_delay_alu instid0(SALU_CYCLE_1) | instskip(NEXT) | instid1(VALU_DEP_2)
	s_cmp_lg_u32 s0, 0
	v_pk_add_f32 v[4:5], v[4:5], v[10:11]
	s_barrier_signal -1
	s_barrier_wait -1
	s_delay_alu instid0(VALU_DEP_1)
	v_mov_b32_e32 v7, v4
	s_cbranch_scc0 .LBB68_5
.LBB68_3:                               ; =>This Inner Loop Header: Depth=1
	s_wait_loadcnt 0x0
	v_dual_mov_b32 v6, v3 :: v_dual_mov_b32 v11, v5
	s_delay_alu instid0(VALU_DEP_2)
	v_sub_f32_e32 v10, v7, v5
	ds_store_b32 v1, v2 offset:1024
	s_wait_dscnt 0x0
	v_pk_add_f32 v[8:9], v[2:3], v[6:7] neg_lo:[0,1] neg_hi:[0,1]
	s_barrier_signal -1
	s_barrier_wait -1
	s_and_saveexec_b32 s1, vcc_lo
	s_cbranch_execz .LBB68_2
; %bb.4:                                ;   in Loop: Header=BB68_3 Depth=1
	ds_load_b32 v4, v1 offset:1028
	s_wait_dscnt 0x0
	v_sub_f32_e32 v11, v5, v4
	s_branch .LBB68_2
.LBB68_5:
	s_add_nc_u64 s[0:1], s[6:7], s[2:3]
	s_wait_loadcnt 0x3
	global_store_b32 v0, v2, s[0:1] scale_offset
	s_wait_loadcnt 0x2
	global_store_b32 v0, v3, s[0:1] offset:1024 scale_offset
	s_wait_loadcnt 0x1
	global_store_b32 v0, v7, s[0:1] offset:2048 scale_offset
	s_wait_loadcnt 0x0
	global_store_b32 v0, v5, s[0:1] offset:3072 scale_offset
	s_endpgm
	.section	.rodata,"a",@progbits
	.p2align	6, 0x0
	.amdhsa_kernel _Z6kernelI14subtract_rightLj256ELj4ELb0EJPfS1_jEEvDpT3_
		.amdhsa_group_segment_fixed_size 2048
		.amdhsa_private_segment_fixed_size 0
		.amdhsa_kernarg_size 20
		.amdhsa_user_sgpr_count 2
		.amdhsa_user_sgpr_dispatch_ptr 0
		.amdhsa_user_sgpr_queue_ptr 0
		.amdhsa_user_sgpr_kernarg_segment_ptr 1
		.amdhsa_user_sgpr_dispatch_id 0
		.amdhsa_user_sgpr_kernarg_preload_length 0
		.amdhsa_user_sgpr_kernarg_preload_offset 0
		.amdhsa_user_sgpr_private_segment_size 0
		.amdhsa_wavefront_size32 1
		.amdhsa_uses_dynamic_stack 0
		.amdhsa_enable_private_segment 0
		.amdhsa_system_sgpr_workgroup_id_x 1
		.amdhsa_system_sgpr_workgroup_id_y 0
		.amdhsa_system_sgpr_workgroup_id_z 0
		.amdhsa_system_sgpr_workgroup_info 0
		.amdhsa_system_vgpr_workitem_id 0
		.amdhsa_next_free_vgpr 12
		.amdhsa_next_free_sgpr 9
		.amdhsa_named_barrier_count 0
		.amdhsa_reserve_vcc 1
		.amdhsa_float_round_mode_32 0
		.amdhsa_float_round_mode_16_64 0
		.amdhsa_float_denorm_mode_32 3
		.amdhsa_float_denorm_mode_16_64 3
		.amdhsa_fp16_overflow 0
		.amdhsa_memory_ordered 1
		.amdhsa_forward_progress 1
		.amdhsa_inst_pref_size 3
		.amdhsa_round_robin_scheduling 0
		.amdhsa_exception_fp_ieee_invalid_op 0
		.amdhsa_exception_fp_denorm_src 0
		.amdhsa_exception_fp_ieee_div_zero 0
		.amdhsa_exception_fp_ieee_overflow 0
		.amdhsa_exception_fp_ieee_underflow 0
		.amdhsa_exception_fp_ieee_inexact 0
		.amdhsa_exception_int_div_zero 0
	.end_amdhsa_kernel
	.section	.text._Z6kernelI14subtract_rightLj256ELj4ELb0EJPfS1_jEEvDpT3_,"axG",@progbits,_Z6kernelI14subtract_rightLj256ELj4ELb0EJPfS1_jEEvDpT3_,comdat
.Lfunc_end68:
	.size	_Z6kernelI14subtract_rightLj256ELj4ELb0EJPfS1_jEEvDpT3_, .Lfunc_end68-_Z6kernelI14subtract_rightLj256ELj4ELb0EJPfS1_jEEvDpT3_
                                        ; -- End function
	.set _Z6kernelI14subtract_rightLj256ELj4ELb0EJPfS1_jEEvDpT3_.num_vgpr, 12
	.set _Z6kernelI14subtract_rightLj256ELj4ELb0EJPfS1_jEEvDpT3_.num_agpr, 0
	.set _Z6kernelI14subtract_rightLj256ELj4ELb0EJPfS1_jEEvDpT3_.numbered_sgpr, 9
	.set _Z6kernelI14subtract_rightLj256ELj4ELb0EJPfS1_jEEvDpT3_.num_named_barrier, 0
	.set _Z6kernelI14subtract_rightLj256ELj4ELb0EJPfS1_jEEvDpT3_.private_seg_size, 0
	.set _Z6kernelI14subtract_rightLj256ELj4ELb0EJPfS1_jEEvDpT3_.uses_vcc, 1
	.set _Z6kernelI14subtract_rightLj256ELj4ELb0EJPfS1_jEEvDpT3_.uses_flat_scratch, 0
	.set _Z6kernelI14subtract_rightLj256ELj4ELb0EJPfS1_jEEvDpT3_.has_dyn_sized_stack, 0
	.set _Z6kernelI14subtract_rightLj256ELj4ELb0EJPfS1_jEEvDpT3_.has_recursion, 0
	.set _Z6kernelI14subtract_rightLj256ELj4ELb0EJPfS1_jEEvDpT3_.has_indirect_call, 0
	.section	.AMDGPU.csdata,"",@progbits
; Kernel info:
; codeLenInByte = 360
; TotalNumSgprs: 11
; NumVgprs: 12
; ScratchSize: 0
; MemoryBound: 0
; FloatMode: 240
; IeeeMode: 1
; LDSByteSize: 2048 bytes/workgroup (compile time only)
; SGPRBlocks: 0
; VGPRBlocks: 0
; NumSGPRsForWavesPerEU: 11
; NumVGPRsForWavesPerEU: 12
; NamedBarCnt: 0
; Occupancy: 16
; WaveLimiterHint : 1
; COMPUTE_PGM_RSRC2:SCRATCH_EN: 0
; COMPUTE_PGM_RSRC2:USER_SGPR: 2
; COMPUTE_PGM_RSRC2:TRAP_HANDLER: 0
; COMPUTE_PGM_RSRC2:TGID_X_EN: 1
; COMPUTE_PGM_RSRC2:TGID_Y_EN: 0
; COMPUTE_PGM_RSRC2:TGID_Z_EN: 0
; COMPUTE_PGM_RSRC2:TIDIG_COMP_CNT: 0
	.section	.text._Z6kernelI14subtract_rightLj256ELj8ELb0EJPfS1_jEEvDpT3_,"axG",@progbits,_Z6kernelI14subtract_rightLj256ELj8ELb0EJPfS1_jEEvDpT3_,comdat
	.protected	_Z6kernelI14subtract_rightLj256ELj8ELb0EJPfS1_jEEvDpT3_ ; -- Begin function _Z6kernelI14subtract_rightLj256ELj8ELb0EJPfS1_jEEvDpT3_
	.globl	_Z6kernelI14subtract_rightLj256ELj8ELb0EJPfS1_jEEvDpT3_
	.p2align	8
	.type	_Z6kernelI14subtract_rightLj256ELj8ELb0EJPfS1_jEEvDpT3_,@function
_Z6kernelI14subtract_rightLj256ELj8ELb0EJPfS1_jEEvDpT3_: ; @_Z6kernelI14subtract_rightLj256ELj8ELb0EJPfS1_jEEvDpT3_
; %bb.0:
	s_load_b128 s[4:7], s[0:1], 0x0
	s_bfe_u32 s2, ttmp6, 0x4000c
	s_and_b32 s3, ttmp6, 15
	s_add_co_i32 s2, s2, 1
	s_getreg_b32 s8, hwreg(HW_REG_IB_STS2, 6, 4)
	s_mul_i32 s2, ttmp9, s2
	s_wait_xcnt 0x0
	s_load_b32 s0, s[0:1], 0x10
	s_add_co_i32 s3, s3, s2
	s_cmp_eq_u32 s8, 0
	s_cselect_b32 s2, ttmp9, s3
	s_mov_b32 s3, 0
	s_lshl_b32 s2, s2, 11
	s_delay_alu instid0(SALU_CYCLE_1)
	s_lshl_b64 s[2:3], s[2:3], 2
	s_wait_kmcnt 0x0
	s_add_nc_u64 s[4:5], s[4:5], s[2:3]
	s_clause 0x7
	global_load_b32 v2, v0, s[4:5] scale_offset
	global_load_b32 v3, v0, s[4:5] offset:1024 scale_offset
	global_load_b32 v11, v0, s[4:5] offset:2048 scale_offset
	;; [unrolled: 1-line block ×7, first 2 shown]
	s_cmp_eq_u32 s0, 0
	s_cbranch_scc1 .LBB69_5
; %bb.1:
	v_lshlrev_b32_e32 v1, 2, v0
	v_cmp_ne_u32_e32 vcc_lo, 0xff, v0
	s_branch .LBB69_3
.LBB69_2:                               ;   in Loop: Header=BB69_3 Depth=1
	s_or_b32 exec_lo, exec_lo, s1
	v_dual_mov_b32 v8, v11 :: v_dual_mov_b32 v14, v9
	v_dual_mov_b32 v6, v15 :: v_dual_mov_b32 v12, v7
	v_dual_mov_b32 v10, v3 :: v_dual_sub_f32 v16, v13, v5
	s_delay_alu instid0(VALU_DEP_3) | instskip(SKIP_1) | instid1(VALU_DEP_3)
	v_pk_add_f32 v[14:15], v[8:9], v[14:15] neg_lo:[0,1] neg_hi:[0,1]
	s_add_co_i32 s0, s0, -1
	v_pk_add_f32 v[18:19], v[6:7], v[12:13] neg_lo:[0,1] neg_hi:[0,1]
	s_delay_alu instid0(VALU_DEP_3)
	v_pk_add_f32 v[10:11], v[2:3], v[10:11] neg_lo:[0,1] neg_hi:[0,1]
	s_cmp_lg_u32 s0, 0
	v_pk_add_f32 v[8:9], v[8:9], v[14:15]
	v_mov_b32_e32 v4, v13
	v_pk_add_f32 v[6:7], v[6:7], v[18:19]
	v_pk_add_f32 v[2:3], v[2:3], v[10:11]
	s_delay_alu instid0(VALU_DEP_4) | instskip(NEXT) | instid1(VALU_DEP_4)
	v_mov_b32_e32 v11, v8
	v_pk_add_f32 v[4:5], v[4:5], v[16:17]
	s_delay_alu instid0(VALU_DEP_4) | instskip(SKIP_2) | instid1(VALU_DEP_2)
	v_mov_b32_e32 v15, v6
	s_barrier_signal -1
	s_barrier_wait -1
	v_mov_b32_e32 v13, v4
	s_cbranch_scc0 .LBB69_5
.LBB69_3:                               ; =>This Inner Loop Header: Depth=1
	s_wait_loadcnt 0x0
	v_mov_b32_e32 v17, v5
	ds_store_b32 v1, v2 offset:1024
	s_wait_dscnt 0x0
	s_barrier_signal -1
	s_barrier_wait -1
	s_and_saveexec_b32 s1, vcc_lo
	s_cbranch_execz .LBB69_2
; %bb.4:                                ;   in Loop: Header=BB69_3 Depth=1
	ds_load_b32 v4, v1 offset:1028
	s_wait_dscnt 0x0
	v_sub_f32_e32 v17, v5, v4
	s_branch .LBB69_2
.LBB69_5:
	s_add_nc_u64 s[0:1], s[6:7], s[2:3]
	s_wait_loadcnt 0x7
	global_store_b32 v0, v2, s[0:1] scale_offset
	s_wait_loadcnt 0x6
	global_store_b32 v0, v3, s[0:1] offset:1024 scale_offset
	s_wait_loadcnt 0x5
	global_store_b32 v0, v11, s[0:1] offset:2048 scale_offset
	;; [unrolled: 2-line block ×7, first 2 shown]
	s_endpgm
	.section	.rodata,"a",@progbits
	.p2align	6, 0x0
	.amdhsa_kernel _Z6kernelI14subtract_rightLj256ELj8ELb0EJPfS1_jEEvDpT3_
		.amdhsa_group_segment_fixed_size 2048
		.amdhsa_private_segment_fixed_size 0
		.amdhsa_kernarg_size 20
		.amdhsa_user_sgpr_count 2
		.amdhsa_user_sgpr_dispatch_ptr 0
		.amdhsa_user_sgpr_queue_ptr 0
		.amdhsa_user_sgpr_kernarg_segment_ptr 1
		.amdhsa_user_sgpr_dispatch_id 0
		.amdhsa_user_sgpr_kernarg_preload_length 0
		.amdhsa_user_sgpr_kernarg_preload_offset 0
		.amdhsa_user_sgpr_private_segment_size 0
		.amdhsa_wavefront_size32 1
		.amdhsa_uses_dynamic_stack 0
		.amdhsa_enable_private_segment 0
		.amdhsa_system_sgpr_workgroup_id_x 1
		.amdhsa_system_sgpr_workgroup_id_y 0
		.amdhsa_system_sgpr_workgroup_id_z 0
		.amdhsa_system_sgpr_workgroup_info 0
		.amdhsa_system_vgpr_workitem_id 0
		.amdhsa_next_free_vgpr 20
		.amdhsa_next_free_sgpr 9
		.amdhsa_named_barrier_count 0
		.amdhsa_reserve_vcc 1
		.amdhsa_float_round_mode_32 0
		.amdhsa_float_round_mode_16_64 0
		.amdhsa_float_denorm_mode_32 3
		.amdhsa_float_denorm_mode_16_64 3
		.amdhsa_fp16_overflow 0
		.amdhsa_memory_ordered 1
		.amdhsa_forward_progress 1
		.amdhsa_inst_pref_size 5
		.amdhsa_round_robin_scheduling 0
		.amdhsa_exception_fp_ieee_invalid_op 0
		.amdhsa_exception_fp_denorm_src 0
		.amdhsa_exception_fp_ieee_div_zero 0
		.amdhsa_exception_fp_ieee_overflow 0
		.amdhsa_exception_fp_ieee_underflow 0
		.amdhsa_exception_fp_ieee_inexact 0
		.amdhsa_exception_int_div_zero 0
	.end_amdhsa_kernel
	.section	.text._Z6kernelI14subtract_rightLj256ELj8ELb0EJPfS1_jEEvDpT3_,"axG",@progbits,_Z6kernelI14subtract_rightLj256ELj8ELb0EJPfS1_jEEvDpT3_,comdat
.Lfunc_end69:
	.size	_Z6kernelI14subtract_rightLj256ELj8ELb0EJPfS1_jEEvDpT3_, .Lfunc_end69-_Z6kernelI14subtract_rightLj256ELj8ELb0EJPfS1_jEEvDpT3_
                                        ; -- End function
	.set _Z6kernelI14subtract_rightLj256ELj8ELb0EJPfS1_jEEvDpT3_.num_vgpr, 20
	.set _Z6kernelI14subtract_rightLj256ELj8ELb0EJPfS1_jEEvDpT3_.num_agpr, 0
	.set _Z6kernelI14subtract_rightLj256ELj8ELb0EJPfS1_jEEvDpT3_.numbered_sgpr, 9
	.set _Z6kernelI14subtract_rightLj256ELj8ELb0EJPfS1_jEEvDpT3_.num_named_barrier, 0
	.set _Z6kernelI14subtract_rightLj256ELj8ELb0EJPfS1_jEEvDpT3_.private_seg_size, 0
	.set _Z6kernelI14subtract_rightLj256ELj8ELb0EJPfS1_jEEvDpT3_.uses_vcc, 1
	.set _Z6kernelI14subtract_rightLj256ELj8ELb0EJPfS1_jEEvDpT3_.uses_flat_scratch, 0
	.set _Z6kernelI14subtract_rightLj256ELj8ELb0EJPfS1_jEEvDpT3_.has_dyn_sized_stack, 0
	.set _Z6kernelI14subtract_rightLj256ELj8ELb0EJPfS1_jEEvDpT3_.has_recursion, 0
	.set _Z6kernelI14subtract_rightLj256ELj8ELb0EJPfS1_jEEvDpT3_.has_indirect_call, 0
	.section	.AMDGPU.csdata,"",@progbits
; Kernel info:
; codeLenInByte = 544
; TotalNumSgprs: 11
; NumVgprs: 20
; ScratchSize: 0
; MemoryBound: 0
; FloatMode: 240
; IeeeMode: 1
; LDSByteSize: 2048 bytes/workgroup (compile time only)
; SGPRBlocks: 0
; VGPRBlocks: 1
; NumSGPRsForWavesPerEU: 11
; NumVGPRsForWavesPerEU: 20
; NamedBarCnt: 0
; Occupancy: 16
; WaveLimiterHint : 1
; COMPUTE_PGM_RSRC2:SCRATCH_EN: 0
; COMPUTE_PGM_RSRC2:USER_SGPR: 2
; COMPUTE_PGM_RSRC2:TRAP_HANDLER: 0
; COMPUTE_PGM_RSRC2:TGID_X_EN: 1
; COMPUTE_PGM_RSRC2:TGID_Y_EN: 0
; COMPUTE_PGM_RSRC2:TGID_Z_EN: 0
; COMPUTE_PGM_RSRC2:TIDIG_COMP_CNT: 0
	.section	.text._Z6kernelI14subtract_rightLj256ELj16ELb0EJPfS1_jEEvDpT3_,"axG",@progbits,_Z6kernelI14subtract_rightLj256ELj16ELb0EJPfS1_jEEvDpT3_,comdat
	.protected	_Z6kernelI14subtract_rightLj256ELj16ELb0EJPfS1_jEEvDpT3_ ; -- Begin function _Z6kernelI14subtract_rightLj256ELj16ELb0EJPfS1_jEEvDpT3_
	.globl	_Z6kernelI14subtract_rightLj256ELj16ELb0EJPfS1_jEEvDpT3_
	.p2align	8
	.type	_Z6kernelI14subtract_rightLj256ELj16ELb0EJPfS1_jEEvDpT3_,@function
_Z6kernelI14subtract_rightLj256ELj16ELb0EJPfS1_jEEvDpT3_: ; @_Z6kernelI14subtract_rightLj256ELj16ELb0EJPfS1_jEEvDpT3_
; %bb.0:
	s_load_b128 s[4:7], s[0:1], 0x0
	s_bfe_u32 s2, ttmp6, 0x4000c
	s_and_b32 s3, ttmp6, 15
	s_add_co_i32 s2, s2, 1
	s_getreg_b32 s8, hwreg(HW_REG_IB_STS2, 6, 4)
	s_mul_i32 s2, ttmp9, s2
	s_wait_xcnt 0x0
	s_load_b32 s0, s[0:1], 0x10
	s_add_co_i32 s3, s3, s2
	s_cmp_eq_u32 s8, 0
	s_cselect_b32 s2, ttmp9, s3
	s_mov_b32 s3, 0
	s_lshl_b32 s2, s2, 12
	s_delay_alu instid0(SALU_CYCLE_1)
	s_lshl_b64 s[2:3], s[2:3], 2
	s_wait_kmcnt 0x0
	s_add_nc_u64 s[4:5], s[4:5], s[2:3]
	s_clause 0xf
	global_load_b32 v2, v0, s[4:5] scale_offset
	global_load_b32 v3, v0, s[4:5] offset:1024 scale_offset
	global_load_b32 v11, v0, s[4:5] offset:2048 scale_offset
	;; [unrolled: 1-line block ×15, first 2 shown]
	s_cmp_eq_u32 s0, 0
	s_cbranch_scc1 .LBB70_5
; %bb.1:
	s_wait_loadcnt 0xe
	v_dual_mov_b32 v10, v3 :: v_dual_lshlrev_b32 v1, 2, v0
	s_wait_loadcnt 0xc
	v_dual_mov_b32 v12, v11 :: v_dual_mov_b32 v14, v13
	s_wait_loadcnt 0x8
	v_dual_mov_b32 v16, v5 :: v_dual_mov_b32 v18, v17
	;; [unrolled: 2-line block ×4, first 2 shown]
	v_cmp_ne_u32_e32 vcc_lo, 0xff, v0
	s_branch .LBB70_3
.LBB70_2:                               ;   in Loop: Header=BB70_3 Depth=1
	s_or_b32 exec_lo, exec_lo, s1
	v_dual_mov_b32 v30, v15 :: v_dual_mov_b32 v31, v4
	v_dual_mov_b32 v38, v21 :: v_dual_mov_b32 v39, v6
	v_mov_b32_e32 v8, v27
	v_pk_add_f32 v[32:33], v[2:3], v[10:11] neg_lo:[0,1] neg_hi:[0,1]
	v_pk_add_f32 v[34:35], v[10:11], v[12:13] neg_lo:[0,1] neg_hi:[0,1]
	;; [unrolled: 1-line block ×12, first 2 shown]
	v_pk_add_f32 v[2:3], v[2:3], v[32:33]
	v_pk_add_f32 v[10:11], v[10:11], v[34:35]
	v_pk_add_f32 v[12:13], v[12:13], v[36:37]
	v_pk_add_f32 v[14:15], v[14:15], v[30:31]
	v_pk_add_f32 v[4:5], v[4:5], v[40:41]
	v_pk_add_f32 v[16:17], v[16:17], v[42:43]
	v_pk_add_f32 v[18:19], v[18:19], v[44:45]
	v_pk_add_f32 v[20:21], v[20:21], v[38:39]
	v_pk_add_f32 v[6:7], v[6:7], v[46:47]
	v_pk_add_f32 v[22:23], v[22:23], v[48:49]
	v_pk_add_f32 v[24:25], v[24:25], v[50:51]
	v_pk_add_f32 v[26:27], v[26:27], v[52:53]
	v_add_f32_e32 v9, v9, v28
	s_add_co_i32 s0, s0, -1
	s_delay_alu instid0(SALU_CYCLE_1)
	s_cmp_lg_u32 s0, 0
	s_barrier_signal -1
	s_barrier_wait -1
	s_cbranch_scc0 .LBB70_5
.LBB70_3:                               ; =>This Inner Loop Header: Depth=1
	s_wait_loadcnt 0x0
	v_mov_b32_e32 v28, v9
	ds_store_b32 v1, v2 offset:1024
	s_wait_dscnt 0x0
	s_barrier_signal -1
	s_barrier_wait -1
	s_and_saveexec_b32 s1, vcc_lo
	s_cbranch_execz .LBB70_2
; %bb.4:                                ;   in Loop: Header=BB70_3 Depth=1
	ds_load_b32 v8, v1 offset:1028
	s_wait_dscnt 0x0
	v_sub_f32_e32 v28, v9, v8
	s_branch .LBB70_2
.LBB70_5:
	s_add_nc_u64 s[0:1], s[6:7], s[2:3]
	s_wait_loadcnt 0xf
	global_store_b32 v0, v2, s[0:1] scale_offset
	s_wait_loadcnt 0xe
	global_store_b32 v0, v3, s[0:1] offset:1024 scale_offset
	s_wait_loadcnt 0xd
	global_store_b32 v0, v11, s[0:1] offset:2048 scale_offset
	;; [unrolled: 2-line block ×15, first 2 shown]
	s_endpgm
	.section	.rodata,"a",@progbits
	.p2align	6, 0x0
	.amdhsa_kernel _Z6kernelI14subtract_rightLj256ELj16ELb0EJPfS1_jEEvDpT3_
		.amdhsa_group_segment_fixed_size 2048
		.amdhsa_private_segment_fixed_size 0
		.amdhsa_kernarg_size 20
		.amdhsa_user_sgpr_count 2
		.amdhsa_user_sgpr_dispatch_ptr 0
		.amdhsa_user_sgpr_queue_ptr 0
		.amdhsa_user_sgpr_kernarg_segment_ptr 1
		.amdhsa_user_sgpr_dispatch_id 0
		.amdhsa_user_sgpr_kernarg_preload_length 0
		.amdhsa_user_sgpr_kernarg_preload_offset 0
		.amdhsa_user_sgpr_private_segment_size 0
		.amdhsa_wavefront_size32 1
		.amdhsa_uses_dynamic_stack 0
		.amdhsa_enable_private_segment 0
		.amdhsa_system_sgpr_workgroup_id_x 1
		.amdhsa_system_sgpr_workgroup_id_y 0
		.amdhsa_system_sgpr_workgroup_id_z 0
		.amdhsa_system_sgpr_workgroup_info 0
		.amdhsa_system_vgpr_workitem_id 0
		.amdhsa_next_free_vgpr 54
		.amdhsa_next_free_sgpr 9
		.amdhsa_named_barrier_count 0
		.amdhsa_reserve_vcc 1
		.amdhsa_float_round_mode_32 0
		.amdhsa_float_round_mode_16_64 0
		.amdhsa_float_denorm_mode_32 3
		.amdhsa_float_denorm_mode_16_64 3
		.amdhsa_fp16_overflow 0
		.amdhsa_memory_ordered 1
		.amdhsa_forward_progress 1
		.amdhsa_inst_pref_size 8
		.amdhsa_round_robin_scheduling 0
		.amdhsa_exception_fp_ieee_invalid_op 0
		.amdhsa_exception_fp_denorm_src 0
		.amdhsa_exception_fp_ieee_div_zero 0
		.amdhsa_exception_fp_ieee_overflow 0
		.amdhsa_exception_fp_ieee_underflow 0
		.amdhsa_exception_fp_ieee_inexact 0
		.amdhsa_exception_int_div_zero 0
	.end_amdhsa_kernel
	.section	.text._Z6kernelI14subtract_rightLj256ELj16ELb0EJPfS1_jEEvDpT3_,"axG",@progbits,_Z6kernelI14subtract_rightLj256ELj16ELb0EJPfS1_jEEvDpT3_,comdat
.Lfunc_end70:
	.size	_Z6kernelI14subtract_rightLj256ELj16ELb0EJPfS1_jEEvDpT3_, .Lfunc_end70-_Z6kernelI14subtract_rightLj256ELj16ELb0EJPfS1_jEEvDpT3_
                                        ; -- End function
	.set _Z6kernelI14subtract_rightLj256ELj16ELb0EJPfS1_jEEvDpT3_.num_vgpr, 54
	.set _Z6kernelI14subtract_rightLj256ELj16ELb0EJPfS1_jEEvDpT3_.num_agpr, 0
	.set _Z6kernelI14subtract_rightLj256ELj16ELb0EJPfS1_jEEvDpT3_.numbered_sgpr, 9
	.set _Z6kernelI14subtract_rightLj256ELj16ELb0EJPfS1_jEEvDpT3_.num_named_barrier, 0
	.set _Z6kernelI14subtract_rightLj256ELj16ELb0EJPfS1_jEEvDpT3_.private_seg_size, 0
	.set _Z6kernelI14subtract_rightLj256ELj16ELb0EJPfS1_jEEvDpT3_.uses_vcc, 1
	.set _Z6kernelI14subtract_rightLj256ELj16ELb0EJPfS1_jEEvDpT3_.uses_flat_scratch, 0
	.set _Z6kernelI14subtract_rightLj256ELj16ELb0EJPfS1_jEEvDpT3_.has_dyn_sized_stack, 0
	.set _Z6kernelI14subtract_rightLj256ELj16ELb0EJPfS1_jEEvDpT3_.has_recursion, 0
	.set _Z6kernelI14subtract_rightLj256ELj16ELb0EJPfS1_jEEvDpT3_.has_indirect_call, 0
	.section	.AMDGPU.csdata,"",@progbits
; Kernel info:
; codeLenInByte = 936
; TotalNumSgprs: 11
; NumVgprs: 54
; ScratchSize: 0
; MemoryBound: 0
; FloatMode: 240
; IeeeMode: 1
; LDSByteSize: 2048 bytes/workgroup (compile time only)
; SGPRBlocks: 0
; VGPRBlocks: 3
; NumSGPRsForWavesPerEU: 11
; NumVGPRsForWavesPerEU: 54
; NamedBarCnt: 0
; Occupancy: 16
; WaveLimiterHint : 1
; COMPUTE_PGM_RSRC2:SCRATCH_EN: 0
; COMPUTE_PGM_RSRC2:USER_SGPR: 2
; COMPUTE_PGM_RSRC2:TRAP_HANDLER: 0
; COMPUTE_PGM_RSRC2:TGID_X_EN: 1
; COMPUTE_PGM_RSRC2:TGID_Y_EN: 0
; COMPUTE_PGM_RSRC2:TGID_Z_EN: 0
; COMPUTE_PGM_RSRC2:TIDIG_COMP_CNT: 0
	.section	.text._Z6kernelI14subtract_rightLj256ELj32ELb0EJPfS1_jEEvDpT3_,"axG",@progbits,_Z6kernelI14subtract_rightLj256ELj32ELb0EJPfS1_jEEvDpT3_,comdat
	.protected	_Z6kernelI14subtract_rightLj256ELj32ELb0EJPfS1_jEEvDpT3_ ; -- Begin function _Z6kernelI14subtract_rightLj256ELj32ELb0EJPfS1_jEEvDpT3_
	.globl	_Z6kernelI14subtract_rightLj256ELj32ELb0EJPfS1_jEEvDpT3_
	.p2align	8
	.type	_Z6kernelI14subtract_rightLj256ELj32ELb0EJPfS1_jEEvDpT3_,@function
_Z6kernelI14subtract_rightLj256ELj32ELb0EJPfS1_jEEvDpT3_: ; @_Z6kernelI14subtract_rightLj256ELj32ELb0EJPfS1_jEEvDpT3_
; %bb.0:
	s_load_b128 s[4:7], s[0:1], 0x0
	s_bfe_u32 s2, ttmp6, 0x4000c
	s_and_b32 s3, ttmp6, 15
	s_add_co_i32 s2, s2, 1
	s_getreg_b32 s8, hwreg(HW_REG_IB_STS2, 6, 4)
	s_mul_i32 s2, ttmp9, s2
	s_wait_xcnt 0x0
	s_load_b32 s0, s[0:1], 0x10
	s_add_co_i32 s3, s3, s2
	s_cmp_eq_u32 s8, 0
	s_cselect_b32 s2, ttmp9, s3
	s_mov_b32 s3, 0
	s_lshl_b32 s2, s2, 13
	s_delay_alu instid0(SALU_CYCLE_1)
	s_lshl_b64 s[2:3], s[2:3], 2
	s_wait_kmcnt 0x0
	s_add_nc_u64 s[4:5], s[4:5], s[2:3]
	s_clause 0x1f
	global_load_b32 v2, v0, s[4:5] scale_offset
	global_load_b32 v3, v0, s[4:5] offset:1024 scale_offset
	global_load_b32 v17, v0, s[4:5] offset:2048 scale_offset
	global_load_b32 v19, v0, s[4:5] offset:3072 scale_offset
	global_load_b32 v21, v0, s[4:5] offset:4096 scale_offset
	global_load_b32 v4, v0, s[4:5] offset:5120 scale_offset
	global_load_b32 v5, v0, s[4:5] offset:6144 scale_offset
	global_load_b32 v23, v0, s[4:5] offset:7168 scale_offset
	global_load_b32 v25, v0, s[4:5] offset:8192 scale_offset
	global_load_b32 v27, v0, s[4:5] offset:9216 scale_offset
	global_load_b32 v6, v0, s[4:5] offset:10240 scale_offset
	global_load_b32 v7, v0, s[4:5] offset:11264 scale_offset
	global_load_b32 v29, v0, s[4:5] offset:12288 scale_offset
	global_load_b32 v31, v0, s[4:5] offset:13312 scale_offset
	global_load_b32 v33, v0, s[4:5] offset:14336 scale_offset
	global_load_b32 v8, v0, s[4:5] offset:15360 scale_offset
	global_load_b32 v9, v0, s[4:5] offset:16384 scale_offset
	global_load_b32 v35, v0, s[4:5] offset:17408 scale_offset
	global_load_b32 v37, v0, s[4:5] offset:18432 scale_offset
	global_load_b32 v39, v0, s[4:5] offset:19456 scale_offset
	global_load_b32 v10, v0, s[4:5] offset:20480 scale_offset
	global_load_b32 v11, v0, s[4:5] offset:21504 scale_offset
	global_load_b32 v41, v0, s[4:5] offset:22528 scale_offset
	global_load_b32 v43, v0, s[4:5] offset:23552 scale_offset
	global_load_b32 v45, v0, s[4:5] offset:24576 scale_offset
	global_load_b32 v12, v0, s[4:5] offset:25600 scale_offset
	global_load_b32 v13, v0, s[4:5] offset:26624 scale_offset
	global_load_b32 v47, v0, s[4:5] offset:27648 scale_offset
	global_load_b32 v49, v0, s[4:5] offset:28672 scale_offset
	global_load_b32 v51, v0, s[4:5] offset:29696 scale_offset
	global_load_b32 v14, v0, s[4:5] offset:30720 scale_offset
	global_load_b32 v15, v0, s[4:5] offset:31744 scale_offset
	s_cmp_eq_u32 s0, 0
	s_cbranch_scc1 .LBB71_5
; %bb.1:
	s_wait_loadcnt 0x1e
	v_dual_mov_b32 v16, v3 :: v_dual_lshlrev_b32 v1, 2, v0
	s_wait_loadcnt 0x1c
	v_dual_mov_b32 v18, v17 :: v_dual_mov_b32 v20, v19
	s_wait_loadcnt 0x18
	v_dual_mov_b32 v22, v5 :: v_dual_mov_b32 v24, v23
	;; [unrolled: 2-line block ×8, first 2 shown]
	s_wait_loadcnt 0x3
	v_mov_b32_e32 v50, v49
	v_cmp_ne_u32_e32 vcc_lo, 0xff, v0
	s_branch .LBB71_3
.LBB71_2:                               ;   in Loop: Header=BB71_3 Depth=1
	s_or_b32 exec_lo, exec_lo, s1
	v_dual_mov_b32 v54, v21 :: v_dual_mov_b32 v55, v4
	v_pk_add_f32 v[58:59], v[16:17], v[18:19] neg_lo:[0,1] neg_hi:[0,1]
	v_pk_add_f32 v[60:61], v[18:19], v[20:21] neg_lo:[0,1] neg_hi:[0,1]
	;; [unrolled: 1-line block ×3, first 2 shown]
	s_add_co_i32 s0, s0, -1
	v_pk_add_f32 v[54:55], v[20:21], v[54:55] neg_lo:[0,1] neg_hi:[0,1]
	v_pk_add_f32 v[16:17], v[16:17], v[58:59]
	v_dual_mov_b32 v58, v27 :: v_dual_mov_b32 v59, v6
	v_pk_add_f32 v[18:19], v[18:19], v[60:61]
	s_delay_alu instid0(VALU_DEP_4)
	v_pk_add_f32 v[20:21], v[20:21], v[54:55]
	v_pk_add_f32 v[54:55], v[24:25], v[26:27] neg_lo:[0,1] neg_hi:[0,1]
	v_pk_add_f32 v[60:61], v[22:23], v[24:25] neg_lo:[0,1] neg_hi:[0,1]
	v_pk_add_f32 v[2:3], v[2:3], v[56:57]
	v_pk_add_f32 v[56:57], v[4:5], v[22:23] neg_lo:[0,1] neg_hi:[0,1]
	v_pk_add_f32 v[58:59], v[26:27], v[58:59] neg_lo:[0,1] neg_hi:[0,1]
	v_pk_add_f32 v[24:25], v[24:25], v[54:55]
	v_pk_add_f32 v[54:55], v[28:29], v[30:31] neg_lo:[0,1] neg_hi:[0,1]
	v_pk_add_f32 v[22:23], v[22:23], v[60:61]
	v_dual_mov_b32 v60, v33 :: v_dual_mov_b32 v61, v8
	v_pk_add_f32 v[4:5], v[4:5], v[56:57]
	v_pk_add_f32 v[56:57], v[6:7], v[28:29] neg_lo:[0,1] neg_hi:[0,1]
	v_pk_add_f32 v[28:29], v[28:29], v[54:55]
	v_dual_mov_b32 v54, v39 :: v_dual_mov_b32 v55, v10
	v_pk_add_f32 v[26:27], v[26:27], v[58:59]
	v_pk_add_f32 v[58:59], v[30:31], v[32:33] neg_lo:[0,1] neg_hi:[0,1]
	v_pk_add_f32 v[60:61], v[32:33], v[60:61] neg_lo:[0,1] neg_hi:[0,1]
	v_pk_add_f32 v[6:7], v[6:7], v[56:57]
	v_pk_add_f32 v[54:55], v[38:39], v[54:55] neg_lo:[0,1] neg_hi:[0,1]
	v_pk_add_f32 v[56:57], v[8:9], v[34:35] neg_lo:[0,1] neg_hi:[0,1]
	v_pk_add_f32 v[30:31], v[30:31], v[58:59]
	v_pk_add_f32 v[58:59], v[34:35], v[36:37] neg_lo:[0,1] neg_hi:[0,1]
	v_pk_add_f32 v[32:33], v[32:33], v[60:61]
	;; [unrolled: 2-line block ×4, first 2 shown]
	v_dual_mov_b32 v58, v45 :: v_dual_mov_b32 v59, v12
	v_pk_add_f32 v[36:37], v[36:37], v[60:61]
	v_pk_add_f32 v[60:61], v[40:41], v[42:43] neg_lo:[0,1] neg_hi:[0,1]
	v_pk_add_f32 v[42:43], v[42:43], v[54:55]
	v_mov_b32_e32 v54, v15
	v_pk_add_f32 v[8:9], v[8:9], v[56:57]
	v_pk_add_f32 v[56:57], v[10:11], v[40:41] neg_lo:[0,1] neg_hi:[0,1]
	v_pk_add_f32 v[58:59], v[44:45], v[58:59] neg_lo:[0,1] neg_hi:[0,1]
	v_pk_add_f32 v[40:41], v[40:41], v[60:61]
	v_dual_mov_b32 v60, v51 :: v_dual_mov_b32 v61, v14
	v_pk_add_f32 v[54:55], v[14:15], v[54:55] neg_lo:[0,1] neg_hi:[0,1]
	v_pk_add_f32 v[10:11], v[10:11], v[56:57]
	v_pk_add_f32 v[56:57], v[12:13], v[46:47] neg_lo:[0,1] neg_hi:[0,1]
	v_pk_add_f32 v[44:45], v[44:45], v[58:59]
	v_pk_add_f32 v[58:59], v[46:47], v[48:49] neg_lo:[0,1] neg_hi:[0,1]
	v_mov_b32_e32 v55, v52
	v_pk_add_f32 v[52:53], v[48:49], v[50:51] neg_lo:[0,1] neg_hi:[0,1]
	v_pk_add_f32 v[60:61], v[50:51], v[60:61] neg_lo:[0,1] neg_hi:[0,1]
	v_pk_add_f32 v[12:13], v[12:13], v[56:57]
	v_pk_add_f32 v[46:47], v[46:47], v[58:59]
	;; [unrolled: 1-line block ×5, first 2 shown]
	s_cmp_lg_u32 s0, 0
	s_barrier_signal -1
	s_barrier_wait -1
	s_cbranch_scc0 .LBB71_5
.LBB71_3:                               ; =>This Inner Loop Header: Depth=1
	s_wait_loadcnt 0x0
	v_mov_b32_e32 v52, v15
	ds_store_b32 v1, v2 offset:1024
	s_wait_dscnt 0x0
	s_barrier_signal -1
	s_barrier_wait -1
	s_and_saveexec_b32 s1, vcc_lo
	s_cbranch_execz .LBB71_2
; %bb.4:                                ;   in Loop: Header=BB71_3 Depth=1
	ds_load_b32 v52, v1 offset:1028
	s_wait_dscnt 0x0
	v_sub_f32_e32 v52, v15, v52
	s_branch .LBB71_2
.LBB71_5:
	s_add_nc_u64 s[0:1], s[6:7], s[2:3]
	s_wait_loadcnt 0x1f
	global_store_b32 v0, v2, s[0:1] scale_offset
	s_wait_loadcnt 0x1e
	global_store_b32 v0, v3, s[0:1] offset:1024 scale_offset
	s_wait_loadcnt 0x1d
	global_store_b32 v0, v17, s[0:1] offset:2048 scale_offset
	s_wait_loadcnt 0x1c
	global_store_b32 v0, v19, s[0:1] offset:3072 scale_offset
	s_wait_loadcnt 0x1b
	global_store_b32 v0, v21, s[0:1] offset:4096 scale_offset
	s_wait_loadcnt 0x1a
	global_store_b32 v0, v4, s[0:1] offset:5120 scale_offset
	s_wait_loadcnt 0x19
	global_store_b32 v0, v5, s[0:1] offset:6144 scale_offset
	s_wait_loadcnt 0x18
	global_store_b32 v0, v23, s[0:1] offset:7168 scale_offset
	s_wait_loadcnt 0x17
	global_store_b32 v0, v25, s[0:1] offset:8192 scale_offset
	s_wait_loadcnt 0x16
	global_store_b32 v0, v27, s[0:1] offset:9216 scale_offset
	s_wait_loadcnt 0x15
	global_store_b32 v0, v6, s[0:1] offset:10240 scale_offset
	s_wait_loadcnt 0x14
	global_store_b32 v0, v7, s[0:1] offset:11264 scale_offset
	s_wait_loadcnt 0x13
	global_store_b32 v0, v29, s[0:1] offset:12288 scale_offset
	s_wait_loadcnt 0x12
	global_store_b32 v0, v31, s[0:1] offset:13312 scale_offset
	s_wait_loadcnt 0x11
	global_store_b32 v0, v33, s[0:1] offset:14336 scale_offset
	s_wait_loadcnt 0x10
	global_store_b32 v0, v8, s[0:1] offset:15360 scale_offset
	s_wait_loadcnt 0xf
	global_store_b32 v0, v9, s[0:1] offset:16384 scale_offset
	s_wait_loadcnt 0xe
	global_store_b32 v0, v35, s[0:1] offset:17408 scale_offset
	s_wait_loadcnt 0xd
	global_store_b32 v0, v37, s[0:1] offset:18432 scale_offset
	s_wait_loadcnt 0xc
	global_store_b32 v0, v39, s[0:1] offset:19456 scale_offset
	s_wait_loadcnt 0xb
	global_store_b32 v0, v10, s[0:1] offset:20480 scale_offset
	s_wait_loadcnt 0xa
	global_store_b32 v0, v11, s[0:1] offset:21504 scale_offset
	s_wait_loadcnt 0x9
	global_store_b32 v0, v41, s[0:1] offset:22528 scale_offset
	s_wait_loadcnt 0x8
	global_store_b32 v0, v43, s[0:1] offset:23552 scale_offset
	s_wait_loadcnt 0x7
	global_store_b32 v0, v45, s[0:1] offset:24576 scale_offset
	s_wait_loadcnt 0x6
	global_store_b32 v0, v12, s[0:1] offset:25600 scale_offset
	s_wait_loadcnt 0x5
	global_store_b32 v0, v13, s[0:1] offset:26624 scale_offset
	s_wait_loadcnt 0x4
	global_store_b32 v0, v47, s[0:1] offset:27648 scale_offset
	s_wait_loadcnt 0x3
	global_store_b32 v0, v49, s[0:1] offset:28672 scale_offset
	s_wait_loadcnt 0x2
	global_store_b32 v0, v51, s[0:1] offset:29696 scale_offset
	s_wait_loadcnt 0x1
	global_store_b32 v0, v14, s[0:1] offset:30720 scale_offset
	s_wait_loadcnt 0x0
	global_store_b32 v0, v15, s[0:1] offset:31744 scale_offset
	s_endpgm
	.section	.rodata,"a",@progbits
	.p2align	6, 0x0
	.amdhsa_kernel _Z6kernelI14subtract_rightLj256ELj32ELb0EJPfS1_jEEvDpT3_
		.amdhsa_group_segment_fixed_size 2048
		.amdhsa_private_segment_fixed_size 0
		.amdhsa_kernarg_size 20
		.amdhsa_user_sgpr_count 2
		.amdhsa_user_sgpr_dispatch_ptr 0
		.amdhsa_user_sgpr_queue_ptr 0
		.amdhsa_user_sgpr_kernarg_segment_ptr 1
		.amdhsa_user_sgpr_dispatch_id 0
		.amdhsa_user_sgpr_kernarg_preload_length 0
		.amdhsa_user_sgpr_kernarg_preload_offset 0
		.amdhsa_user_sgpr_private_segment_size 0
		.amdhsa_wavefront_size32 1
		.amdhsa_uses_dynamic_stack 0
		.amdhsa_enable_private_segment 0
		.amdhsa_system_sgpr_workgroup_id_x 1
		.amdhsa_system_sgpr_workgroup_id_y 0
		.amdhsa_system_sgpr_workgroup_id_z 0
		.amdhsa_system_sgpr_workgroup_info 0
		.amdhsa_system_vgpr_workitem_id 0
		.amdhsa_next_free_vgpr 62
		.amdhsa_next_free_sgpr 9
		.amdhsa_named_barrier_count 0
		.amdhsa_reserve_vcc 1
		.amdhsa_float_round_mode_32 0
		.amdhsa_float_round_mode_16_64 0
		.amdhsa_float_denorm_mode_32 3
		.amdhsa_float_denorm_mode_16_64 3
		.amdhsa_fp16_overflow 0
		.amdhsa_memory_ordered 1
		.amdhsa_forward_progress 1
		.amdhsa_inst_pref_size 14
		.amdhsa_round_robin_scheduling 0
		.amdhsa_exception_fp_ieee_invalid_op 0
		.amdhsa_exception_fp_denorm_src 0
		.amdhsa_exception_fp_ieee_div_zero 0
		.amdhsa_exception_fp_ieee_overflow 0
		.amdhsa_exception_fp_ieee_underflow 0
		.amdhsa_exception_fp_ieee_inexact 0
		.amdhsa_exception_int_div_zero 0
	.end_amdhsa_kernel
	.section	.text._Z6kernelI14subtract_rightLj256ELj32ELb0EJPfS1_jEEvDpT3_,"axG",@progbits,_Z6kernelI14subtract_rightLj256ELj32ELb0EJPfS1_jEEvDpT3_,comdat
.Lfunc_end71:
	.size	_Z6kernelI14subtract_rightLj256ELj32ELb0EJPfS1_jEEvDpT3_, .Lfunc_end71-_Z6kernelI14subtract_rightLj256ELj32ELb0EJPfS1_jEEvDpT3_
                                        ; -- End function
	.set _Z6kernelI14subtract_rightLj256ELj32ELb0EJPfS1_jEEvDpT3_.num_vgpr, 62
	.set _Z6kernelI14subtract_rightLj256ELj32ELb0EJPfS1_jEEvDpT3_.num_agpr, 0
	.set _Z6kernelI14subtract_rightLj256ELj32ELb0EJPfS1_jEEvDpT3_.numbered_sgpr, 9
	.set _Z6kernelI14subtract_rightLj256ELj32ELb0EJPfS1_jEEvDpT3_.num_named_barrier, 0
	.set _Z6kernelI14subtract_rightLj256ELj32ELb0EJPfS1_jEEvDpT3_.private_seg_size, 0
	.set _Z6kernelI14subtract_rightLj256ELj32ELb0EJPfS1_jEEvDpT3_.uses_vcc, 1
	.set _Z6kernelI14subtract_rightLj256ELj32ELb0EJPfS1_jEEvDpT3_.uses_flat_scratch, 0
	.set _Z6kernelI14subtract_rightLj256ELj32ELb0EJPfS1_jEEvDpT3_.has_dyn_sized_stack, 0
	.set _Z6kernelI14subtract_rightLj256ELj32ELb0EJPfS1_jEEvDpT3_.has_recursion, 0
	.set _Z6kernelI14subtract_rightLj256ELj32ELb0EJPfS1_jEEvDpT3_.has_indirect_call, 0
	.section	.AMDGPU.csdata,"",@progbits
; Kernel info:
; codeLenInByte = 1696
; TotalNumSgprs: 11
; NumVgprs: 62
; ScratchSize: 0
; MemoryBound: 0
; FloatMode: 240
; IeeeMode: 1
; LDSByteSize: 2048 bytes/workgroup (compile time only)
; SGPRBlocks: 0
; VGPRBlocks: 3
; NumSGPRsForWavesPerEU: 11
; NumVGPRsForWavesPerEU: 62
; NamedBarCnt: 0
; Occupancy: 16
; WaveLimiterHint : 1
; COMPUTE_PGM_RSRC2:SCRATCH_EN: 0
; COMPUTE_PGM_RSRC2:USER_SGPR: 2
; COMPUTE_PGM_RSRC2:TRAP_HANDLER: 0
; COMPUTE_PGM_RSRC2:TGID_X_EN: 1
; COMPUTE_PGM_RSRC2:TGID_Y_EN: 0
; COMPUTE_PGM_RSRC2:TGID_Z_EN: 0
; COMPUTE_PGM_RSRC2:TIDIG_COMP_CNT: 0
	.section	.text._Z6kernelI14subtract_rightLj256ELj1ELb0EJPaS1_jEEvDpT3_,"axG",@progbits,_Z6kernelI14subtract_rightLj256ELj1ELb0EJPaS1_jEEvDpT3_,comdat
	.protected	_Z6kernelI14subtract_rightLj256ELj1ELb0EJPaS1_jEEvDpT3_ ; -- Begin function _Z6kernelI14subtract_rightLj256ELj1ELb0EJPaS1_jEEvDpT3_
	.globl	_Z6kernelI14subtract_rightLj256ELj1ELb0EJPaS1_jEEvDpT3_
	.p2align	8
	.type	_Z6kernelI14subtract_rightLj256ELj1ELb0EJPaS1_jEEvDpT3_,@function
_Z6kernelI14subtract_rightLj256ELj1ELb0EJPaS1_jEEvDpT3_: ; @_Z6kernelI14subtract_rightLj256ELj1ELb0EJPaS1_jEEvDpT3_
; %bb.0:
	s_load_b128 s[4:7], s[0:1], 0x0
	s_bfe_u32 s2, ttmp6, 0x4000c
	s_and_b32 s3, ttmp6, 15
	s_add_co_i32 s2, s2, 1
	s_getreg_b32 s8, hwreg(HW_REG_IB_STS2, 6, 4)
	s_mul_i32 s2, ttmp9, s2
	s_wait_xcnt 0x0
	s_load_b32 s0, s[0:1], 0x10
	s_add_co_i32 s3, s3, s2
	s_cmp_eq_u32 s8, 0
	v_mov_b32_e32 v1, 0
	s_cselect_b32 s2, ttmp9, s3
	s_mov_b32 s3, 0
	s_lshl_b32 s2, s2, 8
	s_wait_kmcnt 0x0
	s_add_nc_u64 s[4:5], s[4:5], s[2:3]
	global_load_u8 v2, v0, s[4:5]
	s_cmp_eq_u32 s0, 0
	s_cbranch_scc1 .LBB72_5
; %bb.1:
	v_cmp_ne_u32_e32 vcc_lo, 0xff, v0
	s_branch .LBB72_3
.LBB72_2:                               ;   in Loop: Header=BB72_3 Depth=1
	s_or_b32 exec_lo, exec_lo, s1
	s_delay_alu instid0(VALU_DEP_1) | instskip(SKIP_1) | instid1(SALU_CYCLE_1)
	v_add_nc_u16 v2, v3, v2
	s_add_co_i32 s0, s0, -1
	s_cmp_lg_u32 s0, 0
	s_barrier_signal -1
	s_barrier_wait -1
	s_cbranch_scc0 .LBB72_5
.LBB72_3:                               ; =>This Inner Loop Header: Depth=1
	s_wait_loadcnt 0x0
	v_mov_b32_e32 v3, v2
	ds_store_b8 v0, v2 offset:256
	s_wait_dscnt 0x0
	s_barrier_signal -1
	s_barrier_wait -1
	s_and_saveexec_b32 s1, vcc_lo
	s_cbranch_execz .LBB72_2
; %bb.4:                                ;   in Loop: Header=BB72_3 Depth=1
	ds_load_u8 v3, v0 offset:257
	s_wait_dscnt 0x0
	v_sub_nc_u16 v3, v2, v3
	s_branch .LBB72_2
.LBB72_5:
	s_add_nc_u64 s[0:1], s[6:7], s[2:3]
	s_wait_xcnt 0x0
	v_add_nc_u64_e32 v[0:1], s[0:1], v[0:1]
	s_wait_loadcnt 0x0
	global_store_b8 v[0:1], v2, off
	s_endpgm
	.section	.rodata,"a",@progbits
	.p2align	6, 0x0
	.amdhsa_kernel _Z6kernelI14subtract_rightLj256ELj1ELb0EJPaS1_jEEvDpT3_
		.amdhsa_group_segment_fixed_size 512
		.amdhsa_private_segment_fixed_size 0
		.amdhsa_kernarg_size 20
		.amdhsa_user_sgpr_count 2
		.amdhsa_user_sgpr_dispatch_ptr 0
		.amdhsa_user_sgpr_queue_ptr 0
		.amdhsa_user_sgpr_kernarg_segment_ptr 1
		.amdhsa_user_sgpr_dispatch_id 0
		.amdhsa_user_sgpr_kernarg_preload_length 0
		.amdhsa_user_sgpr_kernarg_preload_offset 0
		.amdhsa_user_sgpr_private_segment_size 0
		.amdhsa_wavefront_size32 1
		.amdhsa_uses_dynamic_stack 0
		.amdhsa_enable_private_segment 0
		.amdhsa_system_sgpr_workgroup_id_x 1
		.amdhsa_system_sgpr_workgroup_id_y 0
		.amdhsa_system_sgpr_workgroup_id_z 0
		.amdhsa_system_sgpr_workgroup_info 0
		.amdhsa_system_vgpr_workitem_id 0
		.amdhsa_next_free_vgpr 4
		.amdhsa_next_free_sgpr 9
		.amdhsa_named_barrier_count 0
		.amdhsa_reserve_vcc 1
		.amdhsa_float_round_mode_32 0
		.amdhsa_float_round_mode_16_64 0
		.amdhsa_float_denorm_mode_32 3
		.amdhsa_float_denorm_mode_16_64 3
		.amdhsa_fp16_overflow 0
		.amdhsa_memory_ordered 1
		.amdhsa_forward_progress 1
		.amdhsa_inst_pref_size 2
		.amdhsa_round_robin_scheduling 0
		.amdhsa_exception_fp_ieee_invalid_op 0
		.amdhsa_exception_fp_denorm_src 0
		.amdhsa_exception_fp_ieee_div_zero 0
		.amdhsa_exception_fp_ieee_overflow 0
		.amdhsa_exception_fp_ieee_underflow 0
		.amdhsa_exception_fp_ieee_inexact 0
		.amdhsa_exception_int_div_zero 0
	.end_amdhsa_kernel
	.section	.text._Z6kernelI14subtract_rightLj256ELj1ELb0EJPaS1_jEEvDpT3_,"axG",@progbits,_Z6kernelI14subtract_rightLj256ELj1ELb0EJPaS1_jEEvDpT3_,comdat
.Lfunc_end72:
	.size	_Z6kernelI14subtract_rightLj256ELj1ELb0EJPaS1_jEEvDpT3_, .Lfunc_end72-_Z6kernelI14subtract_rightLj256ELj1ELb0EJPaS1_jEEvDpT3_
                                        ; -- End function
	.set _Z6kernelI14subtract_rightLj256ELj1ELb0EJPaS1_jEEvDpT3_.num_vgpr, 4
	.set _Z6kernelI14subtract_rightLj256ELj1ELb0EJPaS1_jEEvDpT3_.num_agpr, 0
	.set _Z6kernelI14subtract_rightLj256ELj1ELb0EJPaS1_jEEvDpT3_.numbered_sgpr, 9
	.set _Z6kernelI14subtract_rightLj256ELj1ELb0EJPaS1_jEEvDpT3_.num_named_barrier, 0
	.set _Z6kernelI14subtract_rightLj256ELj1ELb0EJPaS1_jEEvDpT3_.private_seg_size, 0
	.set _Z6kernelI14subtract_rightLj256ELj1ELb0EJPaS1_jEEvDpT3_.uses_vcc, 1
	.set _Z6kernelI14subtract_rightLj256ELj1ELb0EJPaS1_jEEvDpT3_.uses_flat_scratch, 0
	.set _Z6kernelI14subtract_rightLj256ELj1ELb0EJPaS1_jEEvDpT3_.has_dyn_sized_stack, 0
	.set _Z6kernelI14subtract_rightLj256ELj1ELb0EJPaS1_jEEvDpT3_.has_recursion, 0
	.set _Z6kernelI14subtract_rightLj256ELj1ELb0EJPaS1_jEEvDpT3_.has_indirect_call, 0
	.section	.AMDGPU.csdata,"",@progbits
; Kernel info:
; codeLenInByte = 236
; TotalNumSgprs: 11
; NumVgprs: 4
; ScratchSize: 0
; MemoryBound: 0
; FloatMode: 240
; IeeeMode: 1
; LDSByteSize: 512 bytes/workgroup (compile time only)
; SGPRBlocks: 0
; VGPRBlocks: 0
; NumSGPRsForWavesPerEU: 11
; NumVGPRsForWavesPerEU: 4
; NamedBarCnt: 0
; Occupancy: 16
; WaveLimiterHint : 0
; COMPUTE_PGM_RSRC2:SCRATCH_EN: 0
; COMPUTE_PGM_RSRC2:USER_SGPR: 2
; COMPUTE_PGM_RSRC2:TRAP_HANDLER: 0
; COMPUTE_PGM_RSRC2:TGID_X_EN: 1
; COMPUTE_PGM_RSRC2:TGID_Y_EN: 0
; COMPUTE_PGM_RSRC2:TGID_Z_EN: 0
; COMPUTE_PGM_RSRC2:TIDIG_COMP_CNT: 0
	.section	.text._Z6kernelI14subtract_rightLj256ELj3ELb0EJPaS1_jEEvDpT3_,"axG",@progbits,_Z6kernelI14subtract_rightLj256ELj3ELb0EJPaS1_jEEvDpT3_,comdat
	.protected	_Z6kernelI14subtract_rightLj256ELj3ELb0EJPaS1_jEEvDpT3_ ; -- Begin function _Z6kernelI14subtract_rightLj256ELj3ELb0EJPaS1_jEEvDpT3_
	.globl	_Z6kernelI14subtract_rightLj256ELj3ELb0EJPaS1_jEEvDpT3_
	.p2align	8
	.type	_Z6kernelI14subtract_rightLj256ELj3ELb0EJPaS1_jEEvDpT3_,@function
_Z6kernelI14subtract_rightLj256ELj3ELb0EJPaS1_jEEvDpT3_: ; @_Z6kernelI14subtract_rightLj256ELj3ELb0EJPaS1_jEEvDpT3_
; %bb.0:
	s_load_b128 s[4:7], s[0:1], 0x0
	s_bfe_u32 s2, ttmp6, 0x4000c
	s_and_b32 s3, ttmp6, 15
	s_add_co_i32 s2, s2, 1
	s_getreg_b32 s8, hwreg(HW_REG_IB_STS2, 6, 4)
	s_mul_i32 s2, ttmp9, s2
	s_wait_xcnt 0x0
	s_load_b32 s0, s[0:1], 0x10
	s_add_co_i32 s3, s3, s2
	s_cmp_eq_u32 s8, 0
	s_cselect_b32 s2, ttmp9, s3
	s_mov_b32 s3, 0
	s_mulk_i32 s2, 0x300
	s_wait_kmcnt 0x0
	s_add_nc_u64 s[4:5], s[4:5], s[2:3]
	s_clause 0x2
	global_load_u8 v1, v0, s[4:5] offset:256
	global_load_u8 v2, v0, s[4:5] offset:512
	global_load_u8 v3, v0, s[4:5]
	s_cmp_eq_u32 s0, 0
	s_wait_loadcnt 0x0
	v_perm_b32 v3, v3, v1, 0xc0c0004
	v_mov_b32_e32 v1, 0
	s_delay_alu instid0(VALU_DEP_2)
	v_lshl_or_b32 v2, v2, 16, v3
	s_cbranch_scc1 .LBB73_5
; %bb.1:
	v_cmp_ne_u32_e32 vcc_lo, 0xff, v0
	s_branch .LBB73_3
.LBB73_2:                               ;   in Loop: Header=BB73_3 Depth=1
	s_or_b32 exec_lo, exec_lo, s1
	v_lshrrev_b32_e32 v5, 8, v2
	v_lshrrev_b16 v7, 8, v2
	s_add_co_i32 s0, s0, -1
	s_delay_alu instid0(SALU_CYCLE_1) | instskip(NEXT) | instid1(VALU_DEP_2)
	s_cmp_lg_u32 s0, 0
	v_sub_nc_u16 v6, v5, v3
	v_add_nc_u16 v3, v4, v3
	s_barrier_signal -1
	s_barrier_wait -1
	s_delay_alu instid0(VALU_DEP_2) | instskip(NEXT) | instid1(VALU_DEP_2)
	v_and_b32_e32 v8, 0xff, v6
	v_and_b32_e32 v3, 0xff, v3
	v_lshlrev_b16 v6, 8, v6
	s_delay_alu instid0(VALU_DEP_3) | instskip(NEXT) | instid1(VALU_DEP_3)
	v_add_nc_u16 v4, v8, v7
	v_lshlrev_b32_e32 v3, 16, v3
	v_sub_nc_u16 v5, v2, v5
	s_delay_alu instid0(VALU_DEP_3) | instskip(NEXT) | instid1(VALU_DEP_2)
	v_lshlrev_b16 v4, 8, v4
	v_bitop3_b16 v5, v5, v6, 0xff bitop3:0xec
	s_delay_alu instid0(VALU_DEP_1) | instskip(NEXT) | instid1(VALU_DEP_1)
	v_add_nc_u16 v2, v5, v2
	v_perm_b32 v2, v2, v4, 0xc0c0104
	s_delay_alu instid0(VALU_DEP_1)
	v_or_b32_e32 v2, v2, v3
	s_cbranch_scc0 .LBB73_5
.LBB73_3:                               ; =>This Inner Loop Header: Depth=1
	s_delay_alu instid0(VALU_DEP_1)
	v_lshrrev_b32_e32 v3, 16, v2
	ds_store_b8 v0, v2 offset:256
	s_wait_dscnt 0x0
	s_barrier_signal -1
	s_barrier_wait -1
	v_mov_b32_e32 v4, v3
	s_and_saveexec_b32 s1, vcc_lo
	s_cbranch_execz .LBB73_2
; %bb.4:                                ;   in Loop: Header=BB73_3 Depth=1
	ds_load_u8 v4, v0 offset:257
	s_wait_dscnt 0x0
	v_sub_nc_u16 v4, v3, v4
	s_branch .LBB73_2
.LBB73_5:
	s_add_nc_u64 s[0:1], s[6:7], s[2:3]
	s_delay_alu instid0(VALU_DEP_1)
	v_lshrrev_b32_e32 v3, 8, v2
	v_add_nc_u64_e32 v[0:1], s[0:1], v[0:1]
	s_clause 0x2
	global_store_b8 v[0:1], v2, off
	global_store_b8 v[0:1], v3, off offset:256
	global_store_d16_hi_b8 v[0:1], v2, off offset:512
	s_endpgm
	.section	.rodata,"a",@progbits
	.p2align	6, 0x0
	.amdhsa_kernel _Z6kernelI14subtract_rightLj256ELj3ELb0EJPaS1_jEEvDpT3_
		.amdhsa_group_segment_fixed_size 512
		.amdhsa_private_segment_fixed_size 0
		.amdhsa_kernarg_size 20
		.amdhsa_user_sgpr_count 2
		.amdhsa_user_sgpr_dispatch_ptr 0
		.amdhsa_user_sgpr_queue_ptr 0
		.amdhsa_user_sgpr_kernarg_segment_ptr 1
		.amdhsa_user_sgpr_dispatch_id 0
		.amdhsa_user_sgpr_kernarg_preload_length 0
		.amdhsa_user_sgpr_kernarg_preload_offset 0
		.amdhsa_user_sgpr_private_segment_size 0
		.amdhsa_wavefront_size32 1
		.amdhsa_uses_dynamic_stack 0
		.amdhsa_enable_private_segment 0
		.amdhsa_system_sgpr_workgroup_id_x 1
		.amdhsa_system_sgpr_workgroup_id_y 0
		.amdhsa_system_sgpr_workgroup_id_z 0
		.amdhsa_system_sgpr_workgroup_info 0
		.amdhsa_system_vgpr_workitem_id 0
		.amdhsa_next_free_vgpr 9
		.amdhsa_next_free_sgpr 9
		.amdhsa_named_barrier_count 0
		.amdhsa_reserve_vcc 1
		.amdhsa_float_round_mode_32 0
		.amdhsa_float_round_mode_16_64 0
		.amdhsa_float_denorm_mode_32 3
		.amdhsa_float_denorm_mode_16_64 3
		.amdhsa_fp16_overflow 0
		.amdhsa_memory_ordered 1
		.amdhsa_forward_progress 1
		.amdhsa_inst_pref_size 4
		.amdhsa_round_robin_scheduling 0
		.amdhsa_exception_fp_ieee_invalid_op 0
		.amdhsa_exception_fp_denorm_src 0
		.amdhsa_exception_fp_ieee_div_zero 0
		.amdhsa_exception_fp_ieee_overflow 0
		.amdhsa_exception_fp_ieee_underflow 0
		.amdhsa_exception_fp_ieee_inexact 0
		.amdhsa_exception_int_div_zero 0
	.end_amdhsa_kernel
	.section	.text._Z6kernelI14subtract_rightLj256ELj3ELb0EJPaS1_jEEvDpT3_,"axG",@progbits,_Z6kernelI14subtract_rightLj256ELj3ELb0EJPaS1_jEEvDpT3_,comdat
.Lfunc_end73:
	.size	_Z6kernelI14subtract_rightLj256ELj3ELb0EJPaS1_jEEvDpT3_, .Lfunc_end73-_Z6kernelI14subtract_rightLj256ELj3ELb0EJPaS1_jEEvDpT3_
                                        ; -- End function
	.set _Z6kernelI14subtract_rightLj256ELj3ELb0EJPaS1_jEEvDpT3_.num_vgpr, 9
	.set _Z6kernelI14subtract_rightLj256ELj3ELb0EJPaS1_jEEvDpT3_.num_agpr, 0
	.set _Z6kernelI14subtract_rightLj256ELj3ELb0EJPaS1_jEEvDpT3_.numbered_sgpr, 9
	.set _Z6kernelI14subtract_rightLj256ELj3ELb0EJPaS1_jEEvDpT3_.num_named_barrier, 0
	.set _Z6kernelI14subtract_rightLj256ELj3ELb0EJPaS1_jEEvDpT3_.private_seg_size, 0
	.set _Z6kernelI14subtract_rightLj256ELj3ELb0EJPaS1_jEEvDpT3_.uses_vcc, 1
	.set _Z6kernelI14subtract_rightLj256ELj3ELb0EJPaS1_jEEvDpT3_.uses_flat_scratch, 0
	.set _Z6kernelI14subtract_rightLj256ELj3ELb0EJPaS1_jEEvDpT3_.has_dyn_sized_stack, 0
	.set _Z6kernelI14subtract_rightLj256ELj3ELb0EJPaS1_jEEvDpT3_.has_recursion, 0
	.set _Z6kernelI14subtract_rightLj256ELj3ELb0EJPaS1_jEEvDpT3_.has_indirect_call, 0
	.section	.AMDGPU.csdata,"",@progbits
; Kernel info:
; codeLenInByte = 452
; TotalNumSgprs: 11
; NumVgprs: 9
; ScratchSize: 0
; MemoryBound: 0
; FloatMode: 240
; IeeeMode: 1
; LDSByteSize: 512 bytes/workgroup (compile time only)
; SGPRBlocks: 0
; VGPRBlocks: 0
; NumSGPRsForWavesPerEU: 11
; NumVGPRsForWavesPerEU: 9
; NamedBarCnt: 0
; Occupancy: 16
; WaveLimiterHint : 1
; COMPUTE_PGM_RSRC2:SCRATCH_EN: 0
; COMPUTE_PGM_RSRC2:USER_SGPR: 2
; COMPUTE_PGM_RSRC2:TRAP_HANDLER: 0
; COMPUTE_PGM_RSRC2:TGID_X_EN: 1
; COMPUTE_PGM_RSRC2:TGID_Y_EN: 0
; COMPUTE_PGM_RSRC2:TGID_Z_EN: 0
; COMPUTE_PGM_RSRC2:TIDIG_COMP_CNT: 0
	.section	.text._Z6kernelI14subtract_rightLj256ELj4ELb0EJPaS1_jEEvDpT3_,"axG",@progbits,_Z6kernelI14subtract_rightLj256ELj4ELb0EJPaS1_jEEvDpT3_,comdat
	.protected	_Z6kernelI14subtract_rightLj256ELj4ELb0EJPaS1_jEEvDpT3_ ; -- Begin function _Z6kernelI14subtract_rightLj256ELj4ELb0EJPaS1_jEEvDpT3_
	.globl	_Z6kernelI14subtract_rightLj256ELj4ELb0EJPaS1_jEEvDpT3_
	.p2align	8
	.type	_Z6kernelI14subtract_rightLj256ELj4ELb0EJPaS1_jEEvDpT3_,@function
_Z6kernelI14subtract_rightLj256ELj4ELb0EJPaS1_jEEvDpT3_: ; @_Z6kernelI14subtract_rightLj256ELj4ELb0EJPaS1_jEEvDpT3_
; %bb.0:
	s_load_b128 s[4:7], s[0:1], 0x0
	s_bfe_u32 s2, ttmp6, 0x4000c
	s_and_b32 s3, ttmp6, 15
	s_add_co_i32 s2, s2, 1
	s_getreg_b32 s8, hwreg(HW_REG_IB_STS2, 6, 4)
	s_mul_i32 s2, ttmp9, s2
	s_wait_xcnt 0x0
	s_load_b32 s0, s[0:1], 0x10
	s_add_co_i32 s3, s3, s2
	s_cmp_eq_u32 s8, 0
	s_cselect_b32 s2, ttmp9, s3
	s_mov_b32 s3, 0
	s_lshl_b32 s2, s2, 10
	s_wait_kmcnt 0x0
	s_add_nc_u64 s[4:5], s[4:5], s[2:3]
	s_clause 0x3
	global_load_u8 v1, v0, s[4:5] offset:256
	global_load_u8 v2, v0, s[4:5] offset:512
	global_load_u8 v3, v0, s[4:5]
	global_load_u8 v4, v0, s[4:5] offset:768
	s_cmp_eq_u32 s0, 0
	s_wait_loadcnt 0x1
	v_perm_b32 v3, v3, v1, 0xc0c0004
	s_wait_loadcnt 0x0
	v_perm_b32 v2, v2, v4, 0xc0c0004
	v_mov_b32_e32 v1, 0
	s_delay_alu instid0(VALU_DEP_2)
	v_lshl_or_b32 v2, v2, 16, v3
	s_cbranch_scc1 .LBB74_5
; %bb.1:
	v_cmp_ne_u32_e32 vcc_lo, 0xff, v0
	s_branch .LBB74_3
.LBB74_2:                               ;   in Loop: Header=BB74_3 Depth=1
	s_or_b32 exec_lo, exec_lo, s1
	v_dual_lshrrev_b32 v5, 16, v2 :: v_dual_lshrrev_b32 v6, 8, v2
	v_lshrrev_b16 v10, 8, v2
	s_add_co_i32 s0, s0, -1
	s_delay_alu instid0(VALU_DEP_2) | instskip(NEXT) | instid1(VALU_DEP_3)
	v_sub_nc_u16 v7, v5, v3
	v_sub_nc_u16 v8, v6, v5
	v_add_nc_u16 v3, v4, v3
	v_sub_nc_u16 v4, v2, v6
	s_cmp_lg_u32 s0, 0
	v_lshlrev_b16 v9, 8, v7
	v_and_b32_e32 v6, 0xff, v7
	v_lshlrev_b16 v3, 8, v3
	v_add_nc_u16 v2, v4, v2
	s_barrier_signal -1
	v_bitop3_b16 v8, v8, v9, 0xff bitop3:0xec
	v_add_nc_u16 v4, v6, v5
	s_barrier_wait -1
	s_delay_alu instid0(VALU_DEP_2) | instskip(NEXT) | instid1(VALU_DEP_2)
	v_add_nc_u16 v7, v8, v10
	v_bitop3_b16 v3, v4, v3, 0xff bitop3:0xec
	s_delay_alu instid0(VALU_DEP_2) | instskip(NEXT) | instid1(VALU_DEP_2)
	v_lshlrev_b16 v5, 8, v7
	v_lshlrev_b32_e32 v3, 16, v3
	s_delay_alu instid0(VALU_DEP_2) | instskip(NEXT) | instid1(VALU_DEP_1)
	v_bitop3_b16 v2, v2, v5, 0xff bitop3:0xec
	v_and_b32_e32 v2, 0xffff, v2
	s_delay_alu instid0(VALU_DEP_1)
	v_or_b32_e32 v2, v2, v3
	s_cbranch_scc0 .LBB74_5
.LBB74_3:                               ; =>This Inner Loop Header: Depth=1
	s_delay_alu instid0(VALU_DEP_1)
	v_lshrrev_b32_e32 v3, 24, v2
	ds_store_b8 v0, v2 offset:256
	s_wait_dscnt 0x0
	s_barrier_signal -1
	s_barrier_wait -1
	v_mov_b32_e32 v4, v3
	s_and_saveexec_b32 s1, vcc_lo
	s_cbranch_execz .LBB74_2
; %bb.4:                                ;   in Loop: Header=BB74_3 Depth=1
	ds_load_u8 v4, v0 offset:257
	s_wait_dscnt 0x0
	v_sub_nc_u16 v4, v3, v4
	s_branch .LBB74_2
.LBB74_5:
	s_add_nc_u64 s[0:1], s[6:7], s[2:3]
	s_delay_alu instid0(VALU_DEP_1)
	v_dual_lshrrev_b32 v3, 8, v2 :: v_dual_lshrrev_b32 v4, 24, v2
	v_add_nc_u64_e32 v[0:1], s[0:1], v[0:1]
	s_clause 0x3
	global_store_b8 v[0:1], v2, off
	global_store_b8 v[0:1], v3, off offset:256
	global_store_d16_hi_b8 v[0:1], v2, off offset:512
	global_store_b8 v[0:1], v4, off offset:768
	s_endpgm
	.section	.rodata,"a",@progbits
	.p2align	6, 0x0
	.amdhsa_kernel _Z6kernelI14subtract_rightLj256ELj4ELb0EJPaS1_jEEvDpT3_
		.amdhsa_group_segment_fixed_size 512
		.amdhsa_private_segment_fixed_size 0
		.amdhsa_kernarg_size 20
		.amdhsa_user_sgpr_count 2
		.amdhsa_user_sgpr_dispatch_ptr 0
		.amdhsa_user_sgpr_queue_ptr 0
		.amdhsa_user_sgpr_kernarg_segment_ptr 1
		.amdhsa_user_sgpr_dispatch_id 0
		.amdhsa_user_sgpr_kernarg_preload_length 0
		.amdhsa_user_sgpr_kernarg_preload_offset 0
		.amdhsa_user_sgpr_private_segment_size 0
		.amdhsa_wavefront_size32 1
		.amdhsa_uses_dynamic_stack 0
		.amdhsa_enable_private_segment 0
		.amdhsa_system_sgpr_workgroup_id_x 1
		.amdhsa_system_sgpr_workgroup_id_y 0
		.amdhsa_system_sgpr_workgroup_id_z 0
		.amdhsa_system_sgpr_workgroup_info 0
		.amdhsa_system_vgpr_workitem_id 0
		.amdhsa_next_free_vgpr 11
		.amdhsa_next_free_sgpr 9
		.amdhsa_named_barrier_count 0
		.amdhsa_reserve_vcc 1
		.amdhsa_float_round_mode_32 0
		.amdhsa_float_round_mode_16_64 0
		.amdhsa_float_denorm_mode_32 3
		.amdhsa_float_denorm_mode_16_64 3
		.amdhsa_fp16_overflow 0
		.amdhsa_memory_ordered 1
		.amdhsa_forward_progress 1
		.amdhsa_inst_pref_size 5
		.amdhsa_round_robin_scheduling 0
		.amdhsa_exception_fp_ieee_invalid_op 0
		.amdhsa_exception_fp_denorm_src 0
		.amdhsa_exception_fp_ieee_div_zero 0
		.amdhsa_exception_fp_ieee_overflow 0
		.amdhsa_exception_fp_ieee_underflow 0
		.amdhsa_exception_fp_ieee_inexact 0
		.amdhsa_exception_int_div_zero 0
	.end_amdhsa_kernel
	.section	.text._Z6kernelI14subtract_rightLj256ELj4ELb0EJPaS1_jEEvDpT3_,"axG",@progbits,_Z6kernelI14subtract_rightLj256ELj4ELb0EJPaS1_jEEvDpT3_,comdat
.Lfunc_end74:
	.size	_Z6kernelI14subtract_rightLj256ELj4ELb0EJPaS1_jEEvDpT3_, .Lfunc_end74-_Z6kernelI14subtract_rightLj256ELj4ELb0EJPaS1_jEEvDpT3_
                                        ; -- End function
	.set _Z6kernelI14subtract_rightLj256ELj4ELb0EJPaS1_jEEvDpT3_.num_vgpr, 11
	.set _Z6kernelI14subtract_rightLj256ELj4ELb0EJPaS1_jEEvDpT3_.num_agpr, 0
	.set _Z6kernelI14subtract_rightLj256ELj4ELb0EJPaS1_jEEvDpT3_.numbered_sgpr, 9
	.set _Z6kernelI14subtract_rightLj256ELj4ELb0EJPaS1_jEEvDpT3_.num_named_barrier, 0
	.set _Z6kernelI14subtract_rightLj256ELj4ELb0EJPaS1_jEEvDpT3_.private_seg_size, 0
	.set _Z6kernelI14subtract_rightLj256ELj4ELb0EJPaS1_jEEvDpT3_.uses_vcc, 1
	.set _Z6kernelI14subtract_rightLj256ELj4ELb0EJPaS1_jEEvDpT3_.uses_flat_scratch, 0
	.set _Z6kernelI14subtract_rightLj256ELj4ELb0EJPaS1_jEEvDpT3_.has_dyn_sized_stack, 0
	.set _Z6kernelI14subtract_rightLj256ELj4ELb0EJPaS1_jEEvDpT3_.has_recursion, 0
	.set _Z6kernelI14subtract_rightLj256ELj4ELb0EJPaS1_jEEvDpT3_.has_indirect_call, 0
	.section	.AMDGPU.csdata,"",@progbits
; Kernel info:
; codeLenInByte = 540
; TotalNumSgprs: 11
; NumVgprs: 11
; ScratchSize: 0
; MemoryBound: 0
; FloatMode: 240
; IeeeMode: 1
; LDSByteSize: 512 bytes/workgroup (compile time only)
; SGPRBlocks: 0
; VGPRBlocks: 0
; NumSGPRsForWavesPerEU: 11
; NumVGPRsForWavesPerEU: 11
; NamedBarCnt: 0
; Occupancy: 16
; WaveLimiterHint : 1
; COMPUTE_PGM_RSRC2:SCRATCH_EN: 0
; COMPUTE_PGM_RSRC2:USER_SGPR: 2
; COMPUTE_PGM_RSRC2:TRAP_HANDLER: 0
; COMPUTE_PGM_RSRC2:TGID_X_EN: 1
; COMPUTE_PGM_RSRC2:TGID_Y_EN: 0
; COMPUTE_PGM_RSRC2:TGID_Z_EN: 0
; COMPUTE_PGM_RSRC2:TIDIG_COMP_CNT: 0
	.section	.text._Z6kernelI14subtract_rightLj256ELj8ELb0EJPaS1_jEEvDpT3_,"axG",@progbits,_Z6kernelI14subtract_rightLj256ELj8ELb0EJPaS1_jEEvDpT3_,comdat
	.protected	_Z6kernelI14subtract_rightLj256ELj8ELb0EJPaS1_jEEvDpT3_ ; -- Begin function _Z6kernelI14subtract_rightLj256ELj8ELb0EJPaS1_jEEvDpT3_
	.globl	_Z6kernelI14subtract_rightLj256ELj8ELb0EJPaS1_jEEvDpT3_
	.p2align	8
	.type	_Z6kernelI14subtract_rightLj256ELj8ELb0EJPaS1_jEEvDpT3_,@function
_Z6kernelI14subtract_rightLj256ELj8ELb0EJPaS1_jEEvDpT3_: ; @_Z6kernelI14subtract_rightLj256ELj8ELb0EJPaS1_jEEvDpT3_
; %bb.0:
	s_load_b128 s[4:7], s[0:1], 0x0
	s_bfe_u32 s2, ttmp6, 0x4000c
	s_and_b32 s3, ttmp6, 15
	s_add_co_i32 s2, s2, 1
	s_getreg_b32 s8, hwreg(HW_REG_IB_STS2, 6, 4)
	s_mul_i32 s2, ttmp9, s2
	s_wait_xcnt 0x0
	s_load_b32 s0, s[0:1], 0x10
	s_add_co_i32 s3, s3, s2
	s_cmp_eq_u32 s8, 0
	s_cselect_b32 s2, ttmp9, s3
	s_mov_b32 s3, 0
	s_lshl_b32 s2, s2, 11
	s_wait_kmcnt 0x0
	s_add_nc_u64 s[4:5], s[4:5], s[2:3]
	s_clause 0x7
	global_load_u8 v1, v0, s[4:5] offset:256
	global_load_u8 v2, v0, s[4:5] offset:1536
	;; [unrolled: 1-line block ×4, first 2 shown]
	global_load_u8 v5, v0, s[4:5]
	global_load_u8 v6, v0, s[4:5] offset:768
	global_load_u8 v7, v0, s[4:5] offset:1280
	;; [unrolled: 1-line block ×3, first 2 shown]
	s_cmp_eq_u32 s0, 0
	s_wait_loadcnt 0x3
	v_perm_b32 v5, v5, v1, 0xc0c0004
	s_wait_loadcnt 0x2
	v_perm_b32 v4, v4, v6, 0xc0c0004
	s_wait_loadcnt 0x1
	v_perm_b32 v6, v3, v7, 0xc0c0004
	s_wait_loadcnt 0x0
	v_perm_b32 v2, v2, v8, 0xc0c0004
	v_mov_b32_e32 v1, 0
	v_lshl_or_b32 v3, v4, 16, v5
	s_delay_alu instid0(VALU_DEP_3)
	v_lshl_or_b32 v2, v2, 16, v6
	s_cbranch_scc1 .LBB75_5
; %bb.1:
	v_cmp_ne_u32_e32 vcc_lo, 0xff, v0
	s_branch .LBB75_3
.LBB75_2:                               ;   in Loop: Header=BB75_3 Depth=1
	s_or_b32 exec_lo, exec_lo, s1
	s_delay_alu instid0(VALU_DEP_2) | instskip(NEXT) | instid1(VALU_DEP_2)
	v_lshrrev_b16 v11, 8, v10
	v_dual_lshrrev_b32 v13, 24, v12 :: v_dual_lshrrev_b32 v15, 16, v10
	v_lshrrev_b16 v9, 8, v2
	v_lshrrev_b16 v14, 8, v12
	s_delay_alu instid0(VALU_DEP_4) | instskip(NEXT) | instid1(VALU_DEP_4)
	v_add_nc_u16 v6, v11, v6
	v_add_nc_u16 v8, v13, v8
	v_dual_lshrrev_b32 v11, 24, v10 :: v_dual_lshrrev_b32 v13, 16, v12
	s_delay_alu instid0(VALU_DEP_4) | instskip(NEXT) | instid1(VALU_DEP_4)
	v_add_nc_u16 v9, v14, v9
	v_lshlrev_b16 v6, 8, v6
	s_delay_alu instid0(VALU_DEP_4) | instskip(SKIP_3) | instid1(VALU_DEP_4)
	v_lshlrev_b16 v8, 8, v8
	v_add_nc_u16 v3, v10, v3
	v_add_nc_u16 v7, v13, v7
	v_lshlrev_b16 v9, 8, v9
	v_dual_lshrrev_b32 v6, 8, v6 :: v_dual_lshrrev_b32 v8, 8, v8
	v_add_nc_u16 v5, v11, v5
	v_add_nc_u16 v4, v15, v4
	;; [unrolled: 1-line block ×3, first 2 shown]
	s_delay_alu instid0(VALU_DEP_4) | instskip(SKIP_3) | instid1(VALU_DEP_3)
	v_lshlrev_b16 v6, 8, v6
	v_lshlrev_b16 v8, 8, v8
	;; [unrolled: 1-line block ×3, first 2 shown]
	s_add_co_i32 s0, s0, -1
	v_bitop3_b16 v3, v3, v6, 0xff bitop3:0xec
	s_delay_alu instid0(VALU_DEP_3)
	v_bitop3_b16 v6, v7, v8, 0xff bitop3:0xec
	v_lshrrev_b32_e32 v9, 8, v9
	v_perm_b32 v4, v4, v5, 0xc0c0104
	s_cmp_lg_u32 s0, 0
	v_and_b32_e32 v3, 0xffff, v3
	v_lshlrev_b32_e32 v5, 16, v6
	v_lshlrev_b16 v9, 8, v9
	s_barrier_signal -1
	s_barrier_wait -1
	v_lshl_or_b32 v3, v4, 16, v3
	s_delay_alu instid0(VALU_DEP_2) | instskip(NEXT) | instid1(VALU_DEP_1)
	v_bitop3_b16 v2, v2, v9, 0xff bitop3:0xec
	v_and_b32_e32 v2, 0xffff, v2
	s_delay_alu instid0(VALU_DEP_1)
	v_or_b32_e32 v2, v2, v5
	s_cbranch_scc0 .LBB75_5
.LBB75_3:                               ; =>This Inner Loop Header: Depth=1
	v_lshrrev_b16 v6, 8, v3
	v_dual_lshrrev_b32 v4, 16, v3 :: v_dual_lshrrev_b32 v7, 8, v3
	s_delay_alu instid0(VALU_DEP_3)
	v_dual_lshrrev_b32 v5, 24, v3 :: v_dual_lshrrev_b32 v12, 8, v2
	ds_store_b8 v0, v3 offset:256
	v_sub_nc_u16 v8, v6, v4
	v_sub_nc_u16 v7, v3, v7
	;; [unrolled: 1-line block ×4, first 2 shown]
	s_wait_dscnt 0x0
	v_lshlrev_b16 v8, 8, v8
	s_barrier_signal -1
	v_lshlrev_b16 v11, 8, v9
	s_barrier_wait -1
	s_delay_alu instid0(VALU_DEP_2) | instskip(SKIP_1) | instid1(VALU_DEP_2)
	v_bitop3_b16 v10, v7, v8, 0xff bitop3:0xec
	v_dual_lshrrev_b32 v7, 16, v2 :: v_dual_lshrrev_b32 v8, 24, v2
	v_and_b32_e32 v9, 0xffff, v10
	v_lshrrev_b32_e32 v14, 8, v11
	v_bitop3_b16 v11, v13, v11, 0xff bitop3:0xec
	s_delay_alu instid0(VALU_DEP_4) | instskip(NEXT) | instid1(VALU_DEP_4)
	v_sub_nc_u16 v16, v7, v8
	v_lshrrev_b32_e32 v15, 8, v9
	s_delay_alu instid0(VALU_DEP_4) | instskip(NEXT) | instid1(VALU_DEP_2)
	v_lshlrev_b16 v13, 8, v14
	v_lshlrev_b16 v14, 8, v15
	v_sub_nc_u16 v15, v12, v7
	v_sub_nc_u16 v12, v2, v12
	s_delay_alu instid0(VALU_DEP_4) | instskip(SKIP_3) | instid1(VALU_DEP_4)
	v_bitop3_b16 v17, v11, v13, 0xff bitop3:0xec
	v_perm_b32 v13, v16, v2, 0xc0c0304
	v_bitop3_b16 v10, v10, v14, 0xff bitop3:0xec
	v_lshlrev_b16 v14, 8, v15
	v_lshlrev_b32_e32 v15, 16, v17
	s_delay_alu instid0(VALU_DEP_3) | instskip(NEXT) | instid1(VALU_DEP_3)
	v_and_b32_e32 v10, 0xffff, v10
	v_bitop3_b16 v14, v12, v14, 0xff bitop3:0xec
	s_delay_alu instid0(VALU_DEP_2) | instskip(NEXT) | instid1(VALU_DEP_2)
	v_or_b32_e32 v10, v10, v15
	v_perm_b32 v12, v14, v13, 0x1000504
	s_and_saveexec_b32 s1, vcc_lo
	s_cbranch_execz .LBB75_2
; %bb.4:                                ;   in Loop: Header=BB75_3 Depth=1
	ds_load_u8 v10, v0 offset:257
	v_and_b32_e32 v12, 0xffff, v14
	v_lshlrev_b32_e32 v11, 16, v11
	s_delay_alu instid0(VALU_DEP_2) | instskip(NEXT) | instid1(VALU_DEP_1)
	v_lshl_or_b32 v12, v13, 16, v12
	v_dual_lshrrev_b32 v13, 8, v12 :: v_dual_lshrrev_b32 v14, 16, v12
	s_delay_alu instid0(VALU_DEP_1) | instskip(SKIP_2) | instid1(VALU_DEP_2)
	v_lshlrev_b16 v13, 8, v13
	s_wait_dscnt 0x0
	v_sub_nc_u16 v10, v8, v10
	v_bitop3_b16 v12, v12, v13, 0xff bitop3:0xec
	s_delay_alu instid0(VALU_DEP_2) | instskip(NEXT) | instid1(VALU_DEP_2)
	v_lshlrev_b16 v10, 8, v10
	v_and_b32_e32 v12, 0xffff, v12
	s_delay_alu instid0(VALU_DEP_2) | instskip(NEXT) | instid1(VALU_DEP_1)
	v_bitop3_b16 v10, v14, v10, 0xff bitop3:0xec
	v_dual_lshlrev_b32 v11, 16, v10 :: v_dual_bitop2_b32 v9, v9, v11 bitop3:0x54
	s_delay_alu instid0(VALU_DEP_1) | instskip(NEXT) | instid1(VALU_DEP_2)
	v_perm_b32 v10, v9, v9, 0x3020104
	v_or_b32_e32 v12, v12, v11
	s_branch .LBB75_2
.LBB75_5:
	s_add_nc_u64 s[0:1], s[6:7], s[2:3]
	s_delay_alu instid0(VALU_DEP_2)
	v_dual_lshrrev_b32 v4, 8, v3 :: v_dual_lshrrev_b32 v5, 24, v3
	v_add_nc_u64_e32 v[0:1], s[0:1], v[0:1]
	v_dual_lshrrev_b32 v6, 8, v2 :: v_dual_lshrrev_b32 v7, 24, v2
	s_clause 0x7
	global_store_b8 v[0:1], v3, off
	global_store_b8 v[0:1], v4, off offset:256
	global_store_d16_hi_b8 v[0:1], v3, off offset:512
	global_store_b8 v[0:1], v5, off offset:768
	global_store_b8 v[0:1], v2, off offset:1024
	;; [unrolled: 1-line block ×3, first 2 shown]
	global_store_d16_hi_b8 v[0:1], v2, off offset:1536
	global_store_b8 v[0:1], v7, off offset:1792
	s_endpgm
	.section	.rodata,"a",@progbits
	.p2align	6, 0x0
	.amdhsa_kernel _Z6kernelI14subtract_rightLj256ELj8ELb0EJPaS1_jEEvDpT3_
		.amdhsa_group_segment_fixed_size 512
		.amdhsa_private_segment_fixed_size 0
		.amdhsa_kernarg_size 20
		.amdhsa_user_sgpr_count 2
		.amdhsa_user_sgpr_dispatch_ptr 0
		.amdhsa_user_sgpr_queue_ptr 0
		.amdhsa_user_sgpr_kernarg_segment_ptr 1
		.amdhsa_user_sgpr_dispatch_id 0
		.amdhsa_user_sgpr_kernarg_preload_length 0
		.amdhsa_user_sgpr_kernarg_preload_offset 0
		.amdhsa_user_sgpr_private_segment_size 0
		.amdhsa_wavefront_size32 1
		.amdhsa_uses_dynamic_stack 0
		.amdhsa_enable_private_segment 0
		.amdhsa_system_sgpr_workgroup_id_x 1
		.amdhsa_system_sgpr_workgroup_id_y 0
		.amdhsa_system_sgpr_workgroup_id_z 0
		.amdhsa_system_sgpr_workgroup_info 0
		.amdhsa_system_vgpr_workitem_id 0
		.amdhsa_next_free_vgpr 18
		.amdhsa_next_free_sgpr 9
		.amdhsa_named_barrier_count 0
		.amdhsa_reserve_vcc 1
		.amdhsa_float_round_mode_32 0
		.amdhsa_float_round_mode_16_64 0
		.amdhsa_float_denorm_mode_32 3
		.amdhsa_float_denorm_mode_16_64 3
		.amdhsa_fp16_overflow 0
		.amdhsa_memory_ordered 1
		.amdhsa_forward_progress 1
		.amdhsa_inst_pref_size 10
		.amdhsa_round_robin_scheduling 0
		.amdhsa_exception_fp_ieee_invalid_op 0
		.amdhsa_exception_fp_denorm_src 0
		.amdhsa_exception_fp_ieee_div_zero 0
		.amdhsa_exception_fp_ieee_overflow 0
		.amdhsa_exception_fp_ieee_underflow 0
		.amdhsa_exception_fp_ieee_inexact 0
		.amdhsa_exception_int_div_zero 0
	.end_amdhsa_kernel
	.section	.text._Z6kernelI14subtract_rightLj256ELj8ELb0EJPaS1_jEEvDpT3_,"axG",@progbits,_Z6kernelI14subtract_rightLj256ELj8ELb0EJPaS1_jEEvDpT3_,comdat
.Lfunc_end75:
	.size	_Z6kernelI14subtract_rightLj256ELj8ELb0EJPaS1_jEEvDpT3_, .Lfunc_end75-_Z6kernelI14subtract_rightLj256ELj8ELb0EJPaS1_jEEvDpT3_
                                        ; -- End function
	.set _Z6kernelI14subtract_rightLj256ELj8ELb0EJPaS1_jEEvDpT3_.num_vgpr, 18
	.set _Z6kernelI14subtract_rightLj256ELj8ELb0EJPaS1_jEEvDpT3_.num_agpr, 0
	.set _Z6kernelI14subtract_rightLj256ELj8ELb0EJPaS1_jEEvDpT3_.numbered_sgpr, 9
	.set _Z6kernelI14subtract_rightLj256ELj8ELb0EJPaS1_jEEvDpT3_.num_named_barrier, 0
	.set _Z6kernelI14subtract_rightLj256ELj8ELb0EJPaS1_jEEvDpT3_.private_seg_size, 0
	.set _Z6kernelI14subtract_rightLj256ELj8ELb0EJPaS1_jEEvDpT3_.uses_vcc, 1
	.set _Z6kernelI14subtract_rightLj256ELj8ELb0EJPaS1_jEEvDpT3_.uses_flat_scratch, 0
	.set _Z6kernelI14subtract_rightLj256ELj8ELb0EJPaS1_jEEvDpT3_.has_dyn_sized_stack, 0
	.set _Z6kernelI14subtract_rightLj256ELj8ELb0EJPaS1_jEEvDpT3_.has_recursion, 0
	.set _Z6kernelI14subtract_rightLj256ELj8ELb0EJPaS1_jEEvDpT3_.has_indirect_call, 0
	.section	.AMDGPU.csdata,"",@progbits
; Kernel info:
; codeLenInByte = 1204
; TotalNumSgprs: 11
; NumVgprs: 18
; ScratchSize: 0
; MemoryBound: 0
; FloatMode: 240
; IeeeMode: 1
; LDSByteSize: 512 bytes/workgroup (compile time only)
; SGPRBlocks: 0
; VGPRBlocks: 1
; NumSGPRsForWavesPerEU: 11
; NumVGPRsForWavesPerEU: 18
; NamedBarCnt: 0
; Occupancy: 16
; WaveLimiterHint : 1
; COMPUTE_PGM_RSRC2:SCRATCH_EN: 0
; COMPUTE_PGM_RSRC2:USER_SGPR: 2
; COMPUTE_PGM_RSRC2:TRAP_HANDLER: 0
; COMPUTE_PGM_RSRC2:TGID_X_EN: 1
; COMPUTE_PGM_RSRC2:TGID_Y_EN: 0
; COMPUTE_PGM_RSRC2:TGID_Z_EN: 0
; COMPUTE_PGM_RSRC2:TIDIG_COMP_CNT: 0
	.section	.text._Z6kernelI14subtract_rightLj256ELj16ELb0EJPaS1_jEEvDpT3_,"axG",@progbits,_Z6kernelI14subtract_rightLj256ELj16ELb0EJPaS1_jEEvDpT3_,comdat
	.protected	_Z6kernelI14subtract_rightLj256ELj16ELb0EJPaS1_jEEvDpT3_ ; -- Begin function _Z6kernelI14subtract_rightLj256ELj16ELb0EJPaS1_jEEvDpT3_
	.globl	_Z6kernelI14subtract_rightLj256ELj16ELb0EJPaS1_jEEvDpT3_
	.p2align	8
	.type	_Z6kernelI14subtract_rightLj256ELj16ELb0EJPaS1_jEEvDpT3_,@function
_Z6kernelI14subtract_rightLj256ELj16ELb0EJPaS1_jEEvDpT3_: ; @_Z6kernelI14subtract_rightLj256ELj16ELb0EJPaS1_jEEvDpT3_
; %bb.0:
	s_load_b128 s[4:7], s[0:1], 0x0
	s_bfe_u32 s2, ttmp6, 0x4000c
	s_and_b32 s3, ttmp6, 15
	s_add_co_i32 s2, s2, 1
	s_getreg_b32 s8, hwreg(HW_REG_IB_STS2, 6, 4)
	s_mul_i32 s2, ttmp9, s2
	s_wait_xcnt 0x0
	s_load_b32 s0, s[0:1], 0x10
	s_add_co_i32 s3, s3, s2
	s_cmp_eq_u32 s8, 0
	s_cselect_b32 s2, ttmp9, s3
	s_mov_b32 s3, 0
	s_lshl_b32 s2, s2, 12
	s_wait_kmcnt 0x0
	s_add_nc_u64 s[4:5], s[4:5], s[2:3]
	s_clause 0xf
	global_load_u8 v1, v0, s[4:5] offset:256
	global_load_u8 v2, v0, s[4:5] offset:768
	global_load_u8 v3, v0, s[4:5] offset:1280
	global_load_u8 v4, v0, s[4:5] offset:1792
	global_load_u8 v5, v0, s[4:5] offset:1536
	global_load_u8 v6, v0, s[4:5] offset:1024
	global_load_u8 v7, v0, s[4:5] offset:512
	global_load_u8 v8, v0, s[4:5]
	global_load_u8 v9, v0, s[4:5] offset:2304
	global_load_u8 v10, v0, s[4:5] offset:3584
	;; [unrolled: 1-line block ×8, first 2 shown]
	s_cmp_eq_u32 s0, 0
	s_wait_loadcnt 0xb
	v_perm_b32 v4, v5, v4, 0xc0c0004
	s_wait_loadcnt 0xa
	v_perm_b32 v3, v6, v3, 0xc0c0004
	s_wait_loadcnt 0x9
	v_perm_b32 v2, v7, v2, 0xc0c0004
	s_wait_loadcnt 0x8
	v_perm_b32 v8, v8, v1, 0xc0c0004
	v_mov_b32_e32 v1, 0
	v_lshl_or_b32 v4, v4, 16, v3
	s_wait_loadcnt 0x3
	v_perm_b32 v6, v13, v9, 0xc0c0004
	s_wait_loadcnt 0x2
	v_perm_b32 v7, v12, v14, 0xc0c0004
	;; [unrolled: 2-line block ×4, first 2 shown]
	v_lshl_or_b32 v5, v2, 16, v8
	v_lshl_or_b32 v3, v7, 16, v6
	s_delay_alu instid0(VALU_DEP_3)
	v_lshl_or_b32 v2, v10, 16, v9
	s_cbranch_scc1 .LBB76_5
; %bb.1:
	v_cmp_ne_u32_e32 vcc_lo, 0xff, v0
	s_branch .LBB76_3
.LBB76_2:                               ;   in Loop: Header=BB76_3 Depth=1
	s_or_b32 exec_lo, exec_lo, s1
	v_lshrrev_b16 v16, 8, v2
	s_delay_alu instid0(VALU_DEP_2) | instskip(SKIP_3) | instid1(VALU_DEP_4)
	v_lshrrev_b16 v17, 8, v26
	v_dual_lshrrev_b32 v25, 24, v22 :: v_dual_lshrrev_b32 v27, 16, v22
	v_lshrrev_b16 v28, 8, v22
	v_dual_lshrrev_b32 v19, 16, v21 :: v_dual_lshrrev_b32 v20, 24, v21
	v_add_nc_u16 v16, v17, v16
	v_dual_lshrrev_b32 v17, 24, v26 :: v_dual_lshrrev_b32 v29, 16, v24
	s_delay_alu instid0(VALU_DEP_4) | instskip(SKIP_2) | instid1(VALU_DEP_4)
	v_add_nc_u16 v11, v28, v11
	v_add_nc_u16 v10, v25, v10
	v_lshrrev_b16 v23, 8, v21
	v_add_nc_u16 v17, v17, v18
	v_lshlrev_b16 v16, 8, v16
	v_lshlrev_b16 v11, 8, v11
	;; [unrolled: 1-line block ×3, first 2 shown]
	v_add_nc_u16 v12, v20, v12
	v_lshlrev_b16 v17, 8, v17
	v_dual_lshrrev_b32 v18, 16, v26 :: v_dual_lshrrev_b32 v31, 24, v24
	s_delay_alu instid0(VALU_DEP_4) | instskip(SKIP_1) | instid1(VALU_DEP_4)
	v_dual_lshrrev_b32 v11, 8, v11 :: v_dual_lshrrev_b32 v10, 8, v10
	v_lshrrev_b16 v30, 8, v24
	v_dual_lshrrev_b32 v16, 8, v16 :: v_dual_lshrrev_b32 v17, 8, v17
	v_add_nc_u16 v8, v23, v8
	v_add_nc_u16 v7, v27, v7
	v_lshlrev_b16 v12, 8, v12
	v_add_nc_u16 v6, v19, v6
	v_lshlrev_b16 v10, 8, v10
	v_add_nc_u16 v14, v18, v14
	v_add_nc_u16 v13, v30, v13
	;; [unrolled: 1-line block ×3, first 2 shown]
	v_lshlrev_b16 v8, 8, v8
	v_add_nc_u16 v2, v26, v2
	v_add_nc_u16 v4, v22, v4
	;; [unrolled: 1-line block ×3, first 2 shown]
	v_lshlrev_b16 v11, 8, v11
	v_perm_b32 v6, v6, v12, 0xc0c0104
	v_bitop3_b16 v7, v7, v10, 0xff bitop3:0xec
	v_lshlrev_b16 v10, 8, v17
	v_lshlrev_b16 v12, 8, v16
	;; [unrolled: 1-line block ×4, first 2 shown]
	v_add_nc_u16 v9, v29, v9
	v_add_nc_u16 v3, v24, v3
	v_bitop3_b16 v4, v4, v11, 0xff bitop3:0xec
	v_perm_b32 v5, v5, v8, 0xc0c0104
	v_bitop3_b16 v8, v14, v10, 0xff bitop3:0xec
	v_bitop3_b16 v2, v2, v12, 0xff bitop3:0xec
	v_lshlrev_b32_e32 v7, 16, v7
	v_and_b32_e32 v4, 0xffff, v4
	v_perm_b32 v9, v9, v15, 0xc0c0104
	v_perm_b32 v3, v3, v13, 0xc0c0104
	v_lshlrev_b32_e32 v8, 16, v8
	v_and_b32_e32 v2, 0xffff, v2
	v_lshl_or_b32 v5, v6, 16, v5
	v_or_b32_e32 v4, v4, v7
	v_lshl_or_b32 v3, v9, 16, v3
	s_add_co_i32 s0, s0, -1
	v_or_b32_e32 v2, v2, v8
	s_cmp_lg_u32 s0, 0
	s_barrier_signal -1
	s_barrier_wait -1
	s_cbranch_scc0 .LBB76_5
.LBB76_3:                               ; =>This Inner Loop Header: Depth=1
	v_lshrrev_b16 v8, 8, v5
	v_dual_lshrrev_b32 v6, 16, v5 :: v_dual_lshrrev_b32 v7, 16, v4
	v_lshrrev_b16 v11, 8, v4
	v_dual_lshrrev_b32 v15, 8, v4 :: v_dual_lshrrev_b32 v10, 24, v4
	v_dual_lshrrev_b32 v9, 16, v3 :: v_dual_lshrrev_b32 v16, 8, v5
	s_delay_alu instid0(VALU_DEP_4) | instskip(NEXT) | instid1(VALU_DEP_4)
	v_sub_nc_u16 v14, v8, v6
	v_sub_nc_u16 v17, v11, v7
	v_lshrrev_b16 v13, 8, v3
	v_dual_lshrrev_b32 v18, 8, v2 :: v_dual_lshrrev_b32 v12, 24, v5
	s_delay_alu instid0(VALU_DEP_4)
	v_lshlrev_b16 v19, 8, v14
	v_sub_nc_u16 v16, v5, v16
	v_lshlrev_b16 v17, 8, v17
	v_sub_nc_u16 v15, v4, v15
	v_sub_nc_u16 v22, v10, v3
	v_dual_lshrrev_b32 v14, 16, v2 :: v_dual_lshrrev_b32 v25, 8, v3
	v_sub_nc_u16 v20, v12, v4
	v_bitop3_b16 v21, v16, v19, 0xff bitop3:0xec
	v_bitop3_b16 v26, v15, v17, 0xff bitop3:0xec
	v_sub_nc_u16 v15, v7, v10
	v_lshlrev_b16 v22, 8, v22
	v_sub_nc_u16 v23, v13, v9
	v_lshlrev_b16 v24, 8, v20
	v_and_b32_e32 v16, 0xffff, v21
	v_and_b32_e32 v17, 0xffff, v26
	v_bitop3_b16 v20, v15, v22, 0xff bitop3:0xec
	v_lshrrev_b32_e32 v15, 24, v3
	v_lshlrev_b16 v23, 8, v23
	v_sub_nc_u16 v25, v3, v25
	v_dual_lshrrev_b32 v28, 8, v17 :: v_dual_lshrrev_b32 v22, 8, v22
	v_lshrrev_b32_e32 v29, 8, v16
	v_sub_nc_u16 v27, v15, v2
	v_sub_nc_u16 v30, v18, v14
	v_bitop3_b16 v31, v25, v23, 0xff bitop3:0xec
	v_sub_nc_u16 v19, v6, v12
	v_sub_nc_u16 v25, v9, v15
	v_lshlrev_b16 v32, 8, v27
	v_lshlrev_b16 v27, 8, v29
	;; [unrolled: 1-line block ×3, first 2 shown]
	v_sub_nc_u16 v30, v2, v18
	v_and_b32_e32 v23, 0xffff, v31
	v_bitop3_b16 v19, v19, v24, 0xff bitop3:0xec
	v_dual_lshrrev_b32 v18, 24, v2 :: v_dual_lshrrev_b32 v24, 8, v24
	v_bitop3_b16 v21, v21, v27, 0xff bitop3:0xec
	v_bitop3_b16 v25, v25, v32, 0xff bitop3:0xec
	;; [unrolled: 1-line block ×3, first 2 shown]
	v_dual_lshrrev_b32 v30, 8, v23 :: v_dual_lshrrev_b32 v32, 8, v32
	v_lshlrev_b16 v24, 8, v24
	v_lshlrev_b16 v28, 8, v28
	;; [unrolled: 1-line block ×3, first 2 shown]
	s_delay_alu instid0(VALU_DEP_4)
	v_lshlrev_b16 v30, 8, v30
	v_lshlrev_b16 v32, 8, v32
	v_sub_nc_u16 v29, v14, v18
	v_bitop3_b16 v24, v19, v24, 0xff bitop3:0xec
	v_bitop3_b16 v26, v26, v28, 0xff bitop3:0xec
	;; [unrolled: 1-line block ×5, first 2 shown]
	v_and_b32_e32 v21, 0xffff, v21
	s_delay_alu instid0(VALU_DEP_4) | instskip(SKIP_2) | instid1(VALU_DEP_3)
	v_dual_lshlrev_b32 v24, 16, v24 :: v_dual_lshlrev_b32 v22, 16, v22
	v_and_b32_e32 v26, 0xffff, v26
	v_and_b32_e32 v31, 0xffff, v28
	v_dual_lshlrev_b32 v30, 16, v30 :: v_dual_bitop2_b32 v21, v21, v24 bitop3:0x54
	v_perm_b32 v28, v29, v2, 0xc0c0304
	s_delay_alu instid0(VALU_DEP_4)
	v_or_b32_e32 v22, v26, v22
	ds_store_b8 v0, v5 offset:256
	v_or_b32_e32 v24, v31, v30
	s_wait_dscnt 0x0
	v_perm_b32 v26, v27, v28, 0x1000504
	s_barrier_signal -1
	s_barrier_wait -1
	s_and_saveexec_b32 s1, vcc_lo
	s_cbranch_execz .LBB76_2
; %bb.4:                                ;   in Loop: Header=BB76_3 Depth=1
	ds_load_u8 v21, v0 offset:257
	v_and_b32_e32 v22, 0xffff, v27
	v_dual_lshlrev_b32 v19, 16, v19 :: v_dual_lshlrev_b32 v20, 16, v20
	s_delay_alu instid0(VALU_DEP_2) | instskip(NEXT) | instid1(VALU_DEP_1)
	v_lshl_or_b32 v22, v28, 16, v22
	v_dual_lshrrev_b32 v24, 8, v22 :: v_dual_lshrrev_b32 v26, 16, v22
	s_delay_alu instid0(VALU_DEP_1) | instskip(SKIP_2) | instid1(VALU_DEP_2)
	v_lshlrev_b16 v24, 8, v24
	s_wait_dscnt 0x0
	v_sub_nc_u16 v21, v18, v21
	v_bitop3_b16 v22, v22, v24, 0xff bitop3:0xec
	v_lshlrev_b32_e32 v24, 16, v25
	s_delay_alu instid0(VALU_DEP_3) | instskip(NEXT) | instid1(VALU_DEP_1)
	v_lshlrev_b16 v21, 8, v21
	v_bitop3_b16 v21, v26, v21, 0xff bitop3:0xec
	s_delay_alu instid0(VALU_DEP_4) | instskip(NEXT) | instid1(VALU_DEP_2)
	v_and_b32_e32 v26, 0xffff, v22
	v_dual_lshlrev_b32 v25, 16, v21 :: v_dual_bitop2_b32 v22, v17, v20 bitop3:0x54
	v_or_b32_e32 v21, v16, v19
	v_or_b32_e32 v24, v23, v24
	s_delay_alu instid0(VALU_DEP_3)
	v_or_b32_e32 v26, v26, v25
	s_branch .LBB76_2
.LBB76_5:
	s_add_nc_u64 s[0:1], s[6:7], s[2:3]
	v_dual_lshrrev_b32 v6, 8, v5 :: v_dual_lshrrev_b32 v7, 24, v5
	v_add_nc_u64_e32 v[0:1], s[0:1], v[0:1]
	v_dual_lshrrev_b32 v8, 8, v4 :: v_dual_lshrrev_b32 v9, 24, v4
	s_clause 0x7
	global_store_b8 v[0:1], v5, off
	global_store_b8 v[0:1], v6, off offset:256
	global_store_d16_hi_b8 v[0:1], v5, off offset:512
	global_store_b8 v[0:1], v7, off offset:768
	global_store_b8 v[0:1], v4, off offset:1024
	;; [unrolled: 1-line block ×3, first 2 shown]
	global_store_d16_hi_b8 v[0:1], v4, off offset:1536
	global_store_b8 v[0:1], v9, off offset:1792
	s_wait_xcnt 0x1
	v_dual_lshrrev_b32 v4, 8, v3 :: v_dual_lshrrev_b32 v5, 24, v3
	v_dual_lshrrev_b32 v6, 8, v2 :: v_dual_lshrrev_b32 v7, 24, v2
	s_clause 0x7
	global_store_b8 v[0:1], v3, off offset:2048
	global_store_b8 v[0:1], v4, off offset:2304
	global_store_d16_hi_b8 v[0:1], v3, off offset:2560
	global_store_b8 v[0:1], v5, off offset:2816
	global_store_b8 v[0:1], v2, off offset:3072
	;; [unrolled: 1-line block ×3, first 2 shown]
	global_store_d16_hi_b8 v[0:1], v2, off offset:3584
	global_store_b8 v[0:1], v7, off offset:3840
	s_endpgm
	.section	.rodata,"a",@progbits
	.p2align	6, 0x0
	.amdhsa_kernel _Z6kernelI14subtract_rightLj256ELj16ELb0EJPaS1_jEEvDpT3_
		.amdhsa_group_segment_fixed_size 512
		.amdhsa_private_segment_fixed_size 0
		.amdhsa_kernarg_size 20
		.amdhsa_user_sgpr_count 2
		.amdhsa_user_sgpr_dispatch_ptr 0
		.amdhsa_user_sgpr_queue_ptr 0
		.amdhsa_user_sgpr_kernarg_segment_ptr 1
		.amdhsa_user_sgpr_dispatch_id 0
		.amdhsa_user_sgpr_kernarg_preload_length 0
		.amdhsa_user_sgpr_kernarg_preload_offset 0
		.amdhsa_user_sgpr_private_segment_size 0
		.amdhsa_wavefront_size32 1
		.amdhsa_uses_dynamic_stack 0
		.amdhsa_enable_private_segment 0
		.amdhsa_system_sgpr_workgroup_id_x 1
		.amdhsa_system_sgpr_workgroup_id_y 0
		.amdhsa_system_sgpr_workgroup_id_z 0
		.amdhsa_system_sgpr_workgroup_info 0
		.amdhsa_system_vgpr_workitem_id 0
		.amdhsa_next_free_vgpr 33
		.amdhsa_next_free_sgpr 9
		.amdhsa_named_barrier_count 0
		.amdhsa_reserve_vcc 1
		.amdhsa_float_round_mode_32 0
		.amdhsa_float_round_mode_16_64 0
		.amdhsa_float_denorm_mode_32 3
		.amdhsa_float_denorm_mode_16_64 3
		.amdhsa_fp16_overflow 0
		.amdhsa_memory_ordered 1
		.amdhsa_forward_progress 1
		.amdhsa_inst_pref_size 17
		.amdhsa_round_robin_scheduling 0
		.amdhsa_exception_fp_ieee_invalid_op 0
		.amdhsa_exception_fp_denorm_src 0
		.amdhsa_exception_fp_ieee_div_zero 0
		.amdhsa_exception_fp_ieee_overflow 0
		.amdhsa_exception_fp_ieee_underflow 0
		.amdhsa_exception_fp_ieee_inexact 0
		.amdhsa_exception_int_div_zero 0
	.end_amdhsa_kernel
	.section	.text._Z6kernelI14subtract_rightLj256ELj16ELb0EJPaS1_jEEvDpT3_,"axG",@progbits,_Z6kernelI14subtract_rightLj256ELj16ELb0EJPaS1_jEEvDpT3_,comdat
.Lfunc_end76:
	.size	_Z6kernelI14subtract_rightLj256ELj16ELb0EJPaS1_jEEvDpT3_, .Lfunc_end76-_Z6kernelI14subtract_rightLj256ELj16ELb0EJPaS1_jEEvDpT3_
                                        ; -- End function
	.set _Z6kernelI14subtract_rightLj256ELj16ELb0EJPaS1_jEEvDpT3_.num_vgpr, 33
	.set _Z6kernelI14subtract_rightLj256ELj16ELb0EJPaS1_jEEvDpT3_.num_agpr, 0
	.set _Z6kernelI14subtract_rightLj256ELj16ELb0EJPaS1_jEEvDpT3_.numbered_sgpr, 9
	.set _Z6kernelI14subtract_rightLj256ELj16ELb0EJPaS1_jEEvDpT3_.num_named_barrier, 0
	.set _Z6kernelI14subtract_rightLj256ELj16ELb0EJPaS1_jEEvDpT3_.private_seg_size, 0
	.set _Z6kernelI14subtract_rightLj256ELj16ELb0EJPaS1_jEEvDpT3_.uses_vcc, 1
	.set _Z6kernelI14subtract_rightLj256ELj16ELb0EJPaS1_jEEvDpT3_.uses_flat_scratch, 0
	.set _Z6kernelI14subtract_rightLj256ELj16ELb0EJPaS1_jEEvDpT3_.has_dyn_sized_stack, 0
	.set _Z6kernelI14subtract_rightLj256ELj16ELb0EJPaS1_jEEvDpT3_.has_recursion, 0
	.set _Z6kernelI14subtract_rightLj256ELj16ELb0EJPaS1_jEEvDpT3_.has_indirect_call, 0
	.section	.AMDGPU.csdata,"",@progbits
; Kernel info:
; codeLenInByte = 2056
; TotalNumSgprs: 11
; NumVgprs: 33
; ScratchSize: 0
; MemoryBound: 0
; FloatMode: 240
; IeeeMode: 1
; LDSByteSize: 512 bytes/workgroup (compile time only)
; SGPRBlocks: 0
; VGPRBlocks: 2
; NumSGPRsForWavesPerEU: 11
; NumVGPRsForWavesPerEU: 33
; NamedBarCnt: 0
; Occupancy: 16
; WaveLimiterHint : 1
; COMPUTE_PGM_RSRC2:SCRATCH_EN: 0
; COMPUTE_PGM_RSRC2:USER_SGPR: 2
; COMPUTE_PGM_RSRC2:TRAP_HANDLER: 0
; COMPUTE_PGM_RSRC2:TGID_X_EN: 1
; COMPUTE_PGM_RSRC2:TGID_Y_EN: 0
; COMPUTE_PGM_RSRC2:TGID_Z_EN: 0
; COMPUTE_PGM_RSRC2:TIDIG_COMP_CNT: 0
	.section	.text._Z6kernelI14subtract_rightLj256ELj32ELb0EJPaS1_jEEvDpT3_,"axG",@progbits,_Z6kernelI14subtract_rightLj256ELj32ELb0EJPaS1_jEEvDpT3_,comdat
	.protected	_Z6kernelI14subtract_rightLj256ELj32ELb0EJPaS1_jEEvDpT3_ ; -- Begin function _Z6kernelI14subtract_rightLj256ELj32ELb0EJPaS1_jEEvDpT3_
	.globl	_Z6kernelI14subtract_rightLj256ELj32ELb0EJPaS1_jEEvDpT3_
	.p2align	8
	.type	_Z6kernelI14subtract_rightLj256ELj32ELb0EJPaS1_jEEvDpT3_,@function
_Z6kernelI14subtract_rightLj256ELj32ELb0EJPaS1_jEEvDpT3_: ; @_Z6kernelI14subtract_rightLj256ELj32ELb0EJPaS1_jEEvDpT3_
; %bb.0:
	s_load_b128 s[4:7], s[0:1], 0x0
	s_bfe_u32 s2, ttmp6, 0x4000c
	s_and_b32 s3, ttmp6, 15
	s_add_co_i32 s2, s2, 1
	s_getreg_b32 s8, hwreg(HW_REG_IB_STS2, 6, 4)
	s_mul_i32 s2, ttmp9, s2
	s_wait_xcnt 0x0
	s_load_b32 s0, s[0:1], 0x10
	s_add_co_i32 s3, s3, s2
	s_cmp_eq_u32 s8, 0
	v_mov_b32_e32 v1, 0
	s_cselect_b32 s2, ttmp9, s3
	s_mov_b32 s3, 0
	s_lshl_b32 s2, s2, 13
	s_wait_kmcnt 0x0
	s_add_nc_u64 s[4:5], s[4:5], s[2:3]
	s_clause 0x1f
	global_load_u8 v2, v0, s[4:5] offset:256
	global_load_u8 v3, v0, s[4:5] offset:768
	;; [unrolled: 1-line block ×7, first 2 shown]
	global_load_u8 v9, v0, s[4:5]
	global_load_u8 v10, v0, s[4:5] offset:2304
	global_load_u8 v11, v0, s[4:5] offset:2816
	;; [unrolled: 1-line block ×24, first 2 shown]
	s_cmp_eq_u32 s0, 0
	s_wait_loadcnt 0x1b
	v_perm_b32 v5, v6, v5, 0xc0c0004
	s_wait_loadcnt 0x1a
	v_perm_b32 v4, v7, v4, 0xc0c0004
	s_wait_loadcnt 0x19
	v_perm_b32 v3, v8, v3, 0xc0c0004
	s_wait_loadcnt 0x18
	v_perm_b32 v2, v9, v2, 0xc0c0004
	v_lshl_or_b32 v9, v5, 16, v4
	s_delay_alu instid0(VALU_DEP_2)
	v_lshl_or_b32 v8, v3, 16, v2
	s_wait_loadcnt 0x11
	v_perm_b32 v7, v16, v11, 0xc0c0004
	s_wait_loadcnt 0x10
	v_perm_b32 v6, v17, v10, 0xc0c0004
	v_perm_b32 v10, v15, v12, 0xc0c0004
	v_perm_b32 v11, v14, v13, 0xc0c0004
	s_wait_loadcnt 0xb
	v_perm_b32 v15, v22, v21, 0xc0c0004
	s_wait_loadcnt 0xa
	v_perm_b32 v14, v23, v20, 0xc0c0004
	;; [unrolled: 2-line block ×4, first 2 shown]
	v_lshl_or_b32 v6, v7, 16, v6
	v_lshl_or_b32 v7, v11, 16, v10
	;; [unrolled: 1-line block ×3, first 2 shown]
	s_wait_loadcnt 0x3
	v_perm_b32 v16, v30, v26, 0xc0c0004
	s_wait_loadcnt 0x2
	v_perm_b32 v17, v29, v31, 0xc0c0004
	;; [unrolled: 2-line block ×4, first 2 shown]
	v_lshl_or_b32 v4, v13, 16, v12
	v_lshl_or_b32 v2, v17, 16, v16
	s_delay_alu instid0(VALU_DEP_3)
	v_lshl_or_b32 v3, v19, 16, v18
	s_cbranch_scc1 .LBB77_5
; %bb.1:
	v_cmp_ne_u32_e32 vcc_lo, 0xff, v0
	s_branch .LBB77_3
.LBB77_2:                               ;   in Loop: Header=BB77_3 Depth=1
	s_or_b32 exec_lo, exec_lo, s1
	v_lshrrev_b64 v[12:13], 24, v[8:9]
	v_dual_lshrrev_b32 v36, 24, v9 :: v_dual_lshrrev_b32 v37, 8, v8
	v_lshrrev_b64 v[14:15], 24, v[2:3]
	v_lshrrev_b64 v[18:19], 24, v[6:7]
	v_dual_lshrrev_b32 v20, 8, v9 :: v_dual_lshrrev_b32 v21, 16, v9
	v_lshrrev_b32_e32 v13, 16, v8
	v_lshlrev_b16 v15, 1, v37
	v_lshlrev_b16 v19, 1, v12
	v_lshrrev_b64 v[16:17], 24, v[4:5]
	v_dual_lshrrev_b32 v34, 16, v6 :: v_dual_lshrrev_b32 v35, 8, v6
	v_lshlrev_b16 v17, 1, v13
	v_lshlrev_b16 v8, 1, v8
	;; [unrolled: 1-line block ×3, first 2 shown]
	v_sub_nc_u16 v13, v15, v13
	v_lshlrev_b16 v15, 1, v20
	v_sub_nc_u16 v19, v19, v9
	v_lshlrev_b16 v9, 1, v9
	v_dual_lshrrev_b32 v22, 8, v7 :: v_dual_lshrrev_b32 v23, 16, v7
	v_dual_lshrrev_b32 v32, 8, v4 :: v_dual_lshrrev_b32 v33, 24, v7
	v_sub_nc_u16 v8, v8, v37
	v_sub_nc_u16 v37, v38, v6
	;; [unrolled: 1-line block ×3, first 2 shown]
	v_lshlrev_b16 v21, 1, v21
	v_sub_nc_u16 v9, v9, v20
	v_lshlrev_b16 v20, 1, v35
	v_lshlrev_b16 v37, 8, v37
	v_sub_nc_u16 v12, v17, v12
	v_sub_nc_u16 v17, v21, v36
	v_lshlrev_b16 v36, 1, v34
	v_lshlrev_b16 v6, 1, v6
	;; [unrolled: 1-line block ×3, first 2 shown]
	v_sub_nc_u16 v20, v20, v34
	v_lshlrev_b16 v34, 1, v22
	v_lshrrev_b32_e32 v21, 8, v37
	v_lshlrev_b16 v37, 1, v18
	v_sub_nc_u16 v6, v6, v35
	v_sub_nc_u16 v35, v38, v4
	;; [unrolled: 1-line block ×3, first 2 shown]
	v_dual_lshrrev_b32 v24, 8, v5 :: v_dual_lshrrev_b32 v25, 16, v5
	v_dual_lshrrev_b32 v30, 24, v5 :: v_dual_lshrrev_b32 v31, 16, v4
	v_lshlrev_b16 v15, 8, v15
	v_sub_nc_u16 v37, v37, v7
	v_lshlrev_b16 v23, 1, v23
	v_lshlrev_b16 v35, 8, v35
	;; [unrolled: 1-line block ×5, first 2 shown]
	v_dual_lshrrev_b32 v26, 8, v3 :: v_dual_lshrrev_b32 v27, 16, v3
	v_lshlrev_b16 v13, 8, v13
	v_lshrrev_b32_e32 v15, 8, v15
	v_sub_nc_u16 v18, v36, v18
	v_sub_nc_u16 v23, v23, v33
	v_lshrrev_b32_e32 v33, 8, v35
	v_sub_nc_u16 v7, v7, v22
	v_lshrrev_b32_e32 v22, 8, v34
	v_lshlrev_b16 v34, 1, v32
	v_lshlrev_b16 v35, 1, v16
	;; [unrolled: 1-line block ×4, first 2 shown]
	v_sub_nc_u16 v4, v4, v32
	v_lshlrev_b16 v32, 1, v24
	v_dual_lshrrev_b32 v28, 16, v2 :: v_dual_lshrrev_b32 v29, 8, v2
	v_sub_nc_u16 v31, v34, v31
	v_sub_nc_u16 v34, v35, v5
	;; [unrolled: 1-line block ×3, first 2 shown]
	v_lshlrev_b16 v38, 1, v25
	v_sub_nc_u16 v25, v32, v25
	v_lshlrev_b16 v5, 1, v5
	v_sub_nc_u16 v16, v36, v16
	v_lshlrev_b16 v2, 1, v2
	v_lshlrev_b16 v36, 1, v26
	v_lshrrev_b32_e32 v13, 8, v13
	v_lshlrev_b16 v20, 8, v20
	v_lshlrev_b16 v25, 8, v25
	v_sub_nc_u16 v5, v5, v24
	v_lshlrev_b16 v24, 1, v29
	v_sub_nc_u16 v2, v2, v29
	v_sub_nc_u16 v29, v36, v27
	v_lshlrev_b16 v27, 1, v27
	v_lshlrev_b16 v13, 8, v13
	;; [unrolled: 1-line block ×5, first 2 shown]
	v_lshrrev_b32_e32 v25, 8, v25
	v_sub_nc_u16 v27, v27, v10
	v_add_nc_u16 v10, v11, v10
	v_bitop3_b16 v8, v8, v13, 0xff bitop3:0xec
	v_lshlrev_b16 v11, 8, v15
	v_lshlrev_b16 v13, 8, v21
	v_lshrrev_b32_e32 v15, 8, v20
	v_lshlrev_b16 v31, 8, v31
	v_sub_nc_u16 v35, v35, v3
	v_lshlrev_b16 v3, 1, v3
	v_lshlrev_b16 v29, 8, v29
	v_perm_b32 v12, v12, v19, 0xc0c0104
	v_and_b32_e32 v8, 0xffff, v8
	v_bitop3_b16 v9, v9, v11, 0xff bitop3:0xec
	v_bitop3_b16 v11, v17, v13, 0xff bitop3:0xec
	v_lshlrev_b16 v13, 8, v15
	v_lshrrev_b32_e32 v32, 8, v32
	v_sub_nc_u16 v24, v24, v28
	v_sub_nc_u16 v3, v3, v26
	v_lshrrev_b32_e32 v26, 8, v29
	v_lshl_or_b32 v8, v12, 16, v8
	v_bitop3_b16 v6, v6, v13, 0xff bitop3:0xec
	v_lshlrev_b16 v12, 8, v22
	v_lshrrev_b32_e32 v13, 8, v31
	v_lshlrev_b16 v15, 8, v33
	v_lshlrev_b16 v24, 8, v24
	v_and_b32_e32 v9, 0xffff, v9
	v_lshlrev_b32_e32 v11, 16, v11
	v_bitop3_b16 v7, v7, v12, 0xff bitop3:0xec
	v_lshlrev_b16 v12, 8, v13
	v_bitop3_b16 v13, v23, v15, 0xff bitop3:0xec
	v_lshlrev_b16 v10, 8, v10
	v_lshlrev_b16 v34, 8, v34
	v_or_b32_e32 v9, v9, v11
	v_bitop3_b16 v4, v4, v12, 0xff bitop3:0xec
	v_lshlrev_b32_e32 v11, 16, v13
	v_lshlrev_b16 v12, 8, v25
	v_bitop3_b16 v10, v27, v10, 0xff bitop3:0xec
	v_lshrrev_b32_e32 v13, 8, v24
	v_sub_nc_u16 v30, v38, v30
	v_lshlrev_b16 v28, 1, v28
	v_perm_b32 v15, v16, v34, 0xc0c0104
	v_lshlrev_b16 v16, 8, v32
	v_bitop3_b16 v5, v5, v12, 0xff bitop3:0xec
	v_lshlrev_b32_e32 v10, 16, v10
	v_lshlrev_b16 v12, 8, v13
	v_lshlrev_b16 v13, 8, v26
	;; [unrolled: 1-line block ×4, first 2 shown]
	v_sub_nc_u16 v14, v28, v14
	v_bitop3_b16 v16, v30, v16, 0xff bitop3:0xec
	v_bitop3_b16 v2, v2, v12, 0xff bitop3:0xec
	;; [unrolled: 1-line block ×3, first 2 shown]
	v_perm_b32 v17, v18, v37, 0xc0c0104
	v_and_b32_e32 v6, 0xffff, v6
	v_and_b32_e32 v7, 0xffff, v7
	;; [unrolled: 1-line block ×4, first 2 shown]
	v_lshlrev_b32_e32 v12, 16, v16
	v_perm_b32 v13, v14, v35, 0xc0c0104
	v_and_b32_e32 v2, 0xffff, v2
	v_and_b32_e32 v3, 0xffff, v3
	v_lshl_or_b32 v6, v17, 16, v6
	v_or_b32_e32 v7, v7, v11
	v_lshl_or_b32 v4, v15, 16, v4
	v_or_b32_e32 v5, v5, v12
	;; [unrolled: 2-line block ×3, first 2 shown]
	s_add_co_i32 s0, s0, -1
	s_delay_alu instid0(SALU_CYCLE_1)
	s_cmp_lg_u32 s0, 0
	s_barrier_signal -1
	s_barrier_wait -1
	s_cbranch_scc0 .LBB77_5
.LBB77_3:                               ; =>This Inner Loop Header: Depth=1
	s_delay_alu instid0(VALU_DEP_2)
	v_lshrrev_b32_e32 v10, 24, v3
	ds_store_b8 v0, v8 offset:256
	s_wait_dscnt 0x0
	s_barrier_signal -1
	s_barrier_wait -1
	v_mov_b32_e32 v11, v10
	s_and_saveexec_b32 s1, vcc_lo
	s_cbranch_execz .LBB77_2
; %bb.4:                                ;   in Loop: Header=BB77_3 Depth=1
	ds_load_u8 v11, v0 offset:257
	s_wait_dscnt 0x0
	v_sub_nc_u16 v11, v10, v11
	s_branch .LBB77_2
.LBB77_5:
	s_add_nc_u64 s[0:1], s[6:7], s[2:3]
	v_dual_lshrrev_b32 v10, 8, v8 :: v_dual_lshrrev_b32 v11, 24, v8
	v_add_nc_u64_e32 v[0:1], s[0:1], v[0:1]
	v_dual_lshrrev_b32 v12, 8, v9 :: v_dual_lshrrev_b32 v13, 24, v9
	s_clause 0x7
	global_store_b8 v[0:1], v8, off
	global_store_b8 v[0:1], v10, off offset:256
	global_store_d16_hi_b8 v[0:1], v8, off offset:512
	global_store_b8 v[0:1], v11, off offset:768
	global_store_b8 v[0:1], v9, off offset:1024
	global_store_b8 v[0:1], v12, off offset:1280
	global_store_d16_hi_b8 v[0:1], v9, off offset:1536
	global_store_b8 v[0:1], v13, off offset:1792
	s_wait_xcnt 0x1
	v_dual_lshrrev_b32 v8, 8, v6 :: v_dual_lshrrev_b32 v9, 24, v6
	v_dual_lshrrev_b32 v10, 8, v7 :: v_dual_lshrrev_b32 v11, 24, v7
	s_clause 0x7
	global_store_b8 v[0:1], v6, off offset:2048
	global_store_b8 v[0:1], v8, off offset:2304
	global_store_d16_hi_b8 v[0:1], v6, off offset:2560
	global_store_b8 v[0:1], v9, off offset:2816
	global_store_b8 v[0:1], v7, off offset:3072
	global_store_b8 v[0:1], v10, off offset:3328
	global_store_d16_hi_b8 v[0:1], v7, off offset:3584
	global_store_b8 v[0:1], v11, off offset:3840
	s_wait_xcnt 0x1
	v_dual_lshrrev_b32 v6, 8, v4 :: v_dual_lshrrev_b32 v7, 24, v4
	v_dual_lshrrev_b32 v8, 8, v5 :: v_dual_lshrrev_b32 v9, 24, v5
	s_clause 0x7
	global_store_b8 v[0:1], v4, off offset:4096
	;; [unrolled: 12-line block ×3, first 2 shown]
	global_store_b8 v[0:1], v4, off offset:6400
	global_store_d16_hi_b8 v[0:1], v2, off offset:6656
	global_store_b8 v[0:1], v5, off offset:6912
	global_store_b8 v[0:1], v3, off offset:7168
	;; [unrolled: 1-line block ×3, first 2 shown]
	global_store_d16_hi_b8 v[0:1], v3, off offset:7680
	global_store_b8 v[0:1], v7, off offset:7936
	s_endpgm
	.section	.rodata,"a",@progbits
	.p2align	6, 0x0
	.amdhsa_kernel _Z6kernelI14subtract_rightLj256ELj32ELb0EJPaS1_jEEvDpT3_
		.amdhsa_group_segment_fixed_size 512
		.amdhsa_private_segment_fixed_size 0
		.amdhsa_kernarg_size 20
		.amdhsa_user_sgpr_count 2
		.amdhsa_user_sgpr_dispatch_ptr 0
		.amdhsa_user_sgpr_queue_ptr 0
		.amdhsa_user_sgpr_kernarg_segment_ptr 1
		.amdhsa_user_sgpr_dispatch_id 0
		.amdhsa_user_sgpr_kernarg_preload_length 0
		.amdhsa_user_sgpr_kernarg_preload_offset 0
		.amdhsa_user_sgpr_private_segment_size 0
		.amdhsa_wavefront_size32 1
		.amdhsa_uses_dynamic_stack 0
		.amdhsa_enable_private_segment 0
		.amdhsa_system_sgpr_workgroup_id_x 1
		.amdhsa_system_sgpr_workgroup_id_y 0
		.amdhsa_system_sgpr_workgroup_id_z 0
		.amdhsa_system_sgpr_workgroup_info 0
		.amdhsa_system_vgpr_workitem_id 0
		.amdhsa_next_free_vgpr 39
		.amdhsa_next_free_sgpr 9
		.amdhsa_named_barrier_count 0
		.amdhsa_reserve_vcc 1
		.amdhsa_float_round_mode_32 0
		.amdhsa_float_round_mode_16_64 0
		.amdhsa_float_denorm_mode_32 3
		.amdhsa_float_denorm_mode_16_64 3
		.amdhsa_fp16_overflow 0
		.amdhsa_memory_ordered 1
		.amdhsa_forward_progress 1
		.amdhsa_inst_pref_size 21
		.amdhsa_round_robin_scheduling 0
		.amdhsa_exception_fp_ieee_invalid_op 0
		.amdhsa_exception_fp_denorm_src 0
		.amdhsa_exception_fp_ieee_div_zero 0
		.amdhsa_exception_fp_ieee_overflow 0
		.amdhsa_exception_fp_ieee_underflow 0
		.amdhsa_exception_fp_ieee_inexact 0
		.amdhsa_exception_int_div_zero 0
	.end_amdhsa_kernel
	.section	.text._Z6kernelI14subtract_rightLj256ELj32ELb0EJPaS1_jEEvDpT3_,"axG",@progbits,_Z6kernelI14subtract_rightLj256ELj32ELb0EJPaS1_jEEvDpT3_,comdat
.Lfunc_end77:
	.size	_Z6kernelI14subtract_rightLj256ELj32ELb0EJPaS1_jEEvDpT3_, .Lfunc_end77-_Z6kernelI14subtract_rightLj256ELj32ELb0EJPaS1_jEEvDpT3_
                                        ; -- End function
	.set _Z6kernelI14subtract_rightLj256ELj32ELb0EJPaS1_jEEvDpT3_.num_vgpr, 39
	.set _Z6kernelI14subtract_rightLj256ELj32ELb0EJPaS1_jEEvDpT3_.num_agpr, 0
	.set _Z6kernelI14subtract_rightLj256ELj32ELb0EJPaS1_jEEvDpT3_.numbered_sgpr, 9
	.set _Z6kernelI14subtract_rightLj256ELj32ELb0EJPaS1_jEEvDpT3_.num_named_barrier, 0
	.set _Z6kernelI14subtract_rightLj256ELj32ELb0EJPaS1_jEEvDpT3_.private_seg_size, 0
	.set _Z6kernelI14subtract_rightLj256ELj32ELb0EJPaS1_jEEvDpT3_.uses_vcc, 1
	.set _Z6kernelI14subtract_rightLj256ELj32ELb0EJPaS1_jEEvDpT3_.uses_flat_scratch, 0
	.set _Z6kernelI14subtract_rightLj256ELj32ELb0EJPaS1_jEEvDpT3_.has_dyn_sized_stack, 0
	.set _Z6kernelI14subtract_rightLj256ELj32ELb0EJPaS1_jEEvDpT3_.has_recursion, 0
	.set _Z6kernelI14subtract_rightLj256ELj32ELb0EJPaS1_jEEvDpT3_.has_indirect_call, 0
	.section	.AMDGPU.csdata,"",@progbits
; Kernel info:
; codeLenInByte = 2644
; TotalNumSgprs: 11
; NumVgprs: 39
; ScratchSize: 0
; MemoryBound: 0
; FloatMode: 240
; IeeeMode: 1
; LDSByteSize: 512 bytes/workgroup (compile time only)
; SGPRBlocks: 0
; VGPRBlocks: 2
; NumSGPRsForWavesPerEU: 11
; NumVGPRsForWavesPerEU: 39
; NamedBarCnt: 0
; Occupancy: 16
; WaveLimiterHint : 1
; COMPUTE_PGM_RSRC2:SCRATCH_EN: 0
; COMPUTE_PGM_RSRC2:USER_SGPR: 2
; COMPUTE_PGM_RSRC2:TRAP_HANDLER: 0
; COMPUTE_PGM_RSRC2:TGID_X_EN: 1
; COMPUTE_PGM_RSRC2:TGID_Y_EN: 0
; COMPUTE_PGM_RSRC2:TGID_Z_EN: 0
; COMPUTE_PGM_RSRC2:TIDIG_COMP_CNT: 0
	.section	.text._Z6kernelI14subtract_rightLj256ELj1ELb0EJPxS1_jEEvDpT3_,"axG",@progbits,_Z6kernelI14subtract_rightLj256ELj1ELb0EJPxS1_jEEvDpT3_,comdat
	.protected	_Z6kernelI14subtract_rightLj256ELj1ELb0EJPxS1_jEEvDpT3_ ; -- Begin function _Z6kernelI14subtract_rightLj256ELj1ELb0EJPxS1_jEEvDpT3_
	.globl	_Z6kernelI14subtract_rightLj256ELj1ELb0EJPxS1_jEEvDpT3_
	.p2align	8
	.type	_Z6kernelI14subtract_rightLj256ELj1ELb0EJPxS1_jEEvDpT3_,@function
_Z6kernelI14subtract_rightLj256ELj1ELb0EJPxS1_jEEvDpT3_: ; @_Z6kernelI14subtract_rightLj256ELj1ELb0EJPxS1_jEEvDpT3_
; %bb.0:
	s_load_b128 s[4:7], s[0:1], 0x0
	s_bfe_u32 s2, ttmp6, 0x4000c
	s_and_b32 s3, ttmp6, 15
	s_add_co_i32 s2, s2, 1
	s_getreg_b32 s8, hwreg(HW_REG_IB_STS2, 6, 4)
	s_mul_i32 s2, ttmp9, s2
	s_wait_xcnt 0x0
	s_load_b32 s0, s[0:1], 0x10
	s_add_co_i32 s3, s3, s2
	s_cmp_eq_u32 s8, 0
	s_cselect_b32 s2, ttmp9, s3
	s_mov_b32 s3, 0
	s_lshl_b32 s2, s2, 8
	s_delay_alu instid0(SALU_CYCLE_1)
	s_lshl_b64 s[2:3], s[2:3], 3
	s_wait_kmcnt 0x0
	s_add_nc_u64 s[4:5], s[4:5], s[2:3]
	global_load_b64 v[2:3], v0, s[4:5] scale_offset
	s_cmp_eq_u32 s0, 0
	s_cbranch_scc1 .LBB78_5
; %bb.1:
	v_lshlrev_b32_e32 v1, 3, v0
	v_cmp_ne_u32_e32 vcc_lo, 0xff, v0
	s_branch .LBB78_3
.LBB78_2:                               ;   in Loop: Header=BB78_3 Depth=1
	s_or_b32 exec_lo, exec_lo, s1
	s_delay_alu instid0(VALU_DEP_1) | instskip(SKIP_1) | instid1(SALU_CYCLE_1)
	v_add_nc_u64_e32 v[2:3], v[4:5], v[2:3]
	s_add_co_i32 s0, s0, -1
	s_cmp_lg_u32 s0, 0
	s_barrier_signal -1
	s_barrier_wait -1
	s_cbranch_scc0 .LBB78_5
.LBB78_3:                               ; =>This Inner Loop Header: Depth=1
	s_wait_loadcnt 0x0
	v_mov_b64_e32 v[4:5], v[2:3]
	ds_store_b64 v1, v[2:3] offset:2048
	s_wait_dscnt 0x0
	s_barrier_signal -1
	s_barrier_wait -1
	s_and_saveexec_b32 s1, vcc_lo
	s_cbranch_execz .LBB78_2
; %bb.4:                                ;   in Loop: Header=BB78_3 Depth=1
	ds_load_b64 v[4:5], v1 offset:2056
	s_wait_dscnt 0x0
	v_sub_nc_u64_e32 v[4:5], v[2:3], v[4:5]
	s_branch .LBB78_2
.LBB78_5:
	s_add_nc_u64 s[0:1], s[6:7], s[2:3]
	s_wait_loadcnt 0x0
	global_store_b64 v0, v[2:3], s[0:1] scale_offset
	s_endpgm
	.section	.rodata,"a",@progbits
	.p2align	6, 0x0
	.amdhsa_kernel _Z6kernelI14subtract_rightLj256ELj1ELb0EJPxS1_jEEvDpT3_
		.amdhsa_group_segment_fixed_size 4096
		.amdhsa_private_segment_fixed_size 0
		.amdhsa_kernarg_size 20
		.amdhsa_user_sgpr_count 2
		.amdhsa_user_sgpr_dispatch_ptr 0
		.amdhsa_user_sgpr_queue_ptr 0
		.amdhsa_user_sgpr_kernarg_segment_ptr 1
		.amdhsa_user_sgpr_dispatch_id 0
		.amdhsa_user_sgpr_kernarg_preload_length 0
		.amdhsa_user_sgpr_kernarg_preload_offset 0
		.amdhsa_user_sgpr_private_segment_size 0
		.amdhsa_wavefront_size32 1
		.amdhsa_uses_dynamic_stack 0
		.amdhsa_enable_private_segment 0
		.amdhsa_system_sgpr_workgroup_id_x 1
		.amdhsa_system_sgpr_workgroup_id_y 0
		.amdhsa_system_sgpr_workgroup_id_z 0
		.amdhsa_system_sgpr_workgroup_info 0
		.amdhsa_system_vgpr_workitem_id 0
		.amdhsa_next_free_vgpr 6
		.amdhsa_next_free_sgpr 9
		.amdhsa_named_barrier_count 0
		.amdhsa_reserve_vcc 1
		.amdhsa_float_round_mode_32 0
		.amdhsa_float_round_mode_16_64 0
		.amdhsa_float_denorm_mode_32 3
		.amdhsa_float_denorm_mode_16_64 3
		.amdhsa_fp16_overflow 0
		.amdhsa_memory_ordered 1
		.amdhsa_forward_progress 1
		.amdhsa_inst_pref_size 2
		.amdhsa_round_robin_scheduling 0
		.amdhsa_exception_fp_ieee_invalid_op 0
		.amdhsa_exception_fp_denorm_src 0
		.amdhsa_exception_fp_ieee_div_zero 0
		.amdhsa_exception_fp_ieee_overflow 0
		.amdhsa_exception_fp_ieee_underflow 0
		.amdhsa_exception_fp_ieee_inexact 0
		.amdhsa_exception_int_div_zero 0
	.end_amdhsa_kernel
	.section	.text._Z6kernelI14subtract_rightLj256ELj1ELb0EJPxS1_jEEvDpT3_,"axG",@progbits,_Z6kernelI14subtract_rightLj256ELj1ELb0EJPxS1_jEEvDpT3_,comdat
.Lfunc_end78:
	.size	_Z6kernelI14subtract_rightLj256ELj1ELb0EJPxS1_jEEvDpT3_, .Lfunc_end78-_Z6kernelI14subtract_rightLj256ELj1ELb0EJPxS1_jEEvDpT3_
                                        ; -- End function
	.set _Z6kernelI14subtract_rightLj256ELj1ELb0EJPxS1_jEEvDpT3_.num_vgpr, 6
	.set _Z6kernelI14subtract_rightLj256ELj1ELb0EJPxS1_jEEvDpT3_.num_agpr, 0
	.set _Z6kernelI14subtract_rightLj256ELj1ELb0EJPxS1_jEEvDpT3_.numbered_sgpr, 9
	.set _Z6kernelI14subtract_rightLj256ELj1ELb0EJPxS1_jEEvDpT3_.num_named_barrier, 0
	.set _Z6kernelI14subtract_rightLj256ELj1ELb0EJPxS1_jEEvDpT3_.private_seg_size, 0
	.set _Z6kernelI14subtract_rightLj256ELj1ELb0EJPxS1_jEEvDpT3_.uses_vcc, 1
	.set _Z6kernelI14subtract_rightLj256ELj1ELb0EJPxS1_jEEvDpT3_.uses_flat_scratch, 0
	.set _Z6kernelI14subtract_rightLj256ELj1ELb0EJPxS1_jEEvDpT3_.has_dyn_sized_stack, 0
	.set _Z6kernelI14subtract_rightLj256ELj1ELb0EJPxS1_jEEvDpT3_.has_recursion, 0
	.set _Z6kernelI14subtract_rightLj256ELj1ELb0EJPxS1_jEEvDpT3_.has_indirect_call, 0
	.section	.AMDGPU.csdata,"",@progbits
; Kernel info:
; codeLenInByte = 228
; TotalNumSgprs: 11
; NumVgprs: 6
; ScratchSize: 0
; MemoryBound: 0
; FloatMode: 240
; IeeeMode: 1
; LDSByteSize: 4096 bytes/workgroup (compile time only)
; SGPRBlocks: 0
; VGPRBlocks: 0
; NumSGPRsForWavesPerEU: 11
; NumVGPRsForWavesPerEU: 6
; NamedBarCnt: 0
; Occupancy: 16
; WaveLimiterHint : 0
; COMPUTE_PGM_RSRC2:SCRATCH_EN: 0
; COMPUTE_PGM_RSRC2:USER_SGPR: 2
; COMPUTE_PGM_RSRC2:TRAP_HANDLER: 0
; COMPUTE_PGM_RSRC2:TGID_X_EN: 1
; COMPUTE_PGM_RSRC2:TGID_Y_EN: 0
; COMPUTE_PGM_RSRC2:TGID_Z_EN: 0
; COMPUTE_PGM_RSRC2:TIDIG_COMP_CNT: 0
	.section	.text._Z6kernelI14subtract_rightLj256ELj3ELb0EJPxS1_jEEvDpT3_,"axG",@progbits,_Z6kernelI14subtract_rightLj256ELj3ELb0EJPxS1_jEEvDpT3_,comdat
	.protected	_Z6kernelI14subtract_rightLj256ELj3ELb0EJPxS1_jEEvDpT3_ ; -- Begin function _Z6kernelI14subtract_rightLj256ELj3ELb0EJPxS1_jEEvDpT3_
	.globl	_Z6kernelI14subtract_rightLj256ELj3ELb0EJPxS1_jEEvDpT3_
	.p2align	8
	.type	_Z6kernelI14subtract_rightLj256ELj3ELb0EJPxS1_jEEvDpT3_,@function
_Z6kernelI14subtract_rightLj256ELj3ELb0EJPxS1_jEEvDpT3_: ; @_Z6kernelI14subtract_rightLj256ELj3ELb0EJPxS1_jEEvDpT3_
; %bb.0:
	s_load_b128 s[4:7], s[0:1], 0x0
	s_bfe_u32 s2, ttmp6, 0x4000c
	s_and_b32 s3, ttmp6, 15
	s_add_co_i32 s2, s2, 1
	s_getreg_b32 s8, hwreg(HW_REG_IB_STS2, 6, 4)
	s_mul_i32 s2, ttmp9, s2
	s_wait_xcnt 0x0
	s_load_b32 s0, s[0:1], 0x10
	s_add_co_i32 s3, s3, s2
	s_cmp_eq_u32 s8, 0
	s_cselect_b32 s2, ttmp9, s3
	s_mov_b32 s3, 0
	s_mulk_i32 s2, 0x300
	s_delay_alu instid0(SALU_CYCLE_1)
	s_lshl_b64 s[2:3], s[2:3], 3
	s_wait_kmcnt 0x0
	s_add_nc_u64 s[4:5], s[4:5], s[2:3]
	s_clause 0x2
	global_load_b64 v[6:7], v0, s[4:5] scale_offset
	global_load_b64 v[4:5], v0, s[4:5] offset:2048 scale_offset
	global_load_b64 v[2:3], v0, s[4:5] offset:4096 scale_offset
	s_cmp_eq_u32 s0, 0
	s_cbranch_scc1 .LBB79_5
; %bb.1:
	v_lshlrev_b32_e32 v1, 3, v0
	v_cmp_ne_u32_e32 vcc_lo, 0xff, v0
	s_branch .LBB79_3
.LBB79_2:                               ;   in Loop: Header=BB79_3 Depth=1
	s_or_b32 exec_lo, exec_lo, s1
	v_lshlrev_b64_e32 v[6:7], 1, v[6:7]
	v_lshlrev_b64_e32 v[10:11], 1, v[4:5]
	s_add_co_i32 s0, s0, -1
	s_delay_alu instid0(SALU_CYCLE_1) | instskip(SKIP_2) | instid1(VALU_DEP_2)
	s_cmp_lg_u32 s0, 0
	s_barrier_signal -1
	s_barrier_wait -1
	v_sub_nc_u64_e32 v[6:7], v[6:7], v[4:5]
	s_delay_alu instid0(VALU_DEP_2)
	v_sub_nc_u64_e32 v[4:5], v[10:11], v[2:3]
	v_add_nc_u64_e32 v[2:3], v[8:9], v[2:3]
	s_cbranch_scc0 .LBB79_5
.LBB79_3:                               ; =>This Inner Loop Header: Depth=1
	s_wait_loadcnt 0x0
	s_delay_alu instid0(VALU_DEP_1)
	v_mov_b64_e32 v[8:9], v[2:3]
	ds_store_b64 v1, v[6:7] offset:2048
	s_wait_dscnt 0x0
	s_barrier_signal -1
	s_barrier_wait -1
	s_and_saveexec_b32 s1, vcc_lo
	s_cbranch_execz .LBB79_2
; %bb.4:                                ;   in Loop: Header=BB79_3 Depth=1
	ds_load_b64 v[8:9], v1 offset:2056
	s_wait_dscnt 0x0
	v_sub_nc_u64_e32 v[8:9], v[2:3], v[8:9]
	s_branch .LBB79_2
.LBB79_5:
	s_add_nc_u64 s[0:1], s[6:7], s[2:3]
	s_wait_loadcnt 0x2
	global_store_b64 v0, v[6:7], s[0:1] scale_offset
	s_wait_loadcnt 0x1
	global_store_b64 v0, v[4:5], s[0:1] offset:2048 scale_offset
	s_wait_loadcnt 0x0
	global_store_b64 v0, v[2:3], s[0:1] offset:4096 scale_offset
	s_endpgm
	.section	.rodata,"a",@progbits
	.p2align	6, 0x0
	.amdhsa_kernel _Z6kernelI14subtract_rightLj256ELj3ELb0EJPxS1_jEEvDpT3_
		.amdhsa_group_segment_fixed_size 4096
		.amdhsa_private_segment_fixed_size 0
		.amdhsa_kernarg_size 20
		.amdhsa_user_sgpr_count 2
		.amdhsa_user_sgpr_dispatch_ptr 0
		.amdhsa_user_sgpr_queue_ptr 0
		.amdhsa_user_sgpr_kernarg_segment_ptr 1
		.amdhsa_user_sgpr_dispatch_id 0
		.amdhsa_user_sgpr_kernarg_preload_length 0
		.amdhsa_user_sgpr_kernarg_preload_offset 0
		.amdhsa_user_sgpr_private_segment_size 0
		.amdhsa_wavefront_size32 1
		.amdhsa_uses_dynamic_stack 0
		.amdhsa_enable_private_segment 0
		.amdhsa_system_sgpr_workgroup_id_x 1
		.amdhsa_system_sgpr_workgroup_id_y 0
		.amdhsa_system_sgpr_workgroup_id_z 0
		.amdhsa_system_sgpr_workgroup_info 0
		.amdhsa_system_vgpr_workitem_id 0
		.amdhsa_next_free_vgpr 12
		.amdhsa_next_free_sgpr 9
		.amdhsa_named_barrier_count 0
		.amdhsa_reserve_vcc 1
		.amdhsa_float_round_mode_32 0
		.amdhsa_float_round_mode_16_64 0
		.amdhsa_float_denorm_mode_32 3
		.amdhsa_float_denorm_mode_16_64 3
		.amdhsa_fp16_overflow 0
		.amdhsa_memory_ordered 1
		.amdhsa_forward_progress 1
		.amdhsa_inst_pref_size 3
		.amdhsa_round_robin_scheduling 0
		.amdhsa_exception_fp_ieee_invalid_op 0
		.amdhsa_exception_fp_denorm_src 0
		.amdhsa_exception_fp_ieee_div_zero 0
		.amdhsa_exception_fp_ieee_overflow 0
		.amdhsa_exception_fp_ieee_underflow 0
		.amdhsa_exception_fp_ieee_inexact 0
		.amdhsa_exception_int_div_zero 0
	.end_amdhsa_kernel
	.section	.text._Z6kernelI14subtract_rightLj256ELj3ELb0EJPxS1_jEEvDpT3_,"axG",@progbits,_Z6kernelI14subtract_rightLj256ELj3ELb0EJPxS1_jEEvDpT3_,comdat
.Lfunc_end79:
	.size	_Z6kernelI14subtract_rightLj256ELj3ELb0EJPxS1_jEEvDpT3_, .Lfunc_end79-_Z6kernelI14subtract_rightLj256ELj3ELb0EJPxS1_jEEvDpT3_
                                        ; -- End function
	.set _Z6kernelI14subtract_rightLj256ELj3ELb0EJPxS1_jEEvDpT3_.num_vgpr, 12
	.set _Z6kernelI14subtract_rightLj256ELj3ELb0EJPxS1_jEEvDpT3_.num_agpr, 0
	.set _Z6kernelI14subtract_rightLj256ELj3ELb0EJPxS1_jEEvDpT3_.numbered_sgpr, 9
	.set _Z6kernelI14subtract_rightLj256ELj3ELb0EJPxS1_jEEvDpT3_.num_named_barrier, 0
	.set _Z6kernelI14subtract_rightLj256ELj3ELb0EJPxS1_jEEvDpT3_.private_seg_size, 0
	.set _Z6kernelI14subtract_rightLj256ELj3ELb0EJPxS1_jEEvDpT3_.uses_vcc, 1
	.set _Z6kernelI14subtract_rightLj256ELj3ELb0EJPxS1_jEEvDpT3_.uses_flat_scratch, 0
	.set _Z6kernelI14subtract_rightLj256ELj3ELb0EJPxS1_jEEvDpT3_.has_dyn_sized_stack, 0
	.set _Z6kernelI14subtract_rightLj256ELj3ELb0EJPxS1_jEEvDpT3_.has_recursion, 0
	.set _Z6kernelI14subtract_rightLj256ELj3ELb0EJPxS1_jEEvDpT3_.has_indirect_call, 0
	.section	.AMDGPU.csdata,"",@progbits
; Kernel info:
; codeLenInByte = 312
; TotalNumSgprs: 11
; NumVgprs: 12
; ScratchSize: 0
; MemoryBound: 0
; FloatMode: 240
; IeeeMode: 1
; LDSByteSize: 4096 bytes/workgroup (compile time only)
; SGPRBlocks: 0
; VGPRBlocks: 0
; NumSGPRsForWavesPerEU: 11
; NumVGPRsForWavesPerEU: 12
; NamedBarCnt: 0
; Occupancy: 16
; WaveLimiterHint : 1
; COMPUTE_PGM_RSRC2:SCRATCH_EN: 0
; COMPUTE_PGM_RSRC2:USER_SGPR: 2
; COMPUTE_PGM_RSRC2:TRAP_HANDLER: 0
; COMPUTE_PGM_RSRC2:TGID_X_EN: 1
; COMPUTE_PGM_RSRC2:TGID_Y_EN: 0
; COMPUTE_PGM_RSRC2:TGID_Z_EN: 0
; COMPUTE_PGM_RSRC2:TIDIG_COMP_CNT: 0
	.section	.text._Z6kernelI14subtract_rightLj256ELj4ELb0EJPxS1_jEEvDpT3_,"axG",@progbits,_Z6kernelI14subtract_rightLj256ELj4ELb0EJPxS1_jEEvDpT3_,comdat
	.protected	_Z6kernelI14subtract_rightLj256ELj4ELb0EJPxS1_jEEvDpT3_ ; -- Begin function _Z6kernelI14subtract_rightLj256ELj4ELb0EJPxS1_jEEvDpT3_
	.globl	_Z6kernelI14subtract_rightLj256ELj4ELb0EJPxS1_jEEvDpT3_
	.p2align	8
	.type	_Z6kernelI14subtract_rightLj256ELj4ELb0EJPxS1_jEEvDpT3_,@function
_Z6kernelI14subtract_rightLj256ELj4ELb0EJPxS1_jEEvDpT3_: ; @_Z6kernelI14subtract_rightLj256ELj4ELb0EJPxS1_jEEvDpT3_
; %bb.0:
	s_load_b128 s[4:7], s[0:1], 0x0
	s_bfe_u32 s2, ttmp6, 0x4000c
	s_and_b32 s3, ttmp6, 15
	s_add_co_i32 s2, s2, 1
	s_getreg_b32 s8, hwreg(HW_REG_IB_STS2, 6, 4)
	s_mul_i32 s2, ttmp9, s2
	s_wait_xcnt 0x0
	s_load_b32 s0, s[0:1], 0x10
	s_add_co_i32 s3, s3, s2
	s_cmp_eq_u32 s8, 0
	s_cselect_b32 s2, ttmp9, s3
	s_mov_b32 s3, 0
	s_lshl_b32 s2, s2, 10
	s_delay_alu instid0(SALU_CYCLE_1)
	s_lshl_b64 s[2:3], s[2:3], 3
	s_wait_kmcnt 0x0
	s_add_nc_u64 s[4:5], s[4:5], s[2:3]
	s_clause 0x3
	global_load_b64 v[8:9], v0, s[4:5] scale_offset
	global_load_b64 v[6:7], v0, s[4:5] offset:2048 scale_offset
	global_load_b64 v[4:5], v0, s[4:5] offset:4096 scale_offset
	global_load_b64 v[2:3], v0, s[4:5] offset:6144 scale_offset
	s_cmp_eq_u32 s0, 0
	s_cbranch_scc1 .LBB80_5
; %bb.1:
	v_lshlrev_b32_e32 v1, 3, v0
	v_cmp_ne_u32_e32 vcc_lo, 0xff, v0
	s_branch .LBB80_3
.LBB80_2:                               ;   in Loop: Header=BB80_3 Depth=1
	s_or_b32 exec_lo, exec_lo, s1
	v_lshlrev_b64_e32 v[8:9], 1, v[8:9]
	v_lshlrev_b64_e32 v[12:13], 1, v[6:7]
	;; [unrolled: 1-line block ×3, first 2 shown]
	s_add_co_i32 s0, s0, -1
	s_delay_alu instid0(SALU_CYCLE_1) | instskip(SKIP_1) | instid1(VALU_DEP_3)
	s_cmp_lg_u32 s0, 0
	s_barrier_signal -1
	v_sub_nc_u64_e32 v[8:9], v[8:9], v[6:7]
	s_delay_alu instid0(VALU_DEP_3) | instskip(NEXT) | instid1(VALU_DEP_3)
	v_sub_nc_u64_e32 v[6:7], v[12:13], v[4:5]
	v_sub_nc_u64_e32 v[4:5], v[14:15], v[2:3]
	v_add_nc_u64_e32 v[2:3], v[10:11], v[2:3]
	s_barrier_wait -1
	s_cbranch_scc0 .LBB80_5
.LBB80_3:                               ; =>This Inner Loop Header: Depth=1
	s_wait_loadcnt 0x0
	s_delay_alu instid0(VALU_DEP_1)
	v_mov_b64_e32 v[10:11], v[2:3]
	ds_store_b64 v1, v[8:9] offset:2048
	s_wait_dscnt 0x0
	s_barrier_signal -1
	s_barrier_wait -1
	s_and_saveexec_b32 s1, vcc_lo
	s_cbranch_execz .LBB80_2
; %bb.4:                                ;   in Loop: Header=BB80_3 Depth=1
	ds_load_b64 v[10:11], v1 offset:2056
	s_wait_dscnt 0x0
	v_sub_nc_u64_e32 v[10:11], v[2:3], v[10:11]
	s_branch .LBB80_2
.LBB80_5:
	s_add_nc_u64 s[0:1], s[6:7], s[2:3]
	s_wait_loadcnt 0x3
	global_store_b64 v0, v[8:9], s[0:1] scale_offset
	s_wait_loadcnt 0x2
	global_store_b64 v0, v[6:7], s[0:1] offset:2048 scale_offset
	s_wait_loadcnt 0x1
	global_store_b64 v0, v[4:5], s[0:1] offset:4096 scale_offset
	;; [unrolled: 2-line block ×3, first 2 shown]
	s_endpgm
	.section	.rodata,"a",@progbits
	.p2align	6, 0x0
	.amdhsa_kernel _Z6kernelI14subtract_rightLj256ELj4ELb0EJPxS1_jEEvDpT3_
		.amdhsa_group_segment_fixed_size 4096
		.amdhsa_private_segment_fixed_size 0
		.amdhsa_kernarg_size 20
		.amdhsa_user_sgpr_count 2
		.amdhsa_user_sgpr_dispatch_ptr 0
		.amdhsa_user_sgpr_queue_ptr 0
		.amdhsa_user_sgpr_kernarg_segment_ptr 1
		.amdhsa_user_sgpr_dispatch_id 0
		.amdhsa_user_sgpr_kernarg_preload_length 0
		.amdhsa_user_sgpr_kernarg_preload_offset 0
		.amdhsa_user_sgpr_private_segment_size 0
		.amdhsa_wavefront_size32 1
		.amdhsa_uses_dynamic_stack 0
		.amdhsa_enable_private_segment 0
		.amdhsa_system_sgpr_workgroup_id_x 1
		.amdhsa_system_sgpr_workgroup_id_y 0
		.amdhsa_system_sgpr_workgroup_id_z 0
		.amdhsa_system_sgpr_workgroup_info 0
		.amdhsa_system_vgpr_workitem_id 0
		.amdhsa_next_free_vgpr 16
		.amdhsa_next_free_sgpr 9
		.amdhsa_named_barrier_count 0
		.amdhsa_reserve_vcc 1
		.amdhsa_float_round_mode_32 0
		.amdhsa_float_round_mode_16_64 0
		.amdhsa_float_denorm_mode_32 3
		.amdhsa_float_denorm_mode_16_64 3
		.amdhsa_fp16_overflow 0
		.amdhsa_memory_ordered 1
		.amdhsa_forward_progress 1
		.amdhsa_inst_pref_size 3
		.amdhsa_round_robin_scheduling 0
		.amdhsa_exception_fp_ieee_invalid_op 0
		.amdhsa_exception_fp_denorm_src 0
		.amdhsa_exception_fp_ieee_div_zero 0
		.amdhsa_exception_fp_ieee_overflow 0
		.amdhsa_exception_fp_ieee_underflow 0
		.amdhsa_exception_fp_ieee_inexact 0
		.amdhsa_exception_int_div_zero 0
	.end_amdhsa_kernel
	.section	.text._Z6kernelI14subtract_rightLj256ELj4ELb0EJPxS1_jEEvDpT3_,"axG",@progbits,_Z6kernelI14subtract_rightLj256ELj4ELb0EJPxS1_jEEvDpT3_,comdat
.Lfunc_end80:
	.size	_Z6kernelI14subtract_rightLj256ELj4ELb0EJPxS1_jEEvDpT3_, .Lfunc_end80-_Z6kernelI14subtract_rightLj256ELj4ELb0EJPxS1_jEEvDpT3_
                                        ; -- End function
	.set _Z6kernelI14subtract_rightLj256ELj4ELb0EJPxS1_jEEvDpT3_.num_vgpr, 16
	.set _Z6kernelI14subtract_rightLj256ELj4ELb0EJPxS1_jEEvDpT3_.num_agpr, 0
	.set _Z6kernelI14subtract_rightLj256ELj4ELb0EJPxS1_jEEvDpT3_.numbered_sgpr, 9
	.set _Z6kernelI14subtract_rightLj256ELj4ELb0EJPxS1_jEEvDpT3_.num_named_barrier, 0
	.set _Z6kernelI14subtract_rightLj256ELj4ELb0EJPxS1_jEEvDpT3_.private_seg_size, 0
	.set _Z6kernelI14subtract_rightLj256ELj4ELb0EJPxS1_jEEvDpT3_.uses_vcc, 1
	.set _Z6kernelI14subtract_rightLj256ELj4ELb0EJPxS1_jEEvDpT3_.uses_flat_scratch, 0
	.set _Z6kernelI14subtract_rightLj256ELj4ELb0EJPxS1_jEEvDpT3_.has_dyn_sized_stack, 0
	.set _Z6kernelI14subtract_rightLj256ELj4ELb0EJPxS1_jEEvDpT3_.has_recursion, 0
	.set _Z6kernelI14subtract_rightLj256ELj4ELb0EJPxS1_jEEvDpT3_.has_indirect_call, 0
	.section	.AMDGPU.csdata,"",@progbits
; Kernel info:
; codeLenInByte = 348
; TotalNumSgprs: 11
; NumVgprs: 16
; ScratchSize: 0
; MemoryBound: 0
; FloatMode: 240
; IeeeMode: 1
; LDSByteSize: 4096 bytes/workgroup (compile time only)
; SGPRBlocks: 0
; VGPRBlocks: 0
; NumSGPRsForWavesPerEU: 11
; NumVGPRsForWavesPerEU: 16
; NamedBarCnt: 0
; Occupancy: 16
; WaveLimiterHint : 1
; COMPUTE_PGM_RSRC2:SCRATCH_EN: 0
; COMPUTE_PGM_RSRC2:USER_SGPR: 2
; COMPUTE_PGM_RSRC2:TRAP_HANDLER: 0
; COMPUTE_PGM_RSRC2:TGID_X_EN: 1
; COMPUTE_PGM_RSRC2:TGID_Y_EN: 0
; COMPUTE_PGM_RSRC2:TGID_Z_EN: 0
; COMPUTE_PGM_RSRC2:TIDIG_COMP_CNT: 0
	.section	.text._Z6kernelI14subtract_rightLj256ELj8ELb0EJPxS1_jEEvDpT3_,"axG",@progbits,_Z6kernelI14subtract_rightLj256ELj8ELb0EJPxS1_jEEvDpT3_,comdat
	.protected	_Z6kernelI14subtract_rightLj256ELj8ELb0EJPxS1_jEEvDpT3_ ; -- Begin function _Z6kernelI14subtract_rightLj256ELj8ELb0EJPxS1_jEEvDpT3_
	.globl	_Z6kernelI14subtract_rightLj256ELj8ELb0EJPxS1_jEEvDpT3_
	.p2align	8
	.type	_Z6kernelI14subtract_rightLj256ELj8ELb0EJPxS1_jEEvDpT3_,@function
_Z6kernelI14subtract_rightLj256ELj8ELb0EJPxS1_jEEvDpT3_: ; @_Z6kernelI14subtract_rightLj256ELj8ELb0EJPxS1_jEEvDpT3_
; %bb.0:
	s_load_b128 s[4:7], s[0:1], 0x0
	s_bfe_u32 s2, ttmp6, 0x4000c
	s_and_b32 s3, ttmp6, 15
	s_add_co_i32 s2, s2, 1
	s_getreg_b32 s8, hwreg(HW_REG_IB_STS2, 6, 4)
	s_mul_i32 s2, ttmp9, s2
	s_wait_xcnt 0x0
	s_load_b32 s0, s[0:1], 0x10
	s_add_co_i32 s3, s3, s2
	s_cmp_eq_u32 s8, 0
	s_cselect_b32 s2, ttmp9, s3
	s_mov_b32 s3, 0
	s_lshl_b32 s2, s2, 11
	s_delay_alu instid0(SALU_CYCLE_1)
	s_lshl_b64 s[2:3], s[2:3], 3
	s_wait_kmcnt 0x0
	s_add_nc_u64 s[4:5], s[4:5], s[2:3]
	s_clause 0x7
	global_load_b64 v[16:17], v0, s[4:5] scale_offset
	global_load_b64 v[14:15], v0, s[4:5] offset:2048 scale_offset
	global_load_b64 v[12:13], v0, s[4:5] offset:4096 scale_offset
	;; [unrolled: 1-line block ×7, first 2 shown]
	s_cmp_eq_u32 s0, 0
	s_cbranch_scc1 .LBB81_5
; %bb.1:
	v_lshlrev_b32_e32 v1, 3, v0
	v_cmp_ne_u32_e32 vcc_lo, 0xff, v0
	s_branch .LBB81_3
.LBB81_2:                               ;   in Loop: Header=BB81_3 Depth=1
	s_or_b32 exec_lo, exec_lo, s1
	v_sub_nc_u64_e32 v[20:21], v[16:17], v[14:15]
	v_sub_nc_u64_e32 v[22:23], v[14:15], v[12:13]
	v_sub_nc_u64_e32 v[24:25], v[12:13], v[10:11]
	v_sub_nc_u64_e32 v[26:27], v[10:11], v[8:9]
	v_sub_nc_u64_e32 v[28:29], v[8:9], v[6:7]
	v_sub_nc_u64_e32 v[30:31], v[6:7], v[4:5]
	v_sub_nc_u64_e32 v[32:33], v[4:5], v[2:3]
	v_add_nc_u64_e32 v[16:17], v[20:21], v[16:17]
	v_add_nc_u64_e32 v[14:15], v[22:23], v[14:15]
	v_add_nc_u64_e32 v[12:13], v[24:25], v[12:13]
	v_add_nc_u64_e32 v[10:11], v[26:27], v[10:11]
	v_add_nc_u64_e32 v[8:9], v[28:29], v[8:9]
	v_add_nc_u64_e32 v[6:7], v[30:31], v[6:7]
	v_add_nc_u64_e32 v[4:5], v[32:33], v[4:5]
	v_add_nc_u64_e32 v[2:3], v[18:19], v[2:3]
	s_add_co_i32 s0, s0, -1
	s_delay_alu instid0(SALU_CYCLE_1)
	s_cmp_lg_u32 s0, 0
	s_barrier_signal -1
	s_barrier_wait -1
	s_cbranch_scc0 .LBB81_5
.LBB81_3:                               ; =>This Inner Loop Header: Depth=1
	s_wait_loadcnt 0x0
	v_mov_b64_e32 v[18:19], v[2:3]
	ds_store_b64 v1, v[16:17] offset:2048
	s_wait_dscnt 0x0
	s_barrier_signal -1
	s_barrier_wait -1
	s_and_saveexec_b32 s1, vcc_lo
	s_cbranch_execz .LBB81_2
; %bb.4:                                ;   in Loop: Header=BB81_3 Depth=1
	ds_load_b64 v[18:19], v1 offset:2056
	s_wait_dscnt 0x0
	v_sub_nc_u64_e32 v[18:19], v[2:3], v[18:19]
	s_branch .LBB81_2
.LBB81_5:
	s_add_nc_u64 s[0:1], s[6:7], s[2:3]
	s_wait_loadcnt 0x7
	global_store_b64 v0, v[16:17], s[0:1] scale_offset
	s_wait_loadcnt 0x6
	global_store_b64 v0, v[14:15], s[0:1] offset:2048 scale_offset
	s_wait_loadcnt 0x5
	global_store_b64 v0, v[12:13], s[0:1] offset:4096 scale_offset
	;; [unrolled: 2-line block ×7, first 2 shown]
	s_endpgm
	.section	.rodata,"a",@progbits
	.p2align	6, 0x0
	.amdhsa_kernel _Z6kernelI14subtract_rightLj256ELj8ELb0EJPxS1_jEEvDpT3_
		.amdhsa_group_segment_fixed_size 4096
		.amdhsa_private_segment_fixed_size 0
		.amdhsa_kernarg_size 20
		.amdhsa_user_sgpr_count 2
		.amdhsa_user_sgpr_dispatch_ptr 0
		.amdhsa_user_sgpr_queue_ptr 0
		.amdhsa_user_sgpr_kernarg_segment_ptr 1
		.amdhsa_user_sgpr_dispatch_id 0
		.amdhsa_user_sgpr_kernarg_preload_length 0
		.amdhsa_user_sgpr_kernarg_preload_offset 0
		.amdhsa_user_sgpr_private_segment_size 0
		.amdhsa_wavefront_size32 1
		.amdhsa_uses_dynamic_stack 0
		.amdhsa_enable_private_segment 0
		.amdhsa_system_sgpr_workgroup_id_x 1
		.amdhsa_system_sgpr_workgroup_id_y 0
		.amdhsa_system_sgpr_workgroup_id_z 0
		.amdhsa_system_sgpr_workgroup_info 0
		.amdhsa_system_vgpr_workitem_id 0
		.amdhsa_next_free_vgpr 34
		.amdhsa_next_free_sgpr 9
		.amdhsa_named_barrier_count 0
		.amdhsa_reserve_vcc 1
		.amdhsa_float_round_mode_32 0
		.amdhsa_float_round_mode_16_64 0
		.amdhsa_float_denorm_mode_32 3
		.amdhsa_float_denorm_mode_16_64 3
		.amdhsa_fp16_overflow 0
		.amdhsa_memory_ordered 1
		.amdhsa_forward_progress 1
		.amdhsa_inst_pref_size 4
		.amdhsa_round_robin_scheduling 0
		.amdhsa_exception_fp_ieee_invalid_op 0
		.amdhsa_exception_fp_denorm_src 0
		.amdhsa_exception_fp_ieee_div_zero 0
		.amdhsa_exception_fp_ieee_overflow 0
		.amdhsa_exception_fp_ieee_underflow 0
		.amdhsa_exception_fp_ieee_inexact 0
		.amdhsa_exception_int_div_zero 0
	.end_amdhsa_kernel
	.section	.text._Z6kernelI14subtract_rightLj256ELj8ELb0EJPxS1_jEEvDpT3_,"axG",@progbits,_Z6kernelI14subtract_rightLj256ELj8ELb0EJPxS1_jEEvDpT3_,comdat
.Lfunc_end81:
	.size	_Z6kernelI14subtract_rightLj256ELj8ELb0EJPxS1_jEEvDpT3_, .Lfunc_end81-_Z6kernelI14subtract_rightLj256ELj8ELb0EJPxS1_jEEvDpT3_
                                        ; -- End function
	.set _Z6kernelI14subtract_rightLj256ELj8ELb0EJPxS1_jEEvDpT3_.num_vgpr, 34
	.set _Z6kernelI14subtract_rightLj256ELj8ELb0EJPxS1_jEEvDpT3_.num_agpr, 0
	.set _Z6kernelI14subtract_rightLj256ELj8ELb0EJPxS1_jEEvDpT3_.numbered_sgpr, 9
	.set _Z6kernelI14subtract_rightLj256ELj8ELb0EJPxS1_jEEvDpT3_.num_named_barrier, 0
	.set _Z6kernelI14subtract_rightLj256ELj8ELb0EJPxS1_jEEvDpT3_.private_seg_size, 0
	.set _Z6kernelI14subtract_rightLj256ELj8ELb0EJPxS1_jEEvDpT3_.uses_vcc, 1
	.set _Z6kernelI14subtract_rightLj256ELj8ELb0EJPxS1_jEEvDpT3_.uses_flat_scratch, 0
	.set _Z6kernelI14subtract_rightLj256ELj8ELb0EJPxS1_jEEvDpT3_.has_dyn_sized_stack, 0
	.set _Z6kernelI14subtract_rightLj256ELj8ELb0EJPxS1_jEEvDpT3_.has_recursion, 0
	.set _Z6kernelI14subtract_rightLj256ELj8ELb0EJPxS1_jEEvDpT3_.has_indirect_call, 0
	.section	.AMDGPU.csdata,"",@progbits
; Kernel info:
; codeLenInByte = 484
; TotalNumSgprs: 11
; NumVgprs: 34
; ScratchSize: 0
; MemoryBound: 0
; FloatMode: 240
; IeeeMode: 1
; LDSByteSize: 4096 bytes/workgroup (compile time only)
; SGPRBlocks: 0
; VGPRBlocks: 2
; NumSGPRsForWavesPerEU: 11
; NumVGPRsForWavesPerEU: 34
; NamedBarCnt: 0
; Occupancy: 16
; WaveLimiterHint : 1
; COMPUTE_PGM_RSRC2:SCRATCH_EN: 0
; COMPUTE_PGM_RSRC2:USER_SGPR: 2
; COMPUTE_PGM_RSRC2:TRAP_HANDLER: 0
; COMPUTE_PGM_RSRC2:TGID_X_EN: 1
; COMPUTE_PGM_RSRC2:TGID_Y_EN: 0
; COMPUTE_PGM_RSRC2:TGID_Z_EN: 0
; COMPUTE_PGM_RSRC2:TIDIG_COMP_CNT: 0
	.section	.text._Z6kernelI14subtract_rightLj256ELj16ELb0EJPxS1_jEEvDpT3_,"axG",@progbits,_Z6kernelI14subtract_rightLj256ELj16ELb0EJPxS1_jEEvDpT3_,comdat
	.protected	_Z6kernelI14subtract_rightLj256ELj16ELb0EJPxS1_jEEvDpT3_ ; -- Begin function _Z6kernelI14subtract_rightLj256ELj16ELb0EJPxS1_jEEvDpT3_
	.globl	_Z6kernelI14subtract_rightLj256ELj16ELb0EJPxS1_jEEvDpT3_
	.p2align	8
	.type	_Z6kernelI14subtract_rightLj256ELj16ELb0EJPxS1_jEEvDpT3_,@function
_Z6kernelI14subtract_rightLj256ELj16ELb0EJPxS1_jEEvDpT3_: ; @_Z6kernelI14subtract_rightLj256ELj16ELb0EJPxS1_jEEvDpT3_
; %bb.0:
	s_load_b128 s[4:7], s[0:1], 0x0
	s_bfe_u32 s2, ttmp6, 0x4000c
	s_and_b32 s3, ttmp6, 15
	s_add_co_i32 s2, s2, 1
	s_getreg_b32 s8, hwreg(HW_REG_IB_STS2, 6, 4)
	s_mul_i32 s2, ttmp9, s2
	s_wait_xcnt 0x0
	s_load_b32 s0, s[0:1], 0x10
	s_add_co_i32 s3, s3, s2
	s_cmp_eq_u32 s8, 0
	s_cselect_b32 s2, ttmp9, s3
	s_mov_b32 s3, 0
	s_lshl_b32 s2, s2, 12
	s_delay_alu instid0(SALU_CYCLE_1)
	s_lshl_b64 s[2:3], s[2:3], 3
	s_wait_kmcnt 0x0
	s_add_nc_u64 s[4:5], s[4:5], s[2:3]
	s_clause 0xf
	global_load_b64 v[32:33], v0, s[4:5] scale_offset
	global_load_b64 v[30:31], v0, s[4:5] offset:2048 scale_offset
	global_load_b64 v[28:29], v0, s[4:5] offset:4096 scale_offset
	;; [unrolled: 1-line block ×15, first 2 shown]
	s_cmp_eq_u32 s0, 0
	s_cbranch_scc1 .LBB82_5
; %bb.1:
	v_lshlrev_b32_e32 v1, 3, v0
	v_cmp_ne_u32_e32 vcc_lo, 0xff, v0
	s_branch .LBB82_3
.LBB82_2:                               ;   in Loop: Header=BB82_3 Depth=1
	s_or_b32 exec_lo, exec_lo, s1
	v_sub_nc_u64_e32 v[36:37], v[32:33], v[30:31]
	v_sub_nc_u64_e32 v[38:39], v[30:31], v[28:29]
	;; [unrolled: 1-line block ×13, first 2 shown]
	v_add_nc_u64_e32 v[32:33], v[36:37], v[32:33]
	v_sub_nc_u64_e32 v[36:37], v[6:7], v[4:5]
	v_add_nc_u64_e32 v[30:31], v[38:39], v[30:31]
	v_sub_nc_u64_e32 v[38:39], v[4:5], v[2:3]
	v_add_nc_u64_e32 v[28:29], v[40:41], v[28:29]
	v_add_nc_u64_e32 v[26:27], v[42:43], v[26:27]
	;; [unrolled: 1-line block ×14, first 2 shown]
	s_add_co_i32 s0, s0, -1
	s_delay_alu instid0(SALU_CYCLE_1)
	s_cmp_lg_u32 s0, 0
	s_barrier_signal -1
	s_barrier_wait -1
	s_cbranch_scc0 .LBB82_5
.LBB82_3:                               ; =>This Inner Loop Header: Depth=1
	s_wait_loadcnt 0x0
	v_mov_b64_e32 v[34:35], v[2:3]
	ds_store_b64 v1, v[32:33] offset:2048
	s_wait_dscnt 0x0
	s_barrier_signal -1
	s_barrier_wait -1
	s_and_saveexec_b32 s1, vcc_lo
	s_cbranch_execz .LBB82_2
; %bb.4:                                ;   in Loop: Header=BB82_3 Depth=1
	ds_load_b64 v[34:35], v1 offset:2056
	s_wait_dscnt 0x0
	v_sub_nc_u64_e32 v[34:35], v[2:3], v[34:35]
	s_branch .LBB82_2
.LBB82_5:
	s_add_nc_u64 s[0:1], s[6:7], s[2:3]
	s_wait_loadcnt 0xf
	global_store_b64 v0, v[32:33], s[0:1] scale_offset
	s_wait_loadcnt 0xe
	global_store_b64 v0, v[30:31], s[0:1] offset:2048 scale_offset
	s_wait_loadcnt 0xd
	global_store_b64 v0, v[28:29], s[0:1] offset:4096 scale_offset
	;; [unrolled: 2-line block ×15, first 2 shown]
	s_endpgm
	.section	.rodata,"a",@progbits
	.p2align	6, 0x0
	.amdhsa_kernel _Z6kernelI14subtract_rightLj256ELj16ELb0EJPxS1_jEEvDpT3_
		.amdhsa_group_segment_fixed_size 4096
		.amdhsa_private_segment_fixed_size 0
		.amdhsa_kernarg_size 20
		.amdhsa_user_sgpr_count 2
		.amdhsa_user_sgpr_dispatch_ptr 0
		.amdhsa_user_sgpr_queue_ptr 0
		.amdhsa_user_sgpr_kernarg_segment_ptr 1
		.amdhsa_user_sgpr_dispatch_id 0
		.amdhsa_user_sgpr_kernarg_preload_length 0
		.amdhsa_user_sgpr_kernarg_preload_offset 0
		.amdhsa_user_sgpr_private_segment_size 0
		.amdhsa_wavefront_size32 1
		.amdhsa_uses_dynamic_stack 0
		.amdhsa_enable_private_segment 0
		.amdhsa_system_sgpr_workgroup_id_x 1
		.amdhsa_system_sgpr_workgroup_id_y 0
		.amdhsa_system_sgpr_workgroup_id_z 0
		.amdhsa_system_sgpr_workgroup_info 0
		.amdhsa_system_vgpr_workitem_id 0
		.amdhsa_next_free_vgpr 62
		.amdhsa_next_free_sgpr 9
		.amdhsa_named_barrier_count 0
		.amdhsa_reserve_vcc 1
		.amdhsa_float_round_mode_32 0
		.amdhsa_float_round_mode_16_64 0
		.amdhsa_float_denorm_mode_32 3
		.amdhsa_float_denorm_mode_16_64 3
		.amdhsa_fp16_overflow 0
		.amdhsa_memory_ordered 1
		.amdhsa_forward_progress 1
		.amdhsa_inst_pref_size 7
		.amdhsa_round_robin_scheduling 0
		.amdhsa_exception_fp_ieee_invalid_op 0
		.amdhsa_exception_fp_denorm_src 0
		.amdhsa_exception_fp_ieee_div_zero 0
		.amdhsa_exception_fp_ieee_overflow 0
		.amdhsa_exception_fp_ieee_underflow 0
		.amdhsa_exception_fp_ieee_inexact 0
		.amdhsa_exception_int_div_zero 0
	.end_amdhsa_kernel
	.section	.text._Z6kernelI14subtract_rightLj256ELj16ELb0EJPxS1_jEEvDpT3_,"axG",@progbits,_Z6kernelI14subtract_rightLj256ELj16ELb0EJPxS1_jEEvDpT3_,comdat
.Lfunc_end82:
	.size	_Z6kernelI14subtract_rightLj256ELj16ELb0EJPxS1_jEEvDpT3_, .Lfunc_end82-_Z6kernelI14subtract_rightLj256ELj16ELb0EJPxS1_jEEvDpT3_
                                        ; -- End function
	.set _Z6kernelI14subtract_rightLj256ELj16ELb0EJPxS1_jEEvDpT3_.num_vgpr, 62
	.set _Z6kernelI14subtract_rightLj256ELj16ELb0EJPxS1_jEEvDpT3_.num_agpr, 0
	.set _Z6kernelI14subtract_rightLj256ELj16ELb0EJPxS1_jEEvDpT3_.numbered_sgpr, 9
	.set _Z6kernelI14subtract_rightLj256ELj16ELb0EJPxS1_jEEvDpT3_.num_named_barrier, 0
	.set _Z6kernelI14subtract_rightLj256ELj16ELb0EJPxS1_jEEvDpT3_.private_seg_size, 0
	.set _Z6kernelI14subtract_rightLj256ELj16ELb0EJPxS1_jEEvDpT3_.uses_vcc, 1
	.set _Z6kernelI14subtract_rightLj256ELj16ELb0EJPxS1_jEEvDpT3_.uses_flat_scratch, 0
	.set _Z6kernelI14subtract_rightLj256ELj16ELb0EJPxS1_jEEvDpT3_.has_dyn_sized_stack, 0
	.set _Z6kernelI14subtract_rightLj256ELj16ELb0EJPxS1_jEEvDpT3_.has_recursion, 0
	.set _Z6kernelI14subtract_rightLj256ELj16ELb0EJPxS1_jEEvDpT3_.has_indirect_call, 0
	.section	.AMDGPU.csdata,"",@progbits
; Kernel info:
; codeLenInByte = 772
; TotalNumSgprs: 11
; NumVgprs: 62
; ScratchSize: 0
; MemoryBound: 0
; FloatMode: 240
; IeeeMode: 1
; LDSByteSize: 4096 bytes/workgroup (compile time only)
; SGPRBlocks: 0
; VGPRBlocks: 3
; NumSGPRsForWavesPerEU: 11
; NumVGPRsForWavesPerEU: 62
; NamedBarCnt: 0
; Occupancy: 16
; WaveLimiterHint : 1
; COMPUTE_PGM_RSRC2:SCRATCH_EN: 0
; COMPUTE_PGM_RSRC2:USER_SGPR: 2
; COMPUTE_PGM_RSRC2:TRAP_HANDLER: 0
; COMPUTE_PGM_RSRC2:TGID_X_EN: 1
; COMPUTE_PGM_RSRC2:TGID_Y_EN: 0
; COMPUTE_PGM_RSRC2:TGID_Z_EN: 0
; COMPUTE_PGM_RSRC2:TIDIG_COMP_CNT: 0
	.section	.text._Z6kernelI14subtract_rightLj256ELj32ELb0EJPxS1_jEEvDpT3_,"axG",@progbits,_Z6kernelI14subtract_rightLj256ELj32ELb0EJPxS1_jEEvDpT3_,comdat
	.protected	_Z6kernelI14subtract_rightLj256ELj32ELb0EJPxS1_jEEvDpT3_ ; -- Begin function _Z6kernelI14subtract_rightLj256ELj32ELb0EJPxS1_jEEvDpT3_
	.globl	_Z6kernelI14subtract_rightLj256ELj32ELb0EJPxS1_jEEvDpT3_
	.p2align	8
	.type	_Z6kernelI14subtract_rightLj256ELj32ELb0EJPxS1_jEEvDpT3_,@function
_Z6kernelI14subtract_rightLj256ELj32ELb0EJPxS1_jEEvDpT3_: ; @_Z6kernelI14subtract_rightLj256ELj32ELb0EJPxS1_jEEvDpT3_
; %bb.0:
	s_load_b128 s[4:7], s[0:1], 0x0
	s_bfe_u32 s2, ttmp6, 0x4000c
	s_and_b32 s3, ttmp6, 15
	s_add_co_i32 s2, s2, 1
	s_getreg_b32 s8, hwreg(HW_REG_IB_STS2, 6, 4)
	s_mul_i32 s2, ttmp9, s2
	s_wait_xcnt 0x0
	s_load_b32 s0, s[0:1], 0x10
	s_add_co_i32 s3, s3, s2
	s_cmp_eq_u32 s8, 0
	s_cselect_b32 s2, ttmp9, s3
	s_mov_b32 s3, 0
	s_lshl_b32 s2, s2, 13
	s_delay_alu instid0(SALU_CYCLE_1)
	s_lshl_b64 s[2:3], s[2:3], 3
	s_wait_kmcnt 0x0
	s_add_nc_u64 s[4:5], s[4:5], s[2:3]
	s_clause 0x1f
	global_load_b64 v[52:53], v0, s[4:5] scale_offset
	global_load_b64 v[50:51], v0, s[4:5] offset:2048 scale_offset
	global_load_b64 v[48:49], v0, s[4:5] offset:4096 scale_offset
	;; [unrolled: 1-line block ×31, first 2 shown]
	s_cmp_eq_u32 s0, 0
	s_cbranch_scc1 .LBB83_5
; %bb.1:
	v_lshlrev_b32_e32 v1, 3, v0
	v_cmp_ne_u32_e32 vcc_lo, 0xff, v0
	s_branch .LBB83_3
.LBB83_2:                               ;   in Loop: Header=BB83_3 Depth=1
	s_or_b32 exec_lo, exec_lo, s1
	v_sub_nc_u64_e32 v[68:69], v[52:53], v[50:51]
	v_sub_nc_u64_e32 v[70:71], v[50:51], v[48:49]
	;; [unrolled: 1-line block ×5, first 2 shown]
	s_add_co_i32 s0, s0, -1
	v_add_nc_u64_e32 v[52:53], v[68:69], v[52:53]
	v_sub_nc_u64_e32 v[68:69], v[42:43], v[40:41]
	v_add_nc_u64_e32 v[50:51], v[70:71], v[50:51]
	v_sub_nc_u64_e32 v[70:71], v[40:41], v[38:39]
	;; [unrolled: 2-line block ×26, first 2 shown]
	v_add_nc_u64_e32 v[64:65], v[70:71], v[64:65]
	v_add_nc_u64_e32 v[62:63], v[72:73], v[62:63]
	;; [unrolled: 1-line block ×5, first 2 shown]
	s_cmp_lg_u32 s0, 0
	v_add_nc_u64_e32 v[56:57], v[68:69], v[56:57]
	s_barrier_signal -1
	s_barrier_wait -1
	s_cbranch_scc0 .LBB83_5
.LBB83_3:                               ; =>This Inner Loop Header: Depth=1
	s_wait_loadcnt 0x0
	v_mov_b64_e32 v[66:67], v[54:55]
	ds_store_b64 v1, v[52:53] offset:2048
	s_wait_dscnt 0x0
	s_barrier_signal -1
	s_barrier_wait -1
	s_and_saveexec_b32 s1, vcc_lo
	s_cbranch_execz .LBB83_2
; %bb.4:                                ;   in Loop: Header=BB83_3 Depth=1
	ds_load_b64 v[66:67], v1 offset:2056
	s_wait_dscnt 0x0
	v_sub_nc_u64_e32 v[66:67], v[54:55], v[66:67]
	s_branch .LBB83_2
.LBB83_5:
	s_add_nc_u64 s[0:1], s[6:7], s[2:3]
	s_wait_loadcnt 0x1f
	global_store_b64 v0, v[52:53], s[0:1] scale_offset
	s_wait_loadcnt 0x1e
	global_store_b64 v0, v[50:51], s[0:1] offset:2048 scale_offset
	s_wait_loadcnt 0x1d
	global_store_b64 v0, v[48:49], s[0:1] offset:4096 scale_offset
	;; [unrolled: 2-line block ×31, first 2 shown]
	s_sendmsg sendmsg(MSG_DEALLOC_VGPRS)
	s_endpgm
	.section	.rodata,"a",@progbits
	.p2align	6, 0x0
	.amdhsa_kernel _Z6kernelI14subtract_rightLj256ELj32ELb0EJPxS1_jEEvDpT3_
		.amdhsa_group_segment_fixed_size 4096
		.amdhsa_private_segment_fixed_size 0
		.amdhsa_kernarg_size 20
		.amdhsa_user_sgpr_count 2
		.amdhsa_user_sgpr_dispatch_ptr 0
		.amdhsa_user_sgpr_queue_ptr 0
		.amdhsa_user_sgpr_kernarg_segment_ptr 1
		.amdhsa_user_sgpr_dispatch_id 0
		.amdhsa_user_sgpr_kernarg_preload_length 0
		.amdhsa_user_sgpr_kernarg_preload_offset 0
		.amdhsa_user_sgpr_private_segment_size 0
		.amdhsa_wavefront_size32 1
		.amdhsa_uses_dynamic_stack 0
		.amdhsa_enable_private_segment 0
		.amdhsa_system_sgpr_workgroup_id_x 1
		.amdhsa_system_sgpr_workgroup_id_y 0
		.amdhsa_system_sgpr_workgroup_id_z 0
		.amdhsa_system_sgpr_workgroup_info 0
		.amdhsa_system_vgpr_workitem_id 0
		.amdhsa_next_free_vgpr 78
		.amdhsa_next_free_sgpr 9
		.amdhsa_named_barrier_count 0
		.amdhsa_reserve_vcc 1
		.amdhsa_float_round_mode_32 0
		.amdhsa_float_round_mode_16_64 0
		.amdhsa_float_denorm_mode_32 3
		.amdhsa_float_denorm_mode_16_64 3
		.amdhsa_fp16_overflow 0
		.amdhsa_memory_ordered 1
		.amdhsa_forward_progress 1
		.amdhsa_inst_pref_size 11
		.amdhsa_round_robin_scheduling 0
		.amdhsa_exception_fp_ieee_invalid_op 0
		.amdhsa_exception_fp_denorm_src 0
		.amdhsa_exception_fp_ieee_div_zero 0
		.amdhsa_exception_fp_ieee_overflow 0
		.amdhsa_exception_fp_ieee_underflow 0
		.amdhsa_exception_fp_ieee_inexact 0
		.amdhsa_exception_int_div_zero 0
	.end_amdhsa_kernel
	.section	.text._Z6kernelI14subtract_rightLj256ELj32ELb0EJPxS1_jEEvDpT3_,"axG",@progbits,_Z6kernelI14subtract_rightLj256ELj32ELb0EJPxS1_jEEvDpT3_,comdat
.Lfunc_end83:
	.size	_Z6kernelI14subtract_rightLj256ELj32ELb0EJPxS1_jEEvDpT3_, .Lfunc_end83-_Z6kernelI14subtract_rightLj256ELj32ELb0EJPxS1_jEEvDpT3_
                                        ; -- End function
	.set _Z6kernelI14subtract_rightLj256ELj32ELb0EJPxS1_jEEvDpT3_.num_vgpr, 78
	.set _Z6kernelI14subtract_rightLj256ELj32ELb0EJPxS1_jEEvDpT3_.num_agpr, 0
	.set _Z6kernelI14subtract_rightLj256ELj32ELb0EJPxS1_jEEvDpT3_.numbered_sgpr, 9
	.set _Z6kernelI14subtract_rightLj256ELj32ELb0EJPxS1_jEEvDpT3_.num_named_barrier, 0
	.set _Z6kernelI14subtract_rightLj256ELj32ELb0EJPxS1_jEEvDpT3_.private_seg_size, 0
	.set _Z6kernelI14subtract_rightLj256ELj32ELb0EJPxS1_jEEvDpT3_.uses_vcc, 1
	.set _Z6kernelI14subtract_rightLj256ELj32ELb0EJPxS1_jEEvDpT3_.uses_flat_scratch, 0
	.set _Z6kernelI14subtract_rightLj256ELj32ELb0EJPxS1_jEEvDpT3_.has_dyn_sized_stack, 0
	.set _Z6kernelI14subtract_rightLj256ELj32ELb0EJPxS1_jEEvDpT3_.has_recursion, 0
	.set _Z6kernelI14subtract_rightLj256ELj32ELb0EJPxS1_jEEvDpT3_.has_indirect_call, 0
	.section	.AMDGPU.csdata,"",@progbits
; Kernel info:
; codeLenInByte = 1348
; TotalNumSgprs: 11
; NumVgprs: 78
; ScratchSize: 0
; MemoryBound: 0
; FloatMode: 240
; IeeeMode: 1
; LDSByteSize: 4096 bytes/workgroup (compile time only)
; SGPRBlocks: 0
; VGPRBlocks: 4
; NumSGPRsForWavesPerEU: 11
; NumVGPRsForWavesPerEU: 78
; NamedBarCnt: 0
; Occupancy: 12
; WaveLimiterHint : 1
; COMPUTE_PGM_RSRC2:SCRATCH_EN: 0
; COMPUTE_PGM_RSRC2:USER_SGPR: 2
; COMPUTE_PGM_RSRC2:TRAP_HANDLER: 0
; COMPUTE_PGM_RSRC2:TGID_X_EN: 1
; COMPUTE_PGM_RSRC2:TGID_Y_EN: 0
; COMPUTE_PGM_RSRC2:TGID_Z_EN: 0
; COMPUTE_PGM_RSRC2:TIDIG_COMP_CNT: 0
	.section	.text._Z6kernelI14subtract_rightLj256ELj1ELb0EJPdS1_jEEvDpT3_,"axG",@progbits,_Z6kernelI14subtract_rightLj256ELj1ELb0EJPdS1_jEEvDpT3_,comdat
	.protected	_Z6kernelI14subtract_rightLj256ELj1ELb0EJPdS1_jEEvDpT3_ ; -- Begin function _Z6kernelI14subtract_rightLj256ELj1ELb0EJPdS1_jEEvDpT3_
	.globl	_Z6kernelI14subtract_rightLj256ELj1ELb0EJPdS1_jEEvDpT3_
	.p2align	8
	.type	_Z6kernelI14subtract_rightLj256ELj1ELb0EJPdS1_jEEvDpT3_,@function
_Z6kernelI14subtract_rightLj256ELj1ELb0EJPdS1_jEEvDpT3_: ; @_Z6kernelI14subtract_rightLj256ELj1ELb0EJPdS1_jEEvDpT3_
; %bb.0:
	s_load_b128 s[4:7], s[0:1], 0x0
	s_bfe_u32 s2, ttmp6, 0x4000c
	s_and_b32 s3, ttmp6, 15
	s_add_co_i32 s2, s2, 1
	s_getreg_b32 s8, hwreg(HW_REG_IB_STS2, 6, 4)
	s_mul_i32 s2, ttmp9, s2
	s_wait_xcnt 0x0
	s_load_b32 s0, s[0:1], 0x10
	s_add_co_i32 s3, s3, s2
	s_cmp_eq_u32 s8, 0
	s_cselect_b32 s2, ttmp9, s3
	s_mov_b32 s3, 0
	s_lshl_b32 s2, s2, 8
	s_delay_alu instid0(SALU_CYCLE_1)
	s_lshl_b64 s[2:3], s[2:3], 3
	s_wait_kmcnt 0x0
	s_add_nc_u64 s[4:5], s[4:5], s[2:3]
	global_load_b64 v[2:3], v0, s[4:5] scale_offset
	s_cmp_eq_u32 s0, 0
	s_cbranch_scc1 .LBB84_5
; %bb.1:
	v_lshlrev_b32_e32 v1, 3, v0
	v_cmp_ne_u32_e32 vcc_lo, 0xff, v0
	s_branch .LBB84_3
.LBB84_2:                               ;   in Loop: Header=BB84_3 Depth=1
	s_or_b32 exec_lo, exec_lo, s1
	s_delay_alu instid0(VALU_DEP_1) | instskip(SKIP_1) | instid1(SALU_CYCLE_1)
	v_add_f64_e32 v[2:3], v[2:3], v[4:5]
	s_add_co_i32 s0, s0, -1
	s_cmp_lg_u32 s0, 0
	s_barrier_signal -1
	s_barrier_wait -1
	s_cbranch_scc0 .LBB84_5
.LBB84_3:                               ; =>This Inner Loop Header: Depth=1
	s_wait_loadcnt 0x0
	s_delay_alu instid0(VALU_DEP_1)
	v_mov_b64_e32 v[4:5], v[2:3]
	ds_store_b64 v1, v[2:3] offset:2048
	s_wait_dscnt 0x0
	s_barrier_signal -1
	s_barrier_wait -1
	s_and_saveexec_b32 s1, vcc_lo
	s_cbranch_execz .LBB84_2
; %bb.4:                                ;   in Loop: Header=BB84_3 Depth=1
	ds_load_b64 v[4:5], v1 offset:2056
	s_wait_dscnt 0x0
	v_add_f64_e64 v[4:5], v[2:3], -v[4:5]
	s_branch .LBB84_2
.LBB84_5:
	s_add_nc_u64 s[0:1], s[6:7], s[2:3]
	s_wait_loadcnt 0x0
	global_store_b64 v0, v[2:3], s[0:1] scale_offset
	s_endpgm
	.section	.rodata,"a",@progbits
	.p2align	6, 0x0
	.amdhsa_kernel _Z6kernelI14subtract_rightLj256ELj1ELb0EJPdS1_jEEvDpT3_
		.amdhsa_group_segment_fixed_size 4096
		.amdhsa_private_segment_fixed_size 0
		.amdhsa_kernarg_size 20
		.amdhsa_user_sgpr_count 2
		.amdhsa_user_sgpr_dispatch_ptr 0
		.amdhsa_user_sgpr_queue_ptr 0
		.amdhsa_user_sgpr_kernarg_segment_ptr 1
		.amdhsa_user_sgpr_dispatch_id 0
		.amdhsa_user_sgpr_kernarg_preload_length 0
		.amdhsa_user_sgpr_kernarg_preload_offset 0
		.amdhsa_user_sgpr_private_segment_size 0
		.amdhsa_wavefront_size32 1
		.amdhsa_uses_dynamic_stack 0
		.amdhsa_enable_private_segment 0
		.amdhsa_system_sgpr_workgroup_id_x 1
		.amdhsa_system_sgpr_workgroup_id_y 0
		.amdhsa_system_sgpr_workgroup_id_z 0
		.amdhsa_system_sgpr_workgroup_info 0
		.amdhsa_system_vgpr_workitem_id 0
		.amdhsa_next_free_vgpr 6
		.amdhsa_next_free_sgpr 9
		.amdhsa_named_barrier_count 0
		.amdhsa_reserve_vcc 1
		.amdhsa_float_round_mode_32 0
		.amdhsa_float_round_mode_16_64 0
		.amdhsa_float_denorm_mode_32 3
		.amdhsa_float_denorm_mode_16_64 3
		.amdhsa_fp16_overflow 0
		.amdhsa_memory_ordered 1
		.amdhsa_forward_progress 1
		.amdhsa_inst_pref_size 2
		.amdhsa_round_robin_scheduling 0
		.amdhsa_exception_fp_ieee_invalid_op 0
		.amdhsa_exception_fp_denorm_src 0
		.amdhsa_exception_fp_ieee_div_zero 0
		.amdhsa_exception_fp_ieee_overflow 0
		.amdhsa_exception_fp_ieee_underflow 0
		.amdhsa_exception_fp_ieee_inexact 0
		.amdhsa_exception_int_div_zero 0
	.end_amdhsa_kernel
	.section	.text._Z6kernelI14subtract_rightLj256ELj1ELb0EJPdS1_jEEvDpT3_,"axG",@progbits,_Z6kernelI14subtract_rightLj256ELj1ELb0EJPdS1_jEEvDpT3_,comdat
.Lfunc_end84:
	.size	_Z6kernelI14subtract_rightLj256ELj1ELb0EJPdS1_jEEvDpT3_, .Lfunc_end84-_Z6kernelI14subtract_rightLj256ELj1ELb0EJPdS1_jEEvDpT3_
                                        ; -- End function
	.set _Z6kernelI14subtract_rightLj256ELj1ELb0EJPdS1_jEEvDpT3_.num_vgpr, 6
	.set _Z6kernelI14subtract_rightLj256ELj1ELb0EJPdS1_jEEvDpT3_.num_agpr, 0
	.set _Z6kernelI14subtract_rightLj256ELj1ELb0EJPdS1_jEEvDpT3_.numbered_sgpr, 9
	.set _Z6kernelI14subtract_rightLj256ELj1ELb0EJPdS1_jEEvDpT3_.num_named_barrier, 0
	.set _Z6kernelI14subtract_rightLj256ELj1ELb0EJPdS1_jEEvDpT3_.private_seg_size, 0
	.set _Z6kernelI14subtract_rightLj256ELj1ELb0EJPdS1_jEEvDpT3_.uses_vcc, 1
	.set _Z6kernelI14subtract_rightLj256ELj1ELb0EJPdS1_jEEvDpT3_.uses_flat_scratch, 0
	.set _Z6kernelI14subtract_rightLj256ELj1ELb0EJPdS1_jEEvDpT3_.has_dyn_sized_stack, 0
	.set _Z6kernelI14subtract_rightLj256ELj1ELb0EJPdS1_jEEvDpT3_.has_recursion, 0
	.set _Z6kernelI14subtract_rightLj256ELj1ELb0EJPdS1_jEEvDpT3_.has_indirect_call, 0
	.section	.AMDGPU.csdata,"",@progbits
; Kernel info:
; codeLenInByte = 236
; TotalNumSgprs: 11
; NumVgprs: 6
; ScratchSize: 0
; MemoryBound: 0
; FloatMode: 240
; IeeeMode: 1
; LDSByteSize: 4096 bytes/workgroup (compile time only)
; SGPRBlocks: 0
; VGPRBlocks: 0
; NumSGPRsForWavesPerEU: 11
; NumVGPRsForWavesPerEU: 6
; NamedBarCnt: 0
; Occupancy: 16
; WaveLimiterHint : 0
; COMPUTE_PGM_RSRC2:SCRATCH_EN: 0
; COMPUTE_PGM_RSRC2:USER_SGPR: 2
; COMPUTE_PGM_RSRC2:TRAP_HANDLER: 0
; COMPUTE_PGM_RSRC2:TGID_X_EN: 1
; COMPUTE_PGM_RSRC2:TGID_Y_EN: 0
; COMPUTE_PGM_RSRC2:TGID_Z_EN: 0
; COMPUTE_PGM_RSRC2:TIDIG_COMP_CNT: 0
	.section	.text._Z6kernelI14subtract_rightLj256ELj3ELb0EJPdS1_jEEvDpT3_,"axG",@progbits,_Z6kernelI14subtract_rightLj256ELj3ELb0EJPdS1_jEEvDpT3_,comdat
	.protected	_Z6kernelI14subtract_rightLj256ELj3ELb0EJPdS1_jEEvDpT3_ ; -- Begin function _Z6kernelI14subtract_rightLj256ELj3ELb0EJPdS1_jEEvDpT3_
	.globl	_Z6kernelI14subtract_rightLj256ELj3ELb0EJPdS1_jEEvDpT3_
	.p2align	8
	.type	_Z6kernelI14subtract_rightLj256ELj3ELb0EJPdS1_jEEvDpT3_,@function
_Z6kernelI14subtract_rightLj256ELj3ELb0EJPdS1_jEEvDpT3_: ; @_Z6kernelI14subtract_rightLj256ELj3ELb0EJPdS1_jEEvDpT3_
; %bb.0:
	s_load_b128 s[4:7], s[0:1], 0x0
	s_bfe_u32 s2, ttmp6, 0x4000c
	s_and_b32 s3, ttmp6, 15
	s_add_co_i32 s2, s2, 1
	s_getreg_b32 s8, hwreg(HW_REG_IB_STS2, 6, 4)
	s_mul_i32 s2, ttmp9, s2
	s_wait_xcnt 0x0
	s_load_b32 s0, s[0:1], 0x10
	s_add_co_i32 s3, s3, s2
	s_cmp_eq_u32 s8, 0
	s_cselect_b32 s2, ttmp9, s3
	s_mov_b32 s3, 0
	s_mulk_i32 s2, 0x300
	s_delay_alu instid0(SALU_CYCLE_1)
	s_lshl_b64 s[2:3], s[2:3], 3
	s_wait_kmcnt 0x0
	s_add_nc_u64 s[4:5], s[4:5], s[2:3]
	s_clause 0x2
	global_load_b64 v[6:7], v0, s[4:5] scale_offset
	global_load_b64 v[4:5], v0, s[4:5] offset:2048 scale_offset
	global_load_b64 v[2:3], v0, s[4:5] offset:4096 scale_offset
	s_cmp_eq_u32 s0, 0
	s_cbranch_scc1 .LBB85_5
; %bb.1:
	v_lshlrev_b32_e32 v1, 3, v0
	v_cmp_ne_u32_e32 vcc_lo, 0xff, v0
	s_branch .LBB85_3
.LBB85_2:                               ;   in Loop: Header=BB85_3 Depth=1
	s_or_b32 exec_lo, exec_lo, s1
	v_add_f64_e64 v[10:11], v[6:7], -v[4:5]
	v_add_f64_e64 v[12:13], v[4:5], -v[2:3]
	s_delay_alu instid0(VALU_DEP_3) | instskip(SKIP_1) | instid1(SALU_CYCLE_1)
	v_add_f64_e32 v[2:3], v[2:3], v[8:9]
	s_add_co_i32 s0, s0, -1
	s_cmp_lg_u32 s0, 0
	s_barrier_signal -1
	s_barrier_wait -1
	s_delay_alu instid0(VALU_DEP_3) | instskip(NEXT) | instid1(VALU_DEP_3)
	v_add_f64_e32 v[6:7], v[6:7], v[10:11]
	v_add_f64_e32 v[4:5], v[4:5], v[12:13]
	s_cbranch_scc0 .LBB85_5
.LBB85_3:                               ; =>This Inner Loop Header: Depth=1
	s_wait_loadcnt 0x0
	s_delay_alu instid0(VALU_DEP_3)
	v_mov_b64_e32 v[8:9], v[2:3]
	ds_store_b64 v1, v[6:7] offset:2048
	s_wait_dscnt 0x0
	s_barrier_signal -1
	s_barrier_wait -1
	s_and_saveexec_b32 s1, vcc_lo
	s_cbranch_execz .LBB85_2
; %bb.4:                                ;   in Loop: Header=BB85_3 Depth=1
	ds_load_b64 v[8:9], v1 offset:2056
	s_wait_dscnt 0x0
	v_add_f64_e64 v[8:9], v[2:3], -v[8:9]
	s_branch .LBB85_2
.LBB85_5:
	s_add_nc_u64 s[0:1], s[6:7], s[2:3]
	s_wait_loadcnt 0x2
	global_store_b64 v0, v[6:7], s[0:1] scale_offset
	s_wait_loadcnt 0x1
	global_store_b64 v0, v[4:5], s[0:1] offset:2048 scale_offset
	s_wait_loadcnt 0x0
	global_store_b64 v0, v[2:3], s[0:1] offset:4096 scale_offset
	s_endpgm
	.section	.rodata,"a",@progbits
	.p2align	6, 0x0
	.amdhsa_kernel _Z6kernelI14subtract_rightLj256ELj3ELb0EJPdS1_jEEvDpT3_
		.amdhsa_group_segment_fixed_size 4096
		.amdhsa_private_segment_fixed_size 0
		.amdhsa_kernarg_size 20
		.amdhsa_user_sgpr_count 2
		.amdhsa_user_sgpr_dispatch_ptr 0
		.amdhsa_user_sgpr_queue_ptr 0
		.amdhsa_user_sgpr_kernarg_segment_ptr 1
		.amdhsa_user_sgpr_dispatch_id 0
		.amdhsa_user_sgpr_kernarg_preload_length 0
		.amdhsa_user_sgpr_kernarg_preload_offset 0
		.amdhsa_user_sgpr_private_segment_size 0
		.amdhsa_wavefront_size32 1
		.amdhsa_uses_dynamic_stack 0
		.amdhsa_enable_private_segment 0
		.amdhsa_system_sgpr_workgroup_id_x 1
		.amdhsa_system_sgpr_workgroup_id_y 0
		.amdhsa_system_sgpr_workgroup_id_z 0
		.amdhsa_system_sgpr_workgroup_info 0
		.amdhsa_system_vgpr_workitem_id 0
		.amdhsa_next_free_vgpr 14
		.amdhsa_next_free_sgpr 9
		.amdhsa_named_barrier_count 0
		.amdhsa_reserve_vcc 1
		.amdhsa_float_round_mode_32 0
		.amdhsa_float_round_mode_16_64 0
		.amdhsa_float_denorm_mode_32 3
		.amdhsa_float_denorm_mode_16_64 3
		.amdhsa_fp16_overflow 0
		.amdhsa_memory_ordered 1
		.amdhsa_forward_progress 1
		.amdhsa_inst_pref_size 3
		.amdhsa_round_robin_scheduling 0
		.amdhsa_exception_fp_ieee_invalid_op 0
		.amdhsa_exception_fp_denorm_src 0
		.amdhsa_exception_fp_ieee_div_zero 0
		.amdhsa_exception_fp_ieee_overflow 0
		.amdhsa_exception_fp_ieee_underflow 0
		.amdhsa_exception_fp_ieee_inexact 0
		.amdhsa_exception_int_div_zero 0
	.end_amdhsa_kernel
	.section	.text._Z6kernelI14subtract_rightLj256ELj3ELb0EJPdS1_jEEvDpT3_,"axG",@progbits,_Z6kernelI14subtract_rightLj256ELj3ELb0EJPdS1_jEEvDpT3_,comdat
.Lfunc_end85:
	.size	_Z6kernelI14subtract_rightLj256ELj3ELb0EJPdS1_jEEvDpT3_, .Lfunc_end85-_Z6kernelI14subtract_rightLj256ELj3ELb0EJPdS1_jEEvDpT3_
                                        ; -- End function
	.set _Z6kernelI14subtract_rightLj256ELj3ELb0EJPdS1_jEEvDpT3_.num_vgpr, 14
	.set _Z6kernelI14subtract_rightLj256ELj3ELb0EJPdS1_jEEvDpT3_.num_agpr, 0
	.set _Z6kernelI14subtract_rightLj256ELj3ELb0EJPdS1_jEEvDpT3_.numbered_sgpr, 9
	.set _Z6kernelI14subtract_rightLj256ELj3ELb0EJPdS1_jEEvDpT3_.num_named_barrier, 0
	.set _Z6kernelI14subtract_rightLj256ELj3ELb0EJPdS1_jEEvDpT3_.private_seg_size, 0
	.set _Z6kernelI14subtract_rightLj256ELj3ELb0EJPdS1_jEEvDpT3_.uses_vcc, 1
	.set _Z6kernelI14subtract_rightLj256ELj3ELb0EJPdS1_jEEvDpT3_.uses_flat_scratch, 0
	.set _Z6kernelI14subtract_rightLj256ELj3ELb0EJPdS1_jEEvDpT3_.has_dyn_sized_stack, 0
	.set _Z6kernelI14subtract_rightLj256ELj3ELb0EJPdS1_jEEvDpT3_.has_recursion, 0
	.set _Z6kernelI14subtract_rightLj256ELj3ELb0EJPdS1_jEEvDpT3_.has_indirect_call, 0
	.section	.AMDGPU.csdata,"",@progbits
; Kernel info:
; codeLenInByte = 324
; TotalNumSgprs: 11
; NumVgprs: 14
; ScratchSize: 0
; MemoryBound: 0
; FloatMode: 240
; IeeeMode: 1
; LDSByteSize: 4096 bytes/workgroup (compile time only)
; SGPRBlocks: 0
; VGPRBlocks: 0
; NumSGPRsForWavesPerEU: 11
; NumVGPRsForWavesPerEU: 14
; NamedBarCnt: 0
; Occupancy: 16
; WaveLimiterHint : 1
; COMPUTE_PGM_RSRC2:SCRATCH_EN: 0
; COMPUTE_PGM_RSRC2:USER_SGPR: 2
; COMPUTE_PGM_RSRC2:TRAP_HANDLER: 0
; COMPUTE_PGM_RSRC2:TGID_X_EN: 1
; COMPUTE_PGM_RSRC2:TGID_Y_EN: 0
; COMPUTE_PGM_RSRC2:TGID_Z_EN: 0
; COMPUTE_PGM_RSRC2:TIDIG_COMP_CNT: 0
	.section	.text._Z6kernelI14subtract_rightLj256ELj4ELb0EJPdS1_jEEvDpT3_,"axG",@progbits,_Z6kernelI14subtract_rightLj256ELj4ELb0EJPdS1_jEEvDpT3_,comdat
	.protected	_Z6kernelI14subtract_rightLj256ELj4ELb0EJPdS1_jEEvDpT3_ ; -- Begin function _Z6kernelI14subtract_rightLj256ELj4ELb0EJPdS1_jEEvDpT3_
	.globl	_Z6kernelI14subtract_rightLj256ELj4ELb0EJPdS1_jEEvDpT3_
	.p2align	8
	.type	_Z6kernelI14subtract_rightLj256ELj4ELb0EJPdS1_jEEvDpT3_,@function
_Z6kernelI14subtract_rightLj256ELj4ELb0EJPdS1_jEEvDpT3_: ; @_Z6kernelI14subtract_rightLj256ELj4ELb0EJPdS1_jEEvDpT3_
; %bb.0:
	s_load_b128 s[4:7], s[0:1], 0x0
	s_bfe_u32 s2, ttmp6, 0x4000c
	s_and_b32 s3, ttmp6, 15
	s_add_co_i32 s2, s2, 1
	s_getreg_b32 s8, hwreg(HW_REG_IB_STS2, 6, 4)
	s_mul_i32 s2, ttmp9, s2
	s_wait_xcnt 0x0
	s_load_b32 s0, s[0:1], 0x10
	s_add_co_i32 s3, s3, s2
	s_cmp_eq_u32 s8, 0
	s_cselect_b32 s2, ttmp9, s3
	s_mov_b32 s3, 0
	s_lshl_b32 s2, s2, 10
	s_delay_alu instid0(SALU_CYCLE_1)
	s_lshl_b64 s[2:3], s[2:3], 3
	s_wait_kmcnt 0x0
	s_add_nc_u64 s[4:5], s[4:5], s[2:3]
	s_clause 0x3
	global_load_b64 v[8:9], v0, s[4:5] scale_offset
	global_load_b64 v[6:7], v0, s[4:5] offset:2048 scale_offset
	global_load_b64 v[4:5], v0, s[4:5] offset:4096 scale_offset
	;; [unrolled: 1-line block ×3, first 2 shown]
	s_cmp_eq_u32 s0, 0
	s_cbranch_scc1 .LBB86_5
; %bb.1:
	v_lshlrev_b32_e32 v1, 3, v0
	v_cmp_ne_u32_e32 vcc_lo, 0xff, v0
	s_branch .LBB86_3
.LBB86_2:                               ;   in Loop: Header=BB86_3 Depth=1
	s_or_b32 exec_lo, exec_lo, s1
	v_add_f64_e64 v[12:13], v[8:9], -v[6:7]
	v_add_f64_e64 v[14:15], v[6:7], -v[4:5]
	v_add_f64_e64 v[16:17], v[4:5], -v[2:3]
	s_delay_alu instid0(VALU_DEP_4) | instskip(SKIP_1) | instid1(SALU_CYCLE_1)
	v_add_f64_e32 v[2:3], v[2:3], v[10:11]
	s_add_co_i32 s0, s0, -1
	s_cmp_lg_u32 s0, 0
	s_barrier_signal -1
	s_barrier_wait -1
	s_delay_alu instid0(VALU_DEP_4) | instskip(NEXT) | instid1(VALU_DEP_4)
	v_add_f64_e32 v[8:9], v[8:9], v[12:13]
	v_add_f64_e32 v[6:7], v[6:7], v[14:15]
	s_delay_alu instid0(VALU_DEP_4)
	v_add_f64_e32 v[4:5], v[4:5], v[16:17]
	s_cbranch_scc0 .LBB86_5
.LBB86_3:                               ; =>This Inner Loop Header: Depth=1
	s_wait_loadcnt 0x0
	s_delay_alu instid0(VALU_DEP_4)
	v_mov_b64_e32 v[10:11], v[2:3]
	ds_store_b64 v1, v[8:9] offset:2048
	s_wait_dscnt 0x0
	s_barrier_signal -1
	s_barrier_wait -1
	s_and_saveexec_b32 s1, vcc_lo
	s_cbranch_execz .LBB86_2
; %bb.4:                                ;   in Loop: Header=BB86_3 Depth=1
	ds_load_b64 v[10:11], v1 offset:2056
	s_wait_dscnt 0x0
	v_add_f64_e64 v[10:11], v[2:3], -v[10:11]
	s_branch .LBB86_2
.LBB86_5:
	s_add_nc_u64 s[0:1], s[6:7], s[2:3]
	s_wait_loadcnt 0x3
	global_store_b64 v0, v[8:9], s[0:1] scale_offset
	s_wait_loadcnt 0x2
	global_store_b64 v0, v[6:7], s[0:1] offset:2048 scale_offset
	s_wait_loadcnt 0x1
	global_store_b64 v0, v[4:5], s[0:1] offset:4096 scale_offset
	s_wait_loadcnt 0x0
	global_store_b64 v0, v[2:3], s[0:1] offset:6144 scale_offset
	s_endpgm
	.section	.rodata,"a",@progbits
	.p2align	6, 0x0
	.amdhsa_kernel _Z6kernelI14subtract_rightLj256ELj4ELb0EJPdS1_jEEvDpT3_
		.amdhsa_group_segment_fixed_size 4096
		.amdhsa_private_segment_fixed_size 0
		.amdhsa_kernarg_size 20
		.amdhsa_user_sgpr_count 2
		.amdhsa_user_sgpr_dispatch_ptr 0
		.amdhsa_user_sgpr_queue_ptr 0
		.amdhsa_user_sgpr_kernarg_segment_ptr 1
		.amdhsa_user_sgpr_dispatch_id 0
		.amdhsa_user_sgpr_kernarg_preload_length 0
		.amdhsa_user_sgpr_kernarg_preload_offset 0
		.amdhsa_user_sgpr_private_segment_size 0
		.amdhsa_wavefront_size32 1
		.amdhsa_uses_dynamic_stack 0
		.amdhsa_enable_private_segment 0
		.amdhsa_system_sgpr_workgroup_id_x 1
		.amdhsa_system_sgpr_workgroup_id_y 0
		.amdhsa_system_sgpr_workgroup_id_z 0
		.amdhsa_system_sgpr_workgroup_info 0
		.amdhsa_system_vgpr_workitem_id 0
		.amdhsa_next_free_vgpr 18
		.amdhsa_next_free_sgpr 9
		.amdhsa_named_barrier_count 0
		.amdhsa_reserve_vcc 1
		.amdhsa_float_round_mode_32 0
		.amdhsa_float_round_mode_16_64 0
		.amdhsa_float_denorm_mode_32 3
		.amdhsa_float_denorm_mode_16_64 3
		.amdhsa_fp16_overflow 0
		.amdhsa_memory_ordered 1
		.amdhsa_forward_progress 1
		.amdhsa_inst_pref_size 3
		.amdhsa_round_robin_scheduling 0
		.amdhsa_exception_fp_ieee_invalid_op 0
		.amdhsa_exception_fp_denorm_src 0
		.amdhsa_exception_fp_ieee_div_zero 0
		.amdhsa_exception_fp_ieee_overflow 0
		.amdhsa_exception_fp_ieee_underflow 0
		.amdhsa_exception_fp_ieee_inexact 0
		.amdhsa_exception_int_div_zero 0
	.end_amdhsa_kernel
	.section	.text._Z6kernelI14subtract_rightLj256ELj4ELb0EJPdS1_jEEvDpT3_,"axG",@progbits,_Z6kernelI14subtract_rightLj256ELj4ELb0EJPdS1_jEEvDpT3_,comdat
.Lfunc_end86:
	.size	_Z6kernelI14subtract_rightLj256ELj4ELb0EJPdS1_jEEvDpT3_, .Lfunc_end86-_Z6kernelI14subtract_rightLj256ELj4ELb0EJPdS1_jEEvDpT3_
                                        ; -- End function
	.set _Z6kernelI14subtract_rightLj256ELj4ELb0EJPdS1_jEEvDpT3_.num_vgpr, 18
	.set _Z6kernelI14subtract_rightLj256ELj4ELb0EJPdS1_jEEvDpT3_.num_agpr, 0
	.set _Z6kernelI14subtract_rightLj256ELj4ELb0EJPdS1_jEEvDpT3_.numbered_sgpr, 9
	.set _Z6kernelI14subtract_rightLj256ELj4ELb0EJPdS1_jEEvDpT3_.num_named_barrier, 0
	.set _Z6kernelI14subtract_rightLj256ELj4ELb0EJPdS1_jEEvDpT3_.private_seg_size, 0
	.set _Z6kernelI14subtract_rightLj256ELj4ELb0EJPdS1_jEEvDpT3_.uses_vcc, 1
	.set _Z6kernelI14subtract_rightLj256ELj4ELb0EJPdS1_jEEvDpT3_.uses_flat_scratch, 0
	.set _Z6kernelI14subtract_rightLj256ELj4ELb0EJPdS1_jEEvDpT3_.has_dyn_sized_stack, 0
	.set _Z6kernelI14subtract_rightLj256ELj4ELb0EJPdS1_jEEvDpT3_.has_recursion, 0
	.set _Z6kernelI14subtract_rightLj256ELj4ELb0EJPdS1_jEEvDpT3_.has_indirect_call, 0
	.section	.AMDGPU.csdata,"",@progbits
; Kernel info:
; codeLenInByte = 368
; TotalNumSgprs: 11
; NumVgprs: 18
; ScratchSize: 0
; MemoryBound: 0
; FloatMode: 240
; IeeeMode: 1
; LDSByteSize: 4096 bytes/workgroup (compile time only)
; SGPRBlocks: 0
; VGPRBlocks: 1
; NumSGPRsForWavesPerEU: 11
; NumVGPRsForWavesPerEU: 18
; NamedBarCnt: 0
; Occupancy: 16
; WaveLimiterHint : 1
; COMPUTE_PGM_RSRC2:SCRATCH_EN: 0
; COMPUTE_PGM_RSRC2:USER_SGPR: 2
; COMPUTE_PGM_RSRC2:TRAP_HANDLER: 0
; COMPUTE_PGM_RSRC2:TGID_X_EN: 1
; COMPUTE_PGM_RSRC2:TGID_Y_EN: 0
; COMPUTE_PGM_RSRC2:TGID_Z_EN: 0
; COMPUTE_PGM_RSRC2:TIDIG_COMP_CNT: 0
	.section	.text._Z6kernelI14subtract_rightLj256ELj8ELb0EJPdS1_jEEvDpT3_,"axG",@progbits,_Z6kernelI14subtract_rightLj256ELj8ELb0EJPdS1_jEEvDpT3_,comdat
	.protected	_Z6kernelI14subtract_rightLj256ELj8ELb0EJPdS1_jEEvDpT3_ ; -- Begin function _Z6kernelI14subtract_rightLj256ELj8ELb0EJPdS1_jEEvDpT3_
	.globl	_Z6kernelI14subtract_rightLj256ELj8ELb0EJPdS1_jEEvDpT3_
	.p2align	8
	.type	_Z6kernelI14subtract_rightLj256ELj8ELb0EJPdS1_jEEvDpT3_,@function
_Z6kernelI14subtract_rightLj256ELj8ELb0EJPdS1_jEEvDpT3_: ; @_Z6kernelI14subtract_rightLj256ELj8ELb0EJPdS1_jEEvDpT3_
; %bb.0:
	s_load_b128 s[4:7], s[0:1], 0x0
	s_bfe_u32 s2, ttmp6, 0x4000c
	s_and_b32 s3, ttmp6, 15
	s_add_co_i32 s2, s2, 1
	s_getreg_b32 s8, hwreg(HW_REG_IB_STS2, 6, 4)
	s_mul_i32 s2, ttmp9, s2
	s_wait_xcnt 0x0
	s_load_b32 s0, s[0:1], 0x10
	s_add_co_i32 s3, s3, s2
	s_cmp_eq_u32 s8, 0
	s_cselect_b32 s2, ttmp9, s3
	s_mov_b32 s3, 0
	s_lshl_b32 s2, s2, 11
	s_delay_alu instid0(SALU_CYCLE_1)
	s_lshl_b64 s[2:3], s[2:3], 3
	s_wait_kmcnt 0x0
	s_add_nc_u64 s[4:5], s[4:5], s[2:3]
	s_clause 0x7
	global_load_b64 v[16:17], v0, s[4:5] scale_offset
	global_load_b64 v[14:15], v0, s[4:5] offset:2048 scale_offset
	global_load_b64 v[12:13], v0, s[4:5] offset:4096 scale_offset
	global_load_b64 v[10:11], v0, s[4:5] offset:6144 scale_offset
	global_load_b64 v[8:9], v0, s[4:5] offset:8192 scale_offset
	global_load_b64 v[6:7], v0, s[4:5] offset:10240 scale_offset
	global_load_b64 v[4:5], v0, s[4:5] offset:12288 scale_offset
	global_load_b64 v[2:3], v0, s[4:5] offset:14336 scale_offset
	s_cmp_eq_u32 s0, 0
	s_cbranch_scc1 .LBB87_5
; %bb.1:
	v_lshlrev_b32_e32 v1, 3, v0
	v_cmp_ne_u32_e32 vcc_lo, 0xff, v0
	s_branch .LBB87_3
.LBB87_2:                               ;   in Loop: Header=BB87_3 Depth=1
	s_or_b32 exec_lo, exec_lo, s1
	v_add_f64_e64 v[20:21], v[16:17], -v[14:15]
	v_add_f64_e64 v[22:23], v[14:15], -v[12:13]
	;; [unrolled: 1-line block ×7, first 2 shown]
	v_add_f64_e32 v[2:3], v[2:3], v[18:19]
	s_add_co_i32 s0, s0, -1
	s_delay_alu instid0(SALU_CYCLE_1)
	s_cmp_lg_u32 s0, 0
	s_barrier_signal -1
	s_barrier_wait -1
	v_add_f64_e32 v[16:17], v[16:17], v[20:21]
	v_add_f64_e32 v[14:15], v[14:15], v[22:23]
	;; [unrolled: 1-line block ×7, first 2 shown]
	s_cbranch_scc0 .LBB87_5
.LBB87_3:                               ; =>This Inner Loop Header: Depth=1
	s_wait_loadcnt 0x0
	v_mov_b64_e32 v[18:19], v[2:3]
	ds_store_b64 v1, v[16:17] offset:2048
	s_wait_dscnt 0x0
	s_barrier_signal -1
	s_barrier_wait -1
	s_and_saveexec_b32 s1, vcc_lo
	s_cbranch_execz .LBB87_2
; %bb.4:                                ;   in Loop: Header=BB87_3 Depth=1
	ds_load_b64 v[18:19], v1 offset:2056
	s_wait_dscnt 0x0
	v_add_f64_e64 v[18:19], v[2:3], -v[18:19]
	s_branch .LBB87_2
.LBB87_5:
	s_add_nc_u64 s[0:1], s[6:7], s[2:3]
	s_wait_loadcnt 0x7
	global_store_b64 v0, v[16:17], s[0:1] scale_offset
	s_wait_loadcnt 0x6
	global_store_b64 v0, v[14:15], s[0:1] offset:2048 scale_offset
	s_wait_loadcnt 0x5
	global_store_b64 v0, v[12:13], s[0:1] offset:4096 scale_offset
	;; [unrolled: 2-line block ×7, first 2 shown]
	s_endpgm
	.section	.rodata,"a",@progbits
	.p2align	6, 0x0
	.amdhsa_kernel _Z6kernelI14subtract_rightLj256ELj8ELb0EJPdS1_jEEvDpT3_
		.amdhsa_group_segment_fixed_size 4096
		.amdhsa_private_segment_fixed_size 0
		.amdhsa_kernarg_size 20
		.amdhsa_user_sgpr_count 2
		.amdhsa_user_sgpr_dispatch_ptr 0
		.amdhsa_user_sgpr_queue_ptr 0
		.amdhsa_user_sgpr_kernarg_segment_ptr 1
		.amdhsa_user_sgpr_dispatch_id 0
		.amdhsa_user_sgpr_kernarg_preload_length 0
		.amdhsa_user_sgpr_kernarg_preload_offset 0
		.amdhsa_user_sgpr_private_segment_size 0
		.amdhsa_wavefront_size32 1
		.amdhsa_uses_dynamic_stack 0
		.amdhsa_enable_private_segment 0
		.amdhsa_system_sgpr_workgroup_id_x 1
		.amdhsa_system_sgpr_workgroup_id_y 0
		.amdhsa_system_sgpr_workgroup_id_z 0
		.amdhsa_system_sgpr_workgroup_info 0
		.amdhsa_system_vgpr_workitem_id 0
		.amdhsa_next_free_vgpr 34
		.amdhsa_next_free_sgpr 9
		.amdhsa_named_barrier_count 0
		.amdhsa_reserve_vcc 1
		.amdhsa_float_round_mode_32 0
		.amdhsa_float_round_mode_16_64 0
		.amdhsa_float_denorm_mode_32 3
		.amdhsa_float_denorm_mode_16_64 3
		.amdhsa_fp16_overflow 0
		.amdhsa_memory_ordered 1
		.amdhsa_forward_progress 1
		.amdhsa_inst_pref_size 5
		.amdhsa_round_robin_scheduling 0
		.amdhsa_exception_fp_ieee_invalid_op 0
		.amdhsa_exception_fp_denorm_src 0
		.amdhsa_exception_fp_ieee_div_zero 0
		.amdhsa_exception_fp_ieee_overflow 0
		.amdhsa_exception_fp_ieee_underflow 0
		.amdhsa_exception_fp_ieee_inexact 0
		.amdhsa_exception_int_div_zero 0
	.end_amdhsa_kernel
	.section	.text._Z6kernelI14subtract_rightLj256ELj8ELb0EJPdS1_jEEvDpT3_,"axG",@progbits,_Z6kernelI14subtract_rightLj256ELj8ELb0EJPdS1_jEEvDpT3_,comdat
.Lfunc_end87:
	.size	_Z6kernelI14subtract_rightLj256ELj8ELb0EJPdS1_jEEvDpT3_, .Lfunc_end87-_Z6kernelI14subtract_rightLj256ELj8ELb0EJPdS1_jEEvDpT3_
                                        ; -- End function
	.set _Z6kernelI14subtract_rightLj256ELj8ELb0EJPdS1_jEEvDpT3_.num_vgpr, 34
	.set _Z6kernelI14subtract_rightLj256ELj8ELb0EJPdS1_jEEvDpT3_.num_agpr, 0
	.set _Z6kernelI14subtract_rightLj256ELj8ELb0EJPdS1_jEEvDpT3_.numbered_sgpr, 9
	.set _Z6kernelI14subtract_rightLj256ELj8ELb0EJPdS1_jEEvDpT3_.num_named_barrier, 0
	.set _Z6kernelI14subtract_rightLj256ELj8ELb0EJPdS1_jEEvDpT3_.private_seg_size, 0
	.set _Z6kernelI14subtract_rightLj256ELj8ELb0EJPdS1_jEEvDpT3_.uses_vcc, 1
	.set _Z6kernelI14subtract_rightLj256ELj8ELb0EJPdS1_jEEvDpT3_.uses_flat_scratch, 0
	.set _Z6kernelI14subtract_rightLj256ELj8ELb0EJPdS1_jEEvDpT3_.has_dyn_sized_stack, 0
	.set _Z6kernelI14subtract_rightLj256ELj8ELb0EJPdS1_jEEvDpT3_.has_recursion, 0
	.set _Z6kernelI14subtract_rightLj256ELj8ELb0EJPdS1_jEEvDpT3_.has_indirect_call, 0
	.section	.AMDGPU.csdata,"",@progbits
; Kernel info:
; codeLenInByte = 516
; TotalNumSgprs: 11
; NumVgprs: 34
; ScratchSize: 0
; MemoryBound: 0
; FloatMode: 240
; IeeeMode: 1
; LDSByteSize: 4096 bytes/workgroup (compile time only)
; SGPRBlocks: 0
; VGPRBlocks: 2
; NumSGPRsForWavesPerEU: 11
; NumVGPRsForWavesPerEU: 34
; NamedBarCnt: 0
; Occupancy: 16
; WaveLimiterHint : 1
; COMPUTE_PGM_RSRC2:SCRATCH_EN: 0
; COMPUTE_PGM_RSRC2:USER_SGPR: 2
; COMPUTE_PGM_RSRC2:TRAP_HANDLER: 0
; COMPUTE_PGM_RSRC2:TGID_X_EN: 1
; COMPUTE_PGM_RSRC2:TGID_Y_EN: 0
; COMPUTE_PGM_RSRC2:TGID_Z_EN: 0
; COMPUTE_PGM_RSRC2:TIDIG_COMP_CNT: 0
	.section	.text._Z6kernelI14subtract_rightLj256ELj16ELb0EJPdS1_jEEvDpT3_,"axG",@progbits,_Z6kernelI14subtract_rightLj256ELj16ELb0EJPdS1_jEEvDpT3_,comdat
	.protected	_Z6kernelI14subtract_rightLj256ELj16ELb0EJPdS1_jEEvDpT3_ ; -- Begin function _Z6kernelI14subtract_rightLj256ELj16ELb0EJPdS1_jEEvDpT3_
	.globl	_Z6kernelI14subtract_rightLj256ELj16ELb0EJPdS1_jEEvDpT3_
	.p2align	8
	.type	_Z6kernelI14subtract_rightLj256ELj16ELb0EJPdS1_jEEvDpT3_,@function
_Z6kernelI14subtract_rightLj256ELj16ELb0EJPdS1_jEEvDpT3_: ; @_Z6kernelI14subtract_rightLj256ELj16ELb0EJPdS1_jEEvDpT3_
; %bb.0:
	s_load_b128 s[4:7], s[0:1], 0x0
	s_bfe_u32 s2, ttmp6, 0x4000c
	s_and_b32 s3, ttmp6, 15
	s_add_co_i32 s2, s2, 1
	s_getreg_b32 s8, hwreg(HW_REG_IB_STS2, 6, 4)
	s_mul_i32 s2, ttmp9, s2
	s_wait_xcnt 0x0
	s_load_b32 s0, s[0:1], 0x10
	s_add_co_i32 s3, s3, s2
	s_cmp_eq_u32 s8, 0
	s_cselect_b32 s2, ttmp9, s3
	s_mov_b32 s3, 0
	s_lshl_b32 s2, s2, 12
	s_delay_alu instid0(SALU_CYCLE_1)
	s_lshl_b64 s[2:3], s[2:3], 3
	s_wait_kmcnt 0x0
	s_add_nc_u64 s[4:5], s[4:5], s[2:3]
	s_clause 0xf
	global_load_b64 v[32:33], v0, s[4:5] scale_offset
	global_load_b64 v[30:31], v0, s[4:5] offset:2048 scale_offset
	global_load_b64 v[28:29], v0, s[4:5] offset:4096 scale_offset
	;; [unrolled: 1-line block ×15, first 2 shown]
	s_cmp_eq_u32 s0, 0
	s_cbranch_scc1 .LBB88_5
; %bb.1:
	v_lshlrev_b32_e32 v1, 3, v0
	v_cmp_ne_u32_e32 vcc_lo, 0xff, v0
	s_branch .LBB88_3
.LBB88_2:                               ;   in Loop: Header=BB88_3 Depth=1
	s_or_b32 exec_lo, exec_lo, s1
	v_add_f64_e64 v[36:37], v[32:33], -v[30:31]
	v_add_f64_e64 v[38:39], v[30:31], -v[28:29]
	;; [unrolled: 1-line block ×13, first 2 shown]
	s_add_co_i32 s0, s0, -1
	s_delay_alu instid0(SALU_CYCLE_1)
	s_cmp_lg_u32 s0, 0
	s_barrier_signal -1
	s_barrier_wait -1
	v_add_f64_e32 v[32:33], v[32:33], v[36:37]
	v_add_f64_e64 v[36:37], v[6:7], -v[4:5]
	v_add_f64_e32 v[30:31], v[30:31], v[38:39]
	v_add_f64_e64 v[38:39], v[4:5], -v[2:3]
	v_add_f64_e32 v[28:29], v[28:29], v[40:41]
	v_add_f64_e32 v[26:27], v[26:27], v[42:43]
	;; [unrolled: 1-line block ×14, first 2 shown]
	s_cbranch_scc0 .LBB88_5
.LBB88_3:                               ; =>This Inner Loop Header: Depth=1
	s_wait_loadcnt 0x0
	s_delay_alu instid0(VALU_DEP_3)
	v_mov_b64_e32 v[34:35], v[2:3]
	ds_store_b64 v1, v[32:33] offset:2048
	s_wait_dscnt 0x0
	s_barrier_signal -1
	s_barrier_wait -1
	s_and_saveexec_b32 s1, vcc_lo
	s_cbranch_execz .LBB88_2
; %bb.4:                                ;   in Loop: Header=BB88_3 Depth=1
	ds_load_b64 v[34:35], v1 offset:2056
	s_wait_dscnt 0x0
	v_add_f64_e64 v[34:35], v[2:3], -v[34:35]
	s_branch .LBB88_2
.LBB88_5:
	s_add_nc_u64 s[0:1], s[6:7], s[2:3]
	s_wait_loadcnt 0xf
	global_store_b64 v0, v[32:33], s[0:1] scale_offset
	s_wait_loadcnt 0xe
	global_store_b64 v0, v[30:31], s[0:1] offset:2048 scale_offset
	s_wait_loadcnt 0xd
	global_store_b64 v0, v[28:29], s[0:1] offset:4096 scale_offset
	;; [unrolled: 2-line block ×15, first 2 shown]
	s_endpgm
	.section	.rodata,"a",@progbits
	.p2align	6, 0x0
	.amdhsa_kernel _Z6kernelI14subtract_rightLj256ELj16ELb0EJPdS1_jEEvDpT3_
		.amdhsa_group_segment_fixed_size 4096
		.amdhsa_private_segment_fixed_size 0
		.amdhsa_kernarg_size 20
		.amdhsa_user_sgpr_count 2
		.amdhsa_user_sgpr_dispatch_ptr 0
		.amdhsa_user_sgpr_queue_ptr 0
		.amdhsa_user_sgpr_kernarg_segment_ptr 1
		.amdhsa_user_sgpr_dispatch_id 0
		.amdhsa_user_sgpr_kernarg_preload_length 0
		.amdhsa_user_sgpr_kernarg_preload_offset 0
		.amdhsa_user_sgpr_private_segment_size 0
		.amdhsa_wavefront_size32 1
		.amdhsa_uses_dynamic_stack 0
		.amdhsa_enable_private_segment 0
		.amdhsa_system_sgpr_workgroup_id_x 1
		.amdhsa_system_sgpr_workgroup_id_y 0
		.amdhsa_system_sgpr_workgroup_id_z 0
		.amdhsa_system_sgpr_workgroup_info 0
		.amdhsa_system_vgpr_workitem_id 0
		.amdhsa_next_free_vgpr 62
		.amdhsa_next_free_sgpr 9
		.amdhsa_named_barrier_count 0
		.amdhsa_reserve_vcc 1
		.amdhsa_float_round_mode_32 0
		.amdhsa_float_round_mode_16_64 0
		.amdhsa_float_denorm_mode_32 3
		.amdhsa_float_denorm_mode_16_64 3
		.amdhsa_fp16_overflow 0
		.amdhsa_memory_ordered 1
		.amdhsa_forward_progress 1
		.amdhsa_inst_pref_size 7
		.amdhsa_round_robin_scheduling 0
		.amdhsa_exception_fp_ieee_invalid_op 0
		.amdhsa_exception_fp_denorm_src 0
		.amdhsa_exception_fp_ieee_div_zero 0
		.amdhsa_exception_fp_ieee_overflow 0
		.amdhsa_exception_fp_ieee_underflow 0
		.amdhsa_exception_fp_ieee_inexact 0
		.amdhsa_exception_int_div_zero 0
	.end_amdhsa_kernel
	.section	.text._Z6kernelI14subtract_rightLj256ELj16ELb0EJPdS1_jEEvDpT3_,"axG",@progbits,_Z6kernelI14subtract_rightLj256ELj16ELb0EJPdS1_jEEvDpT3_,comdat
.Lfunc_end88:
	.size	_Z6kernelI14subtract_rightLj256ELj16ELb0EJPdS1_jEEvDpT3_, .Lfunc_end88-_Z6kernelI14subtract_rightLj256ELj16ELb0EJPdS1_jEEvDpT3_
                                        ; -- End function
	.set _Z6kernelI14subtract_rightLj256ELj16ELb0EJPdS1_jEEvDpT3_.num_vgpr, 62
	.set _Z6kernelI14subtract_rightLj256ELj16ELb0EJPdS1_jEEvDpT3_.num_agpr, 0
	.set _Z6kernelI14subtract_rightLj256ELj16ELb0EJPdS1_jEEvDpT3_.numbered_sgpr, 9
	.set _Z6kernelI14subtract_rightLj256ELj16ELb0EJPdS1_jEEvDpT3_.num_named_barrier, 0
	.set _Z6kernelI14subtract_rightLj256ELj16ELb0EJPdS1_jEEvDpT3_.private_seg_size, 0
	.set _Z6kernelI14subtract_rightLj256ELj16ELb0EJPdS1_jEEvDpT3_.uses_vcc, 1
	.set _Z6kernelI14subtract_rightLj256ELj16ELb0EJPdS1_jEEvDpT3_.uses_flat_scratch, 0
	.set _Z6kernelI14subtract_rightLj256ELj16ELb0EJPdS1_jEEvDpT3_.has_dyn_sized_stack, 0
	.set _Z6kernelI14subtract_rightLj256ELj16ELb0EJPdS1_jEEvDpT3_.has_recursion, 0
	.set _Z6kernelI14subtract_rightLj256ELj16ELb0EJPdS1_jEEvDpT3_.has_indirect_call, 0
	.section	.AMDGPU.csdata,"",@progbits
; Kernel info:
; codeLenInByte = 840
; TotalNumSgprs: 11
; NumVgprs: 62
; ScratchSize: 0
; MemoryBound: 0
; FloatMode: 240
; IeeeMode: 1
; LDSByteSize: 4096 bytes/workgroup (compile time only)
; SGPRBlocks: 0
; VGPRBlocks: 3
; NumSGPRsForWavesPerEU: 11
; NumVGPRsForWavesPerEU: 62
; NamedBarCnt: 0
; Occupancy: 16
; WaveLimiterHint : 1
; COMPUTE_PGM_RSRC2:SCRATCH_EN: 0
; COMPUTE_PGM_RSRC2:USER_SGPR: 2
; COMPUTE_PGM_RSRC2:TRAP_HANDLER: 0
; COMPUTE_PGM_RSRC2:TGID_X_EN: 1
; COMPUTE_PGM_RSRC2:TGID_Y_EN: 0
; COMPUTE_PGM_RSRC2:TGID_Z_EN: 0
; COMPUTE_PGM_RSRC2:TIDIG_COMP_CNT: 0
	.section	.text._Z6kernelI14subtract_rightLj256ELj32ELb0EJPdS1_jEEvDpT3_,"axG",@progbits,_Z6kernelI14subtract_rightLj256ELj32ELb0EJPdS1_jEEvDpT3_,comdat
	.protected	_Z6kernelI14subtract_rightLj256ELj32ELb0EJPdS1_jEEvDpT3_ ; -- Begin function _Z6kernelI14subtract_rightLj256ELj32ELb0EJPdS1_jEEvDpT3_
	.globl	_Z6kernelI14subtract_rightLj256ELj32ELb0EJPdS1_jEEvDpT3_
	.p2align	8
	.type	_Z6kernelI14subtract_rightLj256ELj32ELb0EJPdS1_jEEvDpT3_,@function
_Z6kernelI14subtract_rightLj256ELj32ELb0EJPdS1_jEEvDpT3_: ; @_Z6kernelI14subtract_rightLj256ELj32ELb0EJPdS1_jEEvDpT3_
; %bb.0:
	s_load_b128 s[4:7], s[0:1], 0x0
	s_bfe_u32 s2, ttmp6, 0x4000c
	s_and_b32 s3, ttmp6, 15
	s_add_co_i32 s2, s2, 1
	s_getreg_b32 s8, hwreg(HW_REG_IB_STS2, 6, 4)
	s_mul_i32 s2, ttmp9, s2
	s_wait_xcnt 0x0
	s_load_b32 s0, s[0:1], 0x10
	s_add_co_i32 s3, s3, s2
	s_cmp_eq_u32 s8, 0
	s_cselect_b32 s2, ttmp9, s3
	s_mov_b32 s3, 0
	s_lshl_b32 s2, s2, 13
	s_delay_alu instid0(SALU_CYCLE_1)
	s_lshl_b64 s[2:3], s[2:3], 3
	s_wait_kmcnt 0x0
	s_add_nc_u64 s[4:5], s[4:5], s[2:3]
	s_clause 0x1f
	global_load_b64 v[52:53], v0, s[4:5] scale_offset
	global_load_b64 v[50:51], v0, s[4:5] offset:2048 scale_offset
	global_load_b64 v[48:49], v0, s[4:5] offset:4096 scale_offset
	;; [unrolled: 1-line block ×31, first 2 shown]
	s_cmp_eq_u32 s0, 0
	s_cbranch_scc1 .LBB89_5
; %bb.1:
	v_lshlrev_b32_e32 v1, 3, v0
	v_cmp_ne_u32_e32 vcc_lo, 0xff, v0
	s_branch .LBB89_3
.LBB89_2:                               ;   in Loop: Header=BB89_3 Depth=1
	s_or_b32 exec_lo, exec_lo, s1
	v_add_f64_e64 v[68:69], v[52:53], -v[50:51]
	v_add_f64_e64 v[70:71], v[50:51], -v[48:49]
	;; [unrolled: 1-line block ×5, first 2 shown]
	s_add_co_i32 s0, s0, -1
	s_delay_alu instid0(SALU_CYCLE_1)
	s_cmp_lg_u32 s0, 0
	s_barrier_signal -1
	s_barrier_wait -1
	v_add_f64_e32 v[52:53], v[52:53], v[68:69]
	v_add_f64_e64 v[68:69], v[42:43], -v[40:41]
	v_add_f64_e32 v[50:51], v[50:51], v[70:71]
	v_add_f64_e64 v[70:71], v[40:41], -v[38:39]
	;; [unrolled: 2-line block ×26, first 2 shown]
	v_add_f64_e32 v[64:65], v[64:65], v[70:71]
	v_add_f64_e32 v[54:55], v[54:55], v[66:67]
	;; [unrolled: 1-line block ×6, first 2 shown]
	s_cbranch_scc0 .LBB89_5
.LBB89_3:                               ; =>This Inner Loop Header: Depth=1
	s_wait_loadcnt 0x0
	v_mov_b64_e32 v[66:67], v[54:55]
	ds_store_b64 v1, v[52:53] offset:2048
	s_wait_dscnt 0x0
	s_barrier_signal -1
	s_barrier_wait -1
	s_and_saveexec_b32 s1, vcc_lo
	s_cbranch_execz .LBB89_2
; %bb.4:                                ;   in Loop: Header=BB89_3 Depth=1
	ds_load_b64 v[66:67], v1 offset:2056
	s_wait_dscnt 0x0
	v_add_f64_e64 v[66:67], v[54:55], -v[66:67]
	s_branch .LBB89_2
.LBB89_5:
	s_add_nc_u64 s[0:1], s[6:7], s[2:3]
	s_wait_loadcnt 0x1f
	global_store_b64 v0, v[52:53], s[0:1] scale_offset
	s_wait_loadcnt 0x1e
	global_store_b64 v0, v[50:51], s[0:1] offset:2048 scale_offset
	s_wait_loadcnt 0x1d
	global_store_b64 v0, v[48:49], s[0:1] offset:4096 scale_offset
	;; [unrolled: 2-line block ×31, first 2 shown]
	s_sendmsg sendmsg(MSG_DEALLOC_VGPRS)
	s_endpgm
	.section	.rodata,"a",@progbits
	.p2align	6, 0x0
	.amdhsa_kernel _Z6kernelI14subtract_rightLj256ELj32ELb0EJPdS1_jEEvDpT3_
		.amdhsa_group_segment_fixed_size 4096
		.amdhsa_private_segment_fixed_size 0
		.amdhsa_kernarg_size 20
		.amdhsa_user_sgpr_count 2
		.amdhsa_user_sgpr_dispatch_ptr 0
		.amdhsa_user_sgpr_queue_ptr 0
		.amdhsa_user_sgpr_kernarg_segment_ptr 1
		.amdhsa_user_sgpr_dispatch_id 0
		.amdhsa_user_sgpr_kernarg_preload_length 0
		.amdhsa_user_sgpr_kernarg_preload_offset 0
		.amdhsa_user_sgpr_private_segment_size 0
		.amdhsa_wavefront_size32 1
		.amdhsa_uses_dynamic_stack 0
		.amdhsa_enable_private_segment 0
		.amdhsa_system_sgpr_workgroup_id_x 1
		.amdhsa_system_sgpr_workgroup_id_y 0
		.amdhsa_system_sgpr_workgroup_id_z 0
		.amdhsa_system_sgpr_workgroup_info 0
		.amdhsa_system_vgpr_workitem_id 0
		.amdhsa_next_free_vgpr 78
		.amdhsa_next_free_sgpr 9
		.amdhsa_named_barrier_count 0
		.amdhsa_reserve_vcc 1
		.amdhsa_float_round_mode_32 0
		.amdhsa_float_round_mode_16_64 0
		.amdhsa_float_denorm_mode_32 3
		.amdhsa_float_denorm_mode_16_64 3
		.amdhsa_fp16_overflow 0
		.amdhsa_memory_ordered 1
		.amdhsa_forward_progress 1
		.amdhsa_inst_pref_size 12
		.amdhsa_round_robin_scheduling 0
		.amdhsa_exception_fp_ieee_invalid_op 0
		.amdhsa_exception_fp_denorm_src 0
		.amdhsa_exception_fp_ieee_div_zero 0
		.amdhsa_exception_fp_ieee_overflow 0
		.amdhsa_exception_fp_ieee_underflow 0
		.amdhsa_exception_fp_ieee_inexact 0
		.amdhsa_exception_int_div_zero 0
	.end_amdhsa_kernel
	.section	.text._Z6kernelI14subtract_rightLj256ELj32ELb0EJPdS1_jEEvDpT3_,"axG",@progbits,_Z6kernelI14subtract_rightLj256ELj32ELb0EJPdS1_jEEvDpT3_,comdat
.Lfunc_end89:
	.size	_Z6kernelI14subtract_rightLj256ELj32ELb0EJPdS1_jEEvDpT3_, .Lfunc_end89-_Z6kernelI14subtract_rightLj256ELj32ELb0EJPdS1_jEEvDpT3_
                                        ; -- End function
	.set _Z6kernelI14subtract_rightLj256ELj32ELb0EJPdS1_jEEvDpT3_.num_vgpr, 78
	.set _Z6kernelI14subtract_rightLj256ELj32ELb0EJPdS1_jEEvDpT3_.num_agpr, 0
	.set _Z6kernelI14subtract_rightLj256ELj32ELb0EJPdS1_jEEvDpT3_.numbered_sgpr, 9
	.set _Z6kernelI14subtract_rightLj256ELj32ELb0EJPdS1_jEEvDpT3_.num_named_barrier, 0
	.set _Z6kernelI14subtract_rightLj256ELj32ELb0EJPdS1_jEEvDpT3_.private_seg_size, 0
	.set _Z6kernelI14subtract_rightLj256ELj32ELb0EJPdS1_jEEvDpT3_.uses_vcc, 1
	.set _Z6kernelI14subtract_rightLj256ELj32ELb0EJPdS1_jEEvDpT3_.uses_flat_scratch, 0
	.set _Z6kernelI14subtract_rightLj256ELj32ELb0EJPdS1_jEEvDpT3_.has_dyn_sized_stack, 0
	.set _Z6kernelI14subtract_rightLj256ELj32ELb0EJPdS1_jEEvDpT3_.has_recursion, 0
	.set _Z6kernelI14subtract_rightLj256ELj32ELb0EJPdS1_jEEvDpT3_.has_indirect_call, 0
	.section	.AMDGPU.csdata,"",@progbits
; Kernel info:
; codeLenInByte = 1480
; TotalNumSgprs: 11
; NumVgprs: 78
; ScratchSize: 0
; MemoryBound: 0
; FloatMode: 240
; IeeeMode: 1
; LDSByteSize: 4096 bytes/workgroup (compile time only)
; SGPRBlocks: 0
; VGPRBlocks: 4
; NumSGPRsForWavesPerEU: 11
; NumVGPRsForWavesPerEU: 78
; NamedBarCnt: 0
; Occupancy: 12
; WaveLimiterHint : 1
; COMPUTE_PGM_RSRC2:SCRATCH_EN: 0
; COMPUTE_PGM_RSRC2:USER_SGPR: 2
; COMPUTE_PGM_RSRC2:TRAP_HANDLER: 0
; COMPUTE_PGM_RSRC2:TGID_X_EN: 1
; COMPUTE_PGM_RSRC2:TGID_Y_EN: 0
; COMPUTE_PGM_RSRC2:TGID_Z_EN: 0
; COMPUTE_PGM_RSRC2:TIDIG_COMP_CNT: 0
	.section	.text._Z6kernelI14subtract_rightLj256ELj1ELb1EJPiS1_jEEvDpT3_,"axG",@progbits,_Z6kernelI14subtract_rightLj256ELj1ELb1EJPiS1_jEEvDpT3_,comdat
	.protected	_Z6kernelI14subtract_rightLj256ELj1ELb1EJPiS1_jEEvDpT3_ ; -- Begin function _Z6kernelI14subtract_rightLj256ELj1ELb1EJPiS1_jEEvDpT3_
	.globl	_Z6kernelI14subtract_rightLj256ELj1ELb1EJPiS1_jEEvDpT3_
	.p2align	8
	.type	_Z6kernelI14subtract_rightLj256ELj1ELb1EJPiS1_jEEvDpT3_,@function
_Z6kernelI14subtract_rightLj256ELj1ELb1EJPiS1_jEEvDpT3_: ; @_Z6kernelI14subtract_rightLj256ELj1ELb1EJPiS1_jEEvDpT3_
; %bb.0:
	s_load_b128 s[4:7], s[0:1], 0x0
	s_bfe_u32 s2, ttmp6, 0x4000c
	s_and_b32 s3, ttmp6, 15
	s_add_co_i32 s2, s2, 1
	s_getreg_b32 s8, hwreg(HW_REG_IB_STS2, 6, 4)
	s_mul_i32 s2, ttmp9, s2
	s_wait_xcnt 0x0
	s_load_b32 s0, s[0:1], 0x10
	s_add_co_i32 s3, s3, s2
	s_cmp_eq_u32 s8, 0
	s_cselect_b32 s2, ttmp9, s3
	s_mov_b32 s3, 0
	s_lshl_b32 s2, s2, 8
	s_delay_alu instid0(SALU_CYCLE_1)
	s_lshl_b64 s[2:3], s[2:3], 2
	s_wait_kmcnt 0x0
	s_add_nc_u64 s[4:5], s[4:5], s[2:3]
	global_load_b32 v1, v0, s[4:5] scale_offset
	s_cmp_eq_u32 s0, 0
	s_cbranch_scc1 .LBB90_5
; %bb.1:
	v_lshlrev_b32_e32 v2, 2, v0
	v_cmp_ne_u32_e32 vcc_lo, 0xff, v0
	s_branch .LBB90_3
.LBB90_2:                               ;   in Loop: Header=BB90_3 Depth=1
	s_or_b32 exec_lo, exec_lo, s1
	v_lshlrev_b32_e32 v1, 1, v1
	s_add_co_i32 s0, s0, -1
	s_wait_dscnt 0x0
	s_cmp_lg_u32 s0, 0
	s_barrier_signal -1
	v_sub_nc_u32_e32 v1, v1, v3
	s_barrier_wait -1
	s_cbranch_scc0 .LBB90_5
.LBB90_3:                               ; =>This Inner Loop Header: Depth=1
	v_mov_b32_e32 v3, 0x7b
	s_wait_loadcnt 0x0
	ds_store_b32 v2, v1 offset:1024
	s_wait_dscnt 0x0
	s_barrier_signal -1
	s_barrier_wait -1
	s_and_saveexec_b32 s1, vcc_lo
	s_cbranch_execz .LBB90_2
; %bb.4:                                ;   in Loop: Header=BB90_3 Depth=1
	ds_load_b32 v3, v2 offset:1028
	s_branch .LBB90_2
.LBB90_5:
	s_add_nc_u64 s[0:1], s[6:7], s[2:3]
	s_wait_loadcnt 0x0
	global_store_b32 v0, v1, s[0:1] scale_offset
	s_endpgm
	.section	.rodata,"a",@progbits
	.p2align	6, 0x0
	.amdhsa_kernel _Z6kernelI14subtract_rightLj256ELj1ELb1EJPiS1_jEEvDpT3_
		.amdhsa_group_segment_fixed_size 2048
		.amdhsa_private_segment_fixed_size 0
		.amdhsa_kernarg_size 20
		.amdhsa_user_sgpr_count 2
		.amdhsa_user_sgpr_dispatch_ptr 0
		.amdhsa_user_sgpr_queue_ptr 0
		.amdhsa_user_sgpr_kernarg_segment_ptr 1
		.amdhsa_user_sgpr_dispatch_id 0
		.amdhsa_user_sgpr_kernarg_preload_length 0
		.amdhsa_user_sgpr_kernarg_preload_offset 0
		.amdhsa_user_sgpr_private_segment_size 0
		.amdhsa_wavefront_size32 1
		.amdhsa_uses_dynamic_stack 0
		.amdhsa_enable_private_segment 0
		.amdhsa_system_sgpr_workgroup_id_x 1
		.amdhsa_system_sgpr_workgroup_id_y 0
		.amdhsa_system_sgpr_workgroup_id_z 0
		.amdhsa_system_sgpr_workgroup_info 0
		.amdhsa_system_vgpr_workitem_id 0
		.amdhsa_next_free_vgpr 4
		.amdhsa_next_free_sgpr 9
		.amdhsa_named_barrier_count 0
		.amdhsa_reserve_vcc 1
		.amdhsa_float_round_mode_32 0
		.amdhsa_float_round_mode_16_64 0
		.amdhsa_float_denorm_mode_32 3
		.amdhsa_float_denorm_mode_16_64 3
		.amdhsa_fp16_overflow 0
		.amdhsa_memory_ordered 1
		.amdhsa_forward_progress 1
		.amdhsa_inst_pref_size 2
		.amdhsa_round_robin_scheduling 0
		.amdhsa_exception_fp_ieee_invalid_op 0
		.amdhsa_exception_fp_denorm_src 0
		.amdhsa_exception_fp_ieee_div_zero 0
		.amdhsa_exception_fp_ieee_overflow 0
		.amdhsa_exception_fp_ieee_underflow 0
		.amdhsa_exception_fp_ieee_inexact 0
		.amdhsa_exception_int_div_zero 0
	.end_amdhsa_kernel
	.section	.text._Z6kernelI14subtract_rightLj256ELj1ELb1EJPiS1_jEEvDpT3_,"axG",@progbits,_Z6kernelI14subtract_rightLj256ELj1ELb1EJPiS1_jEEvDpT3_,comdat
.Lfunc_end90:
	.size	_Z6kernelI14subtract_rightLj256ELj1ELb1EJPiS1_jEEvDpT3_, .Lfunc_end90-_Z6kernelI14subtract_rightLj256ELj1ELb1EJPiS1_jEEvDpT3_
                                        ; -- End function
	.set _Z6kernelI14subtract_rightLj256ELj1ELb1EJPiS1_jEEvDpT3_.num_vgpr, 4
	.set _Z6kernelI14subtract_rightLj256ELj1ELb1EJPiS1_jEEvDpT3_.num_agpr, 0
	.set _Z6kernelI14subtract_rightLj256ELj1ELb1EJPiS1_jEEvDpT3_.numbered_sgpr, 9
	.set _Z6kernelI14subtract_rightLj256ELj1ELb1EJPiS1_jEEvDpT3_.num_named_barrier, 0
	.set _Z6kernelI14subtract_rightLj256ELj1ELb1EJPiS1_jEEvDpT3_.private_seg_size, 0
	.set _Z6kernelI14subtract_rightLj256ELj1ELb1EJPiS1_jEEvDpT3_.uses_vcc, 1
	.set _Z6kernelI14subtract_rightLj256ELj1ELb1EJPiS1_jEEvDpT3_.uses_flat_scratch, 0
	.set _Z6kernelI14subtract_rightLj256ELj1ELb1EJPiS1_jEEvDpT3_.has_dyn_sized_stack, 0
	.set _Z6kernelI14subtract_rightLj256ELj1ELb1EJPiS1_jEEvDpT3_.has_recursion, 0
	.set _Z6kernelI14subtract_rightLj256ELj1ELb1EJPiS1_jEEvDpT3_.has_indirect_call, 0
	.section	.AMDGPU.csdata,"",@progbits
; Kernel info:
; codeLenInByte = 228
; TotalNumSgprs: 11
; NumVgprs: 4
; ScratchSize: 0
; MemoryBound: 0
; FloatMode: 240
; IeeeMode: 1
; LDSByteSize: 2048 bytes/workgroup (compile time only)
; SGPRBlocks: 0
; VGPRBlocks: 0
; NumSGPRsForWavesPerEU: 11
; NumVGPRsForWavesPerEU: 4
; NamedBarCnt: 0
; Occupancy: 16
; WaveLimiterHint : 0
; COMPUTE_PGM_RSRC2:SCRATCH_EN: 0
; COMPUTE_PGM_RSRC2:USER_SGPR: 2
; COMPUTE_PGM_RSRC2:TRAP_HANDLER: 0
; COMPUTE_PGM_RSRC2:TGID_X_EN: 1
; COMPUTE_PGM_RSRC2:TGID_Y_EN: 0
; COMPUTE_PGM_RSRC2:TGID_Z_EN: 0
; COMPUTE_PGM_RSRC2:TIDIG_COMP_CNT: 0
	.section	.text._Z6kernelI14subtract_rightLj256ELj3ELb1EJPiS1_jEEvDpT3_,"axG",@progbits,_Z6kernelI14subtract_rightLj256ELj3ELb1EJPiS1_jEEvDpT3_,comdat
	.protected	_Z6kernelI14subtract_rightLj256ELj3ELb1EJPiS1_jEEvDpT3_ ; -- Begin function _Z6kernelI14subtract_rightLj256ELj3ELb1EJPiS1_jEEvDpT3_
	.globl	_Z6kernelI14subtract_rightLj256ELj3ELb1EJPiS1_jEEvDpT3_
	.p2align	8
	.type	_Z6kernelI14subtract_rightLj256ELj3ELb1EJPiS1_jEEvDpT3_,@function
_Z6kernelI14subtract_rightLj256ELj3ELb1EJPiS1_jEEvDpT3_: ; @_Z6kernelI14subtract_rightLj256ELj3ELb1EJPiS1_jEEvDpT3_
; %bb.0:
	s_load_b128 s[4:7], s[0:1], 0x0
	s_bfe_u32 s2, ttmp6, 0x4000c
	s_and_b32 s3, ttmp6, 15
	s_add_co_i32 s2, s2, 1
	s_getreg_b32 s8, hwreg(HW_REG_IB_STS2, 6, 4)
	s_mul_i32 s2, ttmp9, s2
	s_wait_xcnt 0x0
	s_load_b32 s0, s[0:1], 0x10
	s_add_co_i32 s3, s3, s2
	s_cmp_eq_u32 s8, 0
	s_cselect_b32 s2, ttmp9, s3
	s_mov_b32 s3, 0
	s_mulk_i32 s2, 0x300
	s_delay_alu instid0(SALU_CYCLE_1)
	s_lshl_b64 s[2:3], s[2:3], 2
	s_wait_kmcnt 0x0
	s_add_nc_u64 s[4:5], s[4:5], s[2:3]
	s_clause 0x2
	global_load_b32 v3, v0, s[4:5] scale_offset
	global_load_b32 v2, v0, s[4:5] offset:1024 scale_offset
	global_load_b32 v1, v0, s[4:5] offset:2048 scale_offset
	s_cmp_eq_u32 s0, 0
	s_cbranch_scc1 .LBB91_5
; %bb.1:
	v_lshlrev_b32_e32 v4, 2, v0
	v_cmp_ne_u32_e32 vcc_lo, 0xff, v0
	s_branch .LBB91_3
.LBB91_2:                               ;   in Loop: Header=BB91_3 Depth=1
	s_or_b32 exec_lo, exec_lo, s1
	v_dual_lshlrev_b32 v3, 1, v3 :: v_dual_lshlrev_b32 v6, 1, v2
	v_lshlrev_b32_e32 v7, 1, v1
	s_add_co_i32 s0, s0, -1
	s_wait_dscnt 0x0
	s_delay_alu instid0(VALU_DEP_2) | instskip(NEXT) | instid1(VALU_DEP_2)
	v_dual_sub_nc_u32 v3, v3, v2 :: v_dual_sub_nc_u32 v2, v6, v1
	v_sub_nc_u32_e32 v1, v7, v5
	s_cmp_lg_u32 s0, 0
	s_barrier_signal -1
	s_barrier_wait -1
	s_cbranch_scc0 .LBB91_5
.LBB91_3:                               ; =>This Inner Loop Header: Depth=1
	v_mov_b32_e32 v5, 0x7b
	s_wait_loadcnt 0x2
	ds_store_b32 v4, v3 offset:1024
	s_wait_loadcnt_dscnt 0x0
	s_barrier_signal -1
	s_barrier_wait -1
	s_and_saveexec_b32 s1, vcc_lo
	s_cbranch_execz .LBB91_2
; %bb.4:                                ;   in Loop: Header=BB91_3 Depth=1
	ds_load_b32 v5, v4 offset:1028
	s_branch .LBB91_2
.LBB91_5:
	s_add_nc_u64 s[0:1], s[6:7], s[2:3]
	s_wait_loadcnt 0x2
	global_store_b32 v0, v3, s[0:1] scale_offset
	s_wait_loadcnt 0x1
	global_store_b32 v0, v2, s[0:1] offset:1024 scale_offset
	s_wait_loadcnt 0x0
	global_store_b32 v0, v1, s[0:1] offset:2048 scale_offset
	s_endpgm
	.section	.rodata,"a",@progbits
	.p2align	6, 0x0
	.amdhsa_kernel _Z6kernelI14subtract_rightLj256ELj3ELb1EJPiS1_jEEvDpT3_
		.amdhsa_group_segment_fixed_size 2048
		.amdhsa_private_segment_fixed_size 0
		.amdhsa_kernarg_size 20
		.amdhsa_user_sgpr_count 2
		.amdhsa_user_sgpr_dispatch_ptr 0
		.amdhsa_user_sgpr_queue_ptr 0
		.amdhsa_user_sgpr_kernarg_segment_ptr 1
		.amdhsa_user_sgpr_dispatch_id 0
		.amdhsa_user_sgpr_kernarg_preload_length 0
		.amdhsa_user_sgpr_kernarg_preload_offset 0
		.amdhsa_user_sgpr_private_segment_size 0
		.amdhsa_wavefront_size32 1
		.amdhsa_uses_dynamic_stack 0
		.amdhsa_enable_private_segment 0
		.amdhsa_system_sgpr_workgroup_id_x 1
		.amdhsa_system_sgpr_workgroup_id_y 0
		.amdhsa_system_sgpr_workgroup_id_z 0
		.amdhsa_system_sgpr_workgroup_info 0
		.amdhsa_system_vgpr_workitem_id 0
		.amdhsa_next_free_vgpr 8
		.amdhsa_next_free_sgpr 9
		.amdhsa_named_barrier_count 0
		.amdhsa_reserve_vcc 1
		.amdhsa_float_round_mode_32 0
		.amdhsa_float_round_mode_16_64 0
		.amdhsa_float_denorm_mode_32 3
		.amdhsa_float_denorm_mode_16_64 3
		.amdhsa_fp16_overflow 0
		.amdhsa_memory_ordered 1
		.amdhsa_forward_progress 1
		.amdhsa_inst_pref_size 3
		.amdhsa_round_robin_scheduling 0
		.amdhsa_exception_fp_ieee_invalid_op 0
		.amdhsa_exception_fp_denorm_src 0
		.amdhsa_exception_fp_ieee_div_zero 0
		.amdhsa_exception_fp_ieee_overflow 0
		.amdhsa_exception_fp_ieee_underflow 0
		.amdhsa_exception_fp_ieee_inexact 0
		.amdhsa_exception_int_div_zero 0
	.end_amdhsa_kernel
	.section	.text._Z6kernelI14subtract_rightLj256ELj3ELb1EJPiS1_jEEvDpT3_,"axG",@progbits,_Z6kernelI14subtract_rightLj256ELj3ELb1EJPiS1_jEEvDpT3_,comdat
.Lfunc_end91:
	.size	_Z6kernelI14subtract_rightLj256ELj3ELb1EJPiS1_jEEvDpT3_, .Lfunc_end91-_Z6kernelI14subtract_rightLj256ELj3ELb1EJPiS1_jEEvDpT3_
                                        ; -- End function
	.set _Z6kernelI14subtract_rightLj256ELj3ELb1EJPiS1_jEEvDpT3_.num_vgpr, 8
	.set _Z6kernelI14subtract_rightLj256ELj3ELb1EJPiS1_jEEvDpT3_.num_agpr, 0
	.set _Z6kernelI14subtract_rightLj256ELj3ELb1EJPiS1_jEEvDpT3_.numbered_sgpr, 9
	.set _Z6kernelI14subtract_rightLj256ELj3ELb1EJPiS1_jEEvDpT3_.num_named_barrier, 0
	.set _Z6kernelI14subtract_rightLj256ELj3ELb1EJPiS1_jEEvDpT3_.private_seg_size, 0
	.set _Z6kernelI14subtract_rightLj256ELj3ELb1EJPiS1_jEEvDpT3_.uses_vcc, 1
	.set _Z6kernelI14subtract_rightLj256ELj3ELb1EJPiS1_jEEvDpT3_.uses_flat_scratch, 0
	.set _Z6kernelI14subtract_rightLj256ELj3ELb1EJPiS1_jEEvDpT3_.has_dyn_sized_stack, 0
	.set _Z6kernelI14subtract_rightLj256ELj3ELb1EJPiS1_jEEvDpT3_.has_recursion, 0
	.set _Z6kernelI14subtract_rightLj256ELj3ELb1EJPiS1_jEEvDpT3_.has_indirect_call, 0
	.section	.AMDGPU.csdata,"",@progbits
; Kernel info:
; codeLenInByte = 316
; TotalNumSgprs: 11
; NumVgprs: 8
; ScratchSize: 0
; MemoryBound: 0
; FloatMode: 240
; IeeeMode: 1
; LDSByteSize: 2048 bytes/workgroup (compile time only)
; SGPRBlocks: 0
; VGPRBlocks: 0
; NumSGPRsForWavesPerEU: 11
; NumVGPRsForWavesPerEU: 8
; NamedBarCnt: 0
; Occupancy: 16
; WaveLimiterHint : 1
; COMPUTE_PGM_RSRC2:SCRATCH_EN: 0
; COMPUTE_PGM_RSRC2:USER_SGPR: 2
; COMPUTE_PGM_RSRC2:TRAP_HANDLER: 0
; COMPUTE_PGM_RSRC2:TGID_X_EN: 1
; COMPUTE_PGM_RSRC2:TGID_Y_EN: 0
; COMPUTE_PGM_RSRC2:TGID_Z_EN: 0
; COMPUTE_PGM_RSRC2:TIDIG_COMP_CNT: 0
	.section	.text._Z6kernelI14subtract_rightLj256ELj4ELb1EJPiS1_jEEvDpT3_,"axG",@progbits,_Z6kernelI14subtract_rightLj256ELj4ELb1EJPiS1_jEEvDpT3_,comdat
	.protected	_Z6kernelI14subtract_rightLj256ELj4ELb1EJPiS1_jEEvDpT3_ ; -- Begin function _Z6kernelI14subtract_rightLj256ELj4ELb1EJPiS1_jEEvDpT3_
	.globl	_Z6kernelI14subtract_rightLj256ELj4ELb1EJPiS1_jEEvDpT3_
	.p2align	8
	.type	_Z6kernelI14subtract_rightLj256ELj4ELb1EJPiS1_jEEvDpT3_,@function
_Z6kernelI14subtract_rightLj256ELj4ELb1EJPiS1_jEEvDpT3_: ; @_Z6kernelI14subtract_rightLj256ELj4ELb1EJPiS1_jEEvDpT3_
; %bb.0:
	s_load_b128 s[4:7], s[0:1], 0x0
	s_bfe_u32 s2, ttmp6, 0x4000c
	s_and_b32 s3, ttmp6, 15
	s_add_co_i32 s2, s2, 1
	s_getreg_b32 s8, hwreg(HW_REG_IB_STS2, 6, 4)
	s_mul_i32 s2, ttmp9, s2
	s_wait_xcnt 0x0
	s_load_b32 s0, s[0:1], 0x10
	s_add_co_i32 s3, s3, s2
	s_cmp_eq_u32 s8, 0
	s_cselect_b32 s2, ttmp9, s3
	s_mov_b32 s3, 0
	s_lshl_b32 s2, s2, 10
	s_delay_alu instid0(SALU_CYCLE_1)
	s_lshl_b64 s[2:3], s[2:3], 2
	s_wait_kmcnt 0x0
	s_add_nc_u64 s[4:5], s[4:5], s[2:3]
	s_clause 0x3
	global_load_b32 v4, v0, s[4:5] scale_offset
	global_load_b32 v3, v0, s[4:5] offset:1024 scale_offset
	global_load_b32 v2, v0, s[4:5] offset:2048 scale_offset
	;; [unrolled: 1-line block ×3, first 2 shown]
	s_cmp_eq_u32 s0, 0
	s_cbranch_scc1 .LBB92_5
; %bb.1:
	v_lshlrev_b32_e32 v5, 2, v0
	v_cmp_ne_u32_e32 vcc_lo, 0xff, v0
	s_branch .LBB92_3
.LBB92_2:                               ;   in Loop: Header=BB92_3 Depth=1
	s_or_b32 exec_lo, exec_lo, s1
	v_dual_lshlrev_b32 v4, 1, v4 :: v_dual_lshlrev_b32 v7, 1, v3
	v_dual_lshlrev_b32 v8, 1, v2 :: v_dual_lshlrev_b32 v9, 1, v1
	s_add_co_i32 s0, s0, -1
	s_delay_alu instid0(VALU_DEP_2) | instskip(SKIP_1) | instid1(VALU_DEP_2)
	v_dual_sub_nc_u32 v4, v4, v3 :: v_dual_sub_nc_u32 v3, v7, v2
	s_wait_dscnt 0x0
	v_dual_sub_nc_u32 v2, v8, v1 :: v_dual_sub_nc_u32 v1, v9, v6
	s_cmp_lg_u32 s0, 0
	s_barrier_signal -1
	s_barrier_wait -1
	s_cbranch_scc0 .LBB92_5
.LBB92_3:                               ; =>This Inner Loop Header: Depth=1
	v_mov_b32_e32 v6, 0x7b
	s_wait_loadcnt 0x3
	ds_store_b32 v5, v4 offset:1024
	s_wait_loadcnt_dscnt 0x0
	s_barrier_signal -1
	s_barrier_wait -1
	s_and_saveexec_b32 s1, vcc_lo
	s_cbranch_execz .LBB92_2
; %bb.4:                                ;   in Loop: Header=BB92_3 Depth=1
	ds_load_b32 v6, v5 offset:1028
	s_branch .LBB92_2
.LBB92_5:
	s_add_nc_u64 s[0:1], s[6:7], s[2:3]
	s_wait_loadcnt 0x3
	global_store_b32 v0, v4, s[0:1] scale_offset
	s_wait_loadcnt 0x2
	global_store_b32 v0, v3, s[0:1] offset:1024 scale_offset
	s_wait_loadcnt 0x1
	global_store_b32 v0, v2, s[0:1] offset:2048 scale_offset
	;; [unrolled: 2-line block ×3, first 2 shown]
	s_endpgm
	.section	.rodata,"a",@progbits
	.p2align	6, 0x0
	.amdhsa_kernel _Z6kernelI14subtract_rightLj256ELj4ELb1EJPiS1_jEEvDpT3_
		.amdhsa_group_segment_fixed_size 2048
		.amdhsa_private_segment_fixed_size 0
		.amdhsa_kernarg_size 20
		.amdhsa_user_sgpr_count 2
		.amdhsa_user_sgpr_dispatch_ptr 0
		.amdhsa_user_sgpr_queue_ptr 0
		.amdhsa_user_sgpr_kernarg_segment_ptr 1
		.amdhsa_user_sgpr_dispatch_id 0
		.amdhsa_user_sgpr_kernarg_preload_length 0
		.amdhsa_user_sgpr_kernarg_preload_offset 0
		.amdhsa_user_sgpr_private_segment_size 0
		.amdhsa_wavefront_size32 1
		.amdhsa_uses_dynamic_stack 0
		.amdhsa_enable_private_segment 0
		.amdhsa_system_sgpr_workgroup_id_x 1
		.amdhsa_system_sgpr_workgroup_id_y 0
		.amdhsa_system_sgpr_workgroup_id_z 0
		.amdhsa_system_sgpr_workgroup_info 0
		.amdhsa_system_vgpr_workitem_id 0
		.amdhsa_next_free_vgpr 10
		.amdhsa_next_free_sgpr 9
		.amdhsa_named_barrier_count 0
		.amdhsa_reserve_vcc 1
		.amdhsa_float_round_mode_32 0
		.amdhsa_float_round_mode_16_64 0
		.amdhsa_float_denorm_mode_32 3
		.amdhsa_float_denorm_mode_16_64 3
		.amdhsa_fp16_overflow 0
		.amdhsa_memory_ordered 1
		.amdhsa_forward_progress 1
		.amdhsa_inst_pref_size 3
		.amdhsa_round_robin_scheduling 0
		.amdhsa_exception_fp_ieee_invalid_op 0
		.amdhsa_exception_fp_denorm_src 0
		.amdhsa_exception_fp_ieee_div_zero 0
		.amdhsa_exception_fp_ieee_overflow 0
		.amdhsa_exception_fp_ieee_underflow 0
		.amdhsa_exception_fp_ieee_inexact 0
		.amdhsa_exception_int_div_zero 0
	.end_amdhsa_kernel
	.section	.text._Z6kernelI14subtract_rightLj256ELj4ELb1EJPiS1_jEEvDpT3_,"axG",@progbits,_Z6kernelI14subtract_rightLj256ELj4ELb1EJPiS1_jEEvDpT3_,comdat
.Lfunc_end92:
	.size	_Z6kernelI14subtract_rightLj256ELj4ELb1EJPiS1_jEEvDpT3_, .Lfunc_end92-_Z6kernelI14subtract_rightLj256ELj4ELb1EJPiS1_jEEvDpT3_
                                        ; -- End function
	.set _Z6kernelI14subtract_rightLj256ELj4ELb1EJPiS1_jEEvDpT3_.num_vgpr, 10
	.set _Z6kernelI14subtract_rightLj256ELj4ELb1EJPiS1_jEEvDpT3_.num_agpr, 0
	.set _Z6kernelI14subtract_rightLj256ELj4ELb1EJPiS1_jEEvDpT3_.numbered_sgpr, 9
	.set _Z6kernelI14subtract_rightLj256ELj4ELb1EJPiS1_jEEvDpT3_.num_named_barrier, 0
	.set _Z6kernelI14subtract_rightLj256ELj4ELb1EJPiS1_jEEvDpT3_.private_seg_size, 0
	.set _Z6kernelI14subtract_rightLj256ELj4ELb1EJPiS1_jEEvDpT3_.uses_vcc, 1
	.set _Z6kernelI14subtract_rightLj256ELj4ELb1EJPiS1_jEEvDpT3_.uses_flat_scratch, 0
	.set _Z6kernelI14subtract_rightLj256ELj4ELb1EJPiS1_jEEvDpT3_.has_dyn_sized_stack, 0
	.set _Z6kernelI14subtract_rightLj256ELj4ELb1EJPiS1_jEEvDpT3_.has_recursion, 0
	.set _Z6kernelI14subtract_rightLj256ELj4ELb1EJPiS1_jEEvDpT3_.has_indirect_call, 0
	.section	.AMDGPU.csdata,"",@progbits
; Kernel info:
; codeLenInByte = 360
; TotalNumSgprs: 11
; NumVgprs: 10
; ScratchSize: 0
; MemoryBound: 0
; FloatMode: 240
; IeeeMode: 1
; LDSByteSize: 2048 bytes/workgroup (compile time only)
; SGPRBlocks: 0
; VGPRBlocks: 0
; NumSGPRsForWavesPerEU: 11
; NumVGPRsForWavesPerEU: 10
; NamedBarCnt: 0
; Occupancy: 16
; WaveLimiterHint : 1
; COMPUTE_PGM_RSRC2:SCRATCH_EN: 0
; COMPUTE_PGM_RSRC2:USER_SGPR: 2
; COMPUTE_PGM_RSRC2:TRAP_HANDLER: 0
; COMPUTE_PGM_RSRC2:TGID_X_EN: 1
; COMPUTE_PGM_RSRC2:TGID_Y_EN: 0
; COMPUTE_PGM_RSRC2:TGID_Z_EN: 0
; COMPUTE_PGM_RSRC2:TIDIG_COMP_CNT: 0
	.section	.text._Z6kernelI14subtract_rightLj256ELj8ELb1EJPiS1_jEEvDpT3_,"axG",@progbits,_Z6kernelI14subtract_rightLj256ELj8ELb1EJPiS1_jEEvDpT3_,comdat
	.protected	_Z6kernelI14subtract_rightLj256ELj8ELb1EJPiS1_jEEvDpT3_ ; -- Begin function _Z6kernelI14subtract_rightLj256ELj8ELb1EJPiS1_jEEvDpT3_
	.globl	_Z6kernelI14subtract_rightLj256ELj8ELb1EJPiS1_jEEvDpT3_
	.p2align	8
	.type	_Z6kernelI14subtract_rightLj256ELj8ELb1EJPiS1_jEEvDpT3_,@function
_Z6kernelI14subtract_rightLj256ELj8ELb1EJPiS1_jEEvDpT3_: ; @_Z6kernelI14subtract_rightLj256ELj8ELb1EJPiS1_jEEvDpT3_
; %bb.0:
	s_load_b128 s[4:7], s[0:1], 0x0
	s_bfe_u32 s2, ttmp6, 0x4000c
	s_and_b32 s3, ttmp6, 15
	s_add_co_i32 s2, s2, 1
	s_getreg_b32 s8, hwreg(HW_REG_IB_STS2, 6, 4)
	s_mul_i32 s2, ttmp9, s2
	s_wait_xcnt 0x0
	s_load_b32 s0, s[0:1], 0x10
	s_add_co_i32 s3, s3, s2
	s_cmp_eq_u32 s8, 0
	s_cselect_b32 s2, ttmp9, s3
	s_mov_b32 s3, 0
	s_lshl_b32 s2, s2, 11
	s_delay_alu instid0(SALU_CYCLE_1)
	s_lshl_b64 s[2:3], s[2:3], 2
	s_wait_kmcnt 0x0
	s_add_nc_u64 s[4:5], s[4:5], s[2:3]
	s_clause 0x7
	global_load_b32 v7, v0, s[4:5] scale_offset
	global_load_b32 v6, v0, s[4:5] offset:1024 scale_offset
	global_load_b32 v5, v0, s[4:5] offset:2048 scale_offset
	;; [unrolled: 1-line block ×7, first 2 shown]
	s_cmp_eq_u32 s0, 0
	s_cbranch_scc1 .LBB93_5
; %bb.1:
	v_lshlrev_b32_e32 v9, 2, v0
	v_cmp_ne_u32_e32 vcc_lo, 0xff, v0
	s_branch .LBB93_3
.LBB93_2:                               ;   in Loop: Header=BB93_3 Depth=1
	s_or_b32 exec_lo, exec_lo, s1
	v_dual_lshlrev_b32 v7, 1, v7 :: v_dual_lshlrev_b32 v11, 1, v6
	v_lshlrev_b32_e32 v12, 1, v5
	s_add_co_i32 s0, s0, -1
	s_wait_dscnt 0x0
	s_delay_alu instid0(VALU_DEP_2) | instskip(NEXT) | instid1(VALU_DEP_2)
	v_sub_nc_u32_e32 v7, v7, v6
	v_dual_sub_nc_u32 v6, v11, v5 :: v_dual_sub_nc_u32 v5, v12, v8
	v_dual_lshlrev_b32 v8, 1, v8 :: v_dual_lshlrev_b32 v12, 1, v3
	v_dual_lshlrev_b32 v11, 1, v4 :: v_dual_lshlrev_b32 v13, 1, v2
	s_delay_alu instid0(VALU_DEP_2) | instskip(SKIP_1) | instid1(VALU_DEP_2)
	v_dual_lshlrev_b32 v14, 1, v1 :: v_dual_sub_nc_u32 v8, v8, v4
	s_cmp_lg_u32 s0, 0
	v_dual_sub_nc_u32 v4, v11, v3 :: v_dual_sub_nc_u32 v3, v12, v2
	s_delay_alu instid0(VALU_DEP_2)
	v_dual_sub_nc_u32 v2, v13, v1 :: v_dual_sub_nc_u32 v1, v14, v10
	s_barrier_signal -1
	s_barrier_wait -1
	s_cbranch_scc0 .LBB93_5
.LBB93_3:                               ; =>This Inner Loop Header: Depth=1
	v_mov_b32_e32 v10, 0x7b
	s_wait_loadcnt 0x7
	ds_store_b32 v9, v7 offset:1024
	s_wait_loadcnt_dscnt 0x0
	s_barrier_signal -1
	s_barrier_wait -1
	s_and_saveexec_b32 s1, vcc_lo
	s_cbranch_execz .LBB93_2
; %bb.4:                                ;   in Loop: Header=BB93_3 Depth=1
	ds_load_b32 v10, v9 offset:1028
	s_branch .LBB93_2
.LBB93_5:
	s_add_nc_u64 s[0:1], s[6:7], s[2:3]
	s_wait_loadcnt 0x7
	global_store_b32 v0, v7, s[0:1] scale_offset
	s_wait_loadcnt 0x6
	global_store_b32 v0, v6, s[0:1] offset:1024 scale_offset
	s_wait_loadcnt 0x5
	global_store_b32 v0, v5, s[0:1] offset:2048 scale_offset
	s_wait_loadcnt 0x4
	global_store_b32 v0, v8, s[0:1] offset:3072 scale_offset
	s_wait_loadcnt 0x3
	global_store_b32 v0, v4, s[0:1] offset:4096 scale_offset
	s_wait_loadcnt 0x2
	global_store_b32 v0, v3, s[0:1] offset:5120 scale_offset
	s_wait_loadcnt 0x1
	global_store_b32 v0, v2, s[0:1] offset:6144 scale_offset
	s_wait_loadcnt 0x0
	global_store_b32 v0, v1, s[0:1] offset:7168 scale_offset
	s_endpgm
	.section	.rodata,"a",@progbits
	.p2align	6, 0x0
	.amdhsa_kernel _Z6kernelI14subtract_rightLj256ELj8ELb1EJPiS1_jEEvDpT3_
		.amdhsa_group_segment_fixed_size 2048
		.amdhsa_private_segment_fixed_size 0
		.amdhsa_kernarg_size 20
		.amdhsa_user_sgpr_count 2
		.amdhsa_user_sgpr_dispatch_ptr 0
		.amdhsa_user_sgpr_queue_ptr 0
		.amdhsa_user_sgpr_kernarg_segment_ptr 1
		.amdhsa_user_sgpr_dispatch_id 0
		.amdhsa_user_sgpr_kernarg_preload_length 0
		.amdhsa_user_sgpr_kernarg_preload_offset 0
		.amdhsa_user_sgpr_private_segment_size 0
		.amdhsa_wavefront_size32 1
		.amdhsa_uses_dynamic_stack 0
		.amdhsa_enable_private_segment 0
		.amdhsa_system_sgpr_workgroup_id_x 1
		.amdhsa_system_sgpr_workgroup_id_y 0
		.amdhsa_system_sgpr_workgroup_id_z 0
		.amdhsa_system_sgpr_workgroup_info 0
		.amdhsa_system_vgpr_workitem_id 0
		.amdhsa_next_free_vgpr 15
		.amdhsa_next_free_sgpr 9
		.amdhsa_named_barrier_count 0
		.amdhsa_reserve_vcc 1
		.amdhsa_float_round_mode_32 0
		.amdhsa_float_round_mode_16_64 0
		.amdhsa_float_denorm_mode_32 3
		.amdhsa_float_denorm_mode_16_64 3
		.amdhsa_fp16_overflow 0
		.amdhsa_memory_ordered 1
		.amdhsa_forward_progress 1
		.amdhsa_inst_pref_size 5
		.amdhsa_round_robin_scheduling 0
		.amdhsa_exception_fp_ieee_invalid_op 0
		.amdhsa_exception_fp_denorm_src 0
		.amdhsa_exception_fp_ieee_div_zero 0
		.amdhsa_exception_fp_ieee_overflow 0
		.amdhsa_exception_fp_ieee_underflow 0
		.amdhsa_exception_fp_ieee_inexact 0
		.amdhsa_exception_int_div_zero 0
	.end_amdhsa_kernel
	.section	.text._Z6kernelI14subtract_rightLj256ELj8ELb1EJPiS1_jEEvDpT3_,"axG",@progbits,_Z6kernelI14subtract_rightLj256ELj8ELb1EJPiS1_jEEvDpT3_,comdat
.Lfunc_end93:
	.size	_Z6kernelI14subtract_rightLj256ELj8ELb1EJPiS1_jEEvDpT3_, .Lfunc_end93-_Z6kernelI14subtract_rightLj256ELj8ELb1EJPiS1_jEEvDpT3_
                                        ; -- End function
	.set _Z6kernelI14subtract_rightLj256ELj8ELb1EJPiS1_jEEvDpT3_.num_vgpr, 15
	.set _Z6kernelI14subtract_rightLj256ELj8ELb1EJPiS1_jEEvDpT3_.num_agpr, 0
	.set _Z6kernelI14subtract_rightLj256ELj8ELb1EJPiS1_jEEvDpT3_.numbered_sgpr, 9
	.set _Z6kernelI14subtract_rightLj256ELj8ELb1EJPiS1_jEEvDpT3_.num_named_barrier, 0
	.set _Z6kernelI14subtract_rightLj256ELj8ELb1EJPiS1_jEEvDpT3_.private_seg_size, 0
	.set _Z6kernelI14subtract_rightLj256ELj8ELb1EJPiS1_jEEvDpT3_.uses_vcc, 1
	.set _Z6kernelI14subtract_rightLj256ELj8ELb1EJPiS1_jEEvDpT3_.uses_flat_scratch, 0
	.set _Z6kernelI14subtract_rightLj256ELj8ELb1EJPiS1_jEEvDpT3_.has_dyn_sized_stack, 0
	.set _Z6kernelI14subtract_rightLj256ELj8ELb1EJPiS1_jEEvDpT3_.has_recursion, 0
	.set _Z6kernelI14subtract_rightLj256ELj8ELb1EJPiS1_jEEvDpT3_.has_indirect_call, 0
	.section	.AMDGPU.csdata,"",@progbits
; Kernel info:
; codeLenInByte = 524
; TotalNumSgprs: 11
; NumVgprs: 15
; ScratchSize: 0
; MemoryBound: 0
; FloatMode: 240
; IeeeMode: 1
; LDSByteSize: 2048 bytes/workgroup (compile time only)
; SGPRBlocks: 0
; VGPRBlocks: 0
; NumSGPRsForWavesPerEU: 11
; NumVGPRsForWavesPerEU: 15
; NamedBarCnt: 0
; Occupancy: 16
; WaveLimiterHint : 1
; COMPUTE_PGM_RSRC2:SCRATCH_EN: 0
; COMPUTE_PGM_RSRC2:USER_SGPR: 2
; COMPUTE_PGM_RSRC2:TRAP_HANDLER: 0
; COMPUTE_PGM_RSRC2:TGID_X_EN: 1
; COMPUTE_PGM_RSRC2:TGID_Y_EN: 0
; COMPUTE_PGM_RSRC2:TGID_Z_EN: 0
; COMPUTE_PGM_RSRC2:TIDIG_COMP_CNT: 0
	.section	.text._Z6kernelI14subtract_rightLj256ELj16ELb1EJPiS1_jEEvDpT3_,"axG",@progbits,_Z6kernelI14subtract_rightLj256ELj16ELb1EJPiS1_jEEvDpT3_,comdat
	.protected	_Z6kernelI14subtract_rightLj256ELj16ELb1EJPiS1_jEEvDpT3_ ; -- Begin function _Z6kernelI14subtract_rightLj256ELj16ELb1EJPiS1_jEEvDpT3_
	.globl	_Z6kernelI14subtract_rightLj256ELj16ELb1EJPiS1_jEEvDpT3_
	.p2align	8
	.type	_Z6kernelI14subtract_rightLj256ELj16ELb1EJPiS1_jEEvDpT3_,@function
_Z6kernelI14subtract_rightLj256ELj16ELb1EJPiS1_jEEvDpT3_: ; @_Z6kernelI14subtract_rightLj256ELj16ELb1EJPiS1_jEEvDpT3_
; %bb.0:
	s_load_b128 s[4:7], s[0:1], 0x0
	s_bfe_u32 s2, ttmp6, 0x4000c
	s_and_b32 s3, ttmp6, 15
	s_add_co_i32 s2, s2, 1
	s_getreg_b32 s8, hwreg(HW_REG_IB_STS2, 6, 4)
	s_mul_i32 s2, ttmp9, s2
	s_wait_xcnt 0x0
	s_load_b32 s0, s[0:1], 0x10
	s_add_co_i32 s3, s3, s2
	s_cmp_eq_u32 s8, 0
	s_cselect_b32 s2, ttmp9, s3
	s_mov_b32 s3, 0
	s_lshl_b32 s2, s2, 12
	s_delay_alu instid0(SALU_CYCLE_1)
	s_lshl_b64 s[2:3], s[2:3], 2
	s_wait_kmcnt 0x0
	s_add_nc_u64 s[4:5], s[4:5], s[2:3]
	s_clause 0xf
	global_load_b32 v16, v0, s[4:5] scale_offset
	global_load_b32 v15, v0, s[4:5] offset:1024 scale_offset
	global_load_b32 v14, v0, s[4:5] offset:2048 scale_offset
	;; [unrolled: 1-line block ×15, first 2 shown]
	s_cmp_eq_u32 s0, 0
	s_cbranch_scc1 .LBB94_5
; %bb.1:
	v_lshlrev_b32_e32 v17, 2, v0
	v_cmp_ne_u32_e32 vcc_lo, 0xff, v0
	s_branch .LBB94_3
.LBB94_2:                               ;   in Loop: Header=BB94_3 Depth=1
	s_or_b32 exec_lo, exec_lo, s1
	v_dual_sub_nc_u32 v19, v16, v15 :: v_dual_sub_nc_u32 v20, v15, v14
	v_dual_sub_nc_u32 v21, v14, v13 :: v_dual_sub_nc_u32 v22, v13, v12
	;; [unrolled: 1-line block ×7, first 2 shown]
	s_wait_dscnt 0x0
	v_dual_sub_nc_u32 v33, v2, v1 :: v_dual_sub_nc_u32 v18, v1, v18
	v_dual_add_nc_u32 v16, v19, v16 :: v_dual_add_nc_u32 v15, v20, v15
	v_dual_add_nc_u32 v14, v21, v14 :: v_dual_add_nc_u32 v13, v22, v13
	;; [unrolled: 1-line block ×8, first 2 shown]
	s_add_co_i32 s0, s0, -1
	s_delay_alu instid0(SALU_CYCLE_1)
	s_cmp_lg_u32 s0, 0
	s_barrier_signal -1
	s_barrier_wait -1
	s_cbranch_scc0 .LBB94_5
.LBB94_3:                               ; =>This Inner Loop Header: Depth=1
	v_mov_b32_e32 v18, 0x7b
	s_wait_loadcnt 0xf
	ds_store_b32 v17, v16 offset:1024
	s_wait_loadcnt_dscnt 0x0
	s_barrier_signal -1
	s_barrier_wait -1
	s_and_saveexec_b32 s1, vcc_lo
	s_cbranch_execz .LBB94_2
; %bb.4:                                ;   in Loop: Header=BB94_3 Depth=1
	ds_load_b32 v18, v17 offset:1028
	s_branch .LBB94_2
.LBB94_5:
	s_add_nc_u64 s[0:1], s[6:7], s[2:3]
	s_wait_loadcnt 0xf
	global_store_b32 v0, v16, s[0:1] scale_offset
	s_wait_loadcnt 0xe
	global_store_b32 v0, v15, s[0:1] offset:1024 scale_offset
	s_wait_loadcnt 0xd
	global_store_b32 v0, v14, s[0:1] offset:2048 scale_offset
	;; [unrolled: 2-line block ×15, first 2 shown]
	s_endpgm
	.section	.rodata,"a",@progbits
	.p2align	6, 0x0
	.amdhsa_kernel _Z6kernelI14subtract_rightLj256ELj16ELb1EJPiS1_jEEvDpT3_
		.amdhsa_group_segment_fixed_size 2048
		.amdhsa_private_segment_fixed_size 0
		.amdhsa_kernarg_size 20
		.amdhsa_user_sgpr_count 2
		.amdhsa_user_sgpr_dispatch_ptr 0
		.amdhsa_user_sgpr_queue_ptr 0
		.amdhsa_user_sgpr_kernarg_segment_ptr 1
		.amdhsa_user_sgpr_dispatch_id 0
		.amdhsa_user_sgpr_kernarg_preload_length 0
		.amdhsa_user_sgpr_kernarg_preload_offset 0
		.amdhsa_user_sgpr_private_segment_size 0
		.amdhsa_wavefront_size32 1
		.amdhsa_uses_dynamic_stack 0
		.amdhsa_enable_private_segment 0
		.amdhsa_system_sgpr_workgroup_id_x 1
		.amdhsa_system_sgpr_workgroup_id_y 0
		.amdhsa_system_sgpr_workgroup_id_z 0
		.amdhsa_system_sgpr_workgroup_info 0
		.amdhsa_system_vgpr_workitem_id 0
		.amdhsa_next_free_vgpr 34
		.amdhsa_next_free_sgpr 9
		.amdhsa_named_barrier_count 0
		.amdhsa_reserve_vcc 1
		.amdhsa_float_round_mode_32 0
		.amdhsa_float_round_mode_16_64 0
		.amdhsa_float_denorm_mode_32 3
		.amdhsa_float_denorm_mode_16_64 3
		.amdhsa_fp16_overflow 0
		.amdhsa_memory_ordered 1
		.amdhsa_forward_progress 1
		.amdhsa_inst_pref_size 7
		.amdhsa_round_robin_scheduling 0
		.amdhsa_exception_fp_ieee_invalid_op 0
		.amdhsa_exception_fp_denorm_src 0
		.amdhsa_exception_fp_ieee_div_zero 0
		.amdhsa_exception_fp_ieee_overflow 0
		.amdhsa_exception_fp_ieee_underflow 0
		.amdhsa_exception_fp_ieee_inexact 0
		.amdhsa_exception_int_div_zero 0
	.end_amdhsa_kernel
	.section	.text._Z6kernelI14subtract_rightLj256ELj16ELb1EJPiS1_jEEvDpT3_,"axG",@progbits,_Z6kernelI14subtract_rightLj256ELj16ELb1EJPiS1_jEEvDpT3_,comdat
.Lfunc_end94:
	.size	_Z6kernelI14subtract_rightLj256ELj16ELb1EJPiS1_jEEvDpT3_, .Lfunc_end94-_Z6kernelI14subtract_rightLj256ELj16ELb1EJPiS1_jEEvDpT3_
                                        ; -- End function
	.set _Z6kernelI14subtract_rightLj256ELj16ELb1EJPiS1_jEEvDpT3_.num_vgpr, 34
	.set _Z6kernelI14subtract_rightLj256ELj16ELb1EJPiS1_jEEvDpT3_.num_agpr, 0
	.set _Z6kernelI14subtract_rightLj256ELj16ELb1EJPiS1_jEEvDpT3_.numbered_sgpr, 9
	.set _Z6kernelI14subtract_rightLj256ELj16ELb1EJPiS1_jEEvDpT3_.num_named_barrier, 0
	.set _Z6kernelI14subtract_rightLj256ELj16ELb1EJPiS1_jEEvDpT3_.private_seg_size, 0
	.set _Z6kernelI14subtract_rightLj256ELj16ELb1EJPiS1_jEEvDpT3_.uses_vcc, 1
	.set _Z6kernelI14subtract_rightLj256ELj16ELb1EJPiS1_jEEvDpT3_.uses_flat_scratch, 0
	.set _Z6kernelI14subtract_rightLj256ELj16ELb1EJPiS1_jEEvDpT3_.has_dyn_sized_stack, 0
	.set _Z6kernelI14subtract_rightLj256ELj16ELb1EJPiS1_jEEvDpT3_.has_recursion, 0
	.set _Z6kernelI14subtract_rightLj256ELj16ELb1EJPiS1_jEEvDpT3_.has_indirect_call, 0
	.section	.AMDGPU.csdata,"",@progbits
; Kernel info:
; codeLenInByte = 840
; TotalNumSgprs: 11
; NumVgprs: 34
; ScratchSize: 0
; MemoryBound: 0
; FloatMode: 240
; IeeeMode: 1
; LDSByteSize: 2048 bytes/workgroup (compile time only)
; SGPRBlocks: 0
; VGPRBlocks: 2
; NumSGPRsForWavesPerEU: 11
; NumVGPRsForWavesPerEU: 34
; NamedBarCnt: 0
; Occupancy: 16
; WaveLimiterHint : 1
; COMPUTE_PGM_RSRC2:SCRATCH_EN: 0
; COMPUTE_PGM_RSRC2:USER_SGPR: 2
; COMPUTE_PGM_RSRC2:TRAP_HANDLER: 0
; COMPUTE_PGM_RSRC2:TGID_X_EN: 1
; COMPUTE_PGM_RSRC2:TGID_Y_EN: 0
; COMPUTE_PGM_RSRC2:TGID_Z_EN: 0
; COMPUTE_PGM_RSRC2:TIDIG_COMP_CNT: 0
	.section	.text._Z6kernelI14subtract_rightLj256ELj32ELb1EJPiS1_jEEvDpT3_,"axG",@progbits,_Z6kernelI14subtract_rightLj256ELj32ELb1EJPiS1_jEEvDpT3_,comdat
	.protected	_Z6kernelI14subtract_rightLj256ELj32ELb1EJPiS1_jEEvDpT3_ ; -- Begin function _Z6kernelI14subtract_rightLj256ELj32ELb1EJPiS1_jEEvDpT3_
	.globl	_Z6kernelI14subtract_rightLj256ELj32ELb1EJPiS1_jEEvDpT3_
	.p2align	8
	.type	_Z6kernelI14subtract_rightLj256ELj32ELb1EJPiS1_jEEvDpT3_,@function
_Z6kernelI14subtract_rightLj256ELj32ELb1EJPiS1_jEEvDpT3_: ; @_Z6kernelI14subtract_rightLj256ELj32ELb1EJPiS1_jEEvDpT3_
; %bb.0:
	s_load_b128 s[4:7], s[0:1], 0x0
	s_bfe_u32 s2, ttmp6, 0x4000c
	s_and_b32 s3, ttmp6, 15
	s_add_co_i32 s2, s2, 1
	s_getreg_b32 s8, hwreg(HW_REG_IB_STS2, 6, 4)
	s_mul_i32 s2, ttmp9, s2
	s_wait_xcnt 0x0
	s_load_b32 s0, s[0:1], 0x10
	s_add_co_i32 s3, s3, s2
	s_cmp_eq_u32 s8, 0
	s_cselect_b32 s2, ttmp9, s3
	s_mov_b32 s3, 0
	s_lshl_b32 s2, s2, 13
	s_delay_alu instid0(SALU_CYCLE_1)
	s_lshl_b64 s[2:3], s[2:3], 2
	s_wait_kmcnt 0x0
	s_add_nc_u64 s[4:5], s[4:5], s[2:3]
	s_clause 0x1f
	global_load_b32 v32, v0, s[4:5] scale_offset
	global_load_b32 v31, v0, s[4:5] offset:1024 scale_offset
	global_load_b32 v30, v0, s[4:5] offset:2048 scale_offset
	;; [unrolled: 1-line block ×31, first 2 shown]
	s_cmp_eq_u32 s0, 0
	s_cbranch_scc1 .LBB95_5
; %bb.1:
	v_lshlrev_b32_e32 v33, 2, v0
	v_cmp_ne_u32_e32 vcc_lo, 0xff, v0
	s_branch .LBB95_3
.LBB95_2:                               ;   in Loop: Header=BB95_3 Depth=1
	s_or_b32 exec_lo, exec_lo, s1
	v_dual_sub_nc_u32 v35, v32, v31 :: v_dual_sub_nc_u32 v36, v31, v30
	v_dual_sub_nc_u32 v37, v30, v29 :: v_dual_sub_nc_u32 v38, v29, v28
	;; [unrolled: 1-line block ×13, first 2 shown]
	v_dual_sub_nc_u32 v61, v6, v5 :: v_dual_add_nc_u32 v32, v35, v32
	v_dual_sub_nc_u32 v35, v5, v4 :: v_dual_add_nc_u32 v31, v36, v31
	;; [unrolled: 1-line block ×4, first 2 shown]
	s_wait_dscnt 0x0
	v_dual_sub_nc_u32 v38, v2, v1 :: v_dual_sub_nc_u32 v34, v1, v34
	v_dual_add_nc_u32 v28, v39, v28 :: v_dual_add_nc_u32 v27, v40, v27
	v_dual_add_nc_u32 v26, v41, v26 :: v_dual_add_nc_u32 v25, v42, v25
	;; [unrolled: 1-line block ×13, first 2 shown]
	v_add_nc_u32_e32 v2, v38, v2
	v_add_nc_u32_e32 v1, v34, v1
	s_add_co_i32 s0, s0, -1
	s_delay_alu instid0(SALU_CYCLE_1)
	s_cmp_lg_u32 s0, 0
	s_barrier_signal -1
	s_barrier_wait -1
	s_cbranch_scc0 .LBB95_5
.LBB95_3:                               ; =>This Inner Loop Header: Depth=1
	v_mov_b32_e32 v34, 0x7b
	s_wait_loadcnt 0x1f
	ds_store_b32 v33, v32 offset:1024
	s_wait_loadcnt_dscnt 0x0
	s_barrier_signal -1
	s_barrier_wait -1
	s_and_saveexec_b32 s1, vcc_lo
	s_cbranch_execz .LBB95_2
; %bb.4:                                ;   in Loop: Header=BB95_3 Depth=1
	ds_load_b32 v34, v33 offset:1028
	s_branch .LBB95_2
.LBB95_5:
	s_add_nc_u64 s[0:1], s[6:7], s[2:3]
	s_wait_loadcnt 0x1f
	global_store_b32 v0, v32, s[0:1] scale_offset
	s_wait_loadcnt 0x1e
	global_store_b32 v0, v31, s[0:1] offset:1024 scale_offset
	s_wait_loadcnt 0x1d
	global_store_b32 v0, v30, s[0:1] offset:2048 scale_offset
	;; [unrolled: 2-line block ×31, first 2 shown]
	s_endpgm
	.section	.rodata,"a",@progbits
	.p2align	6, 0x0
	.amdhsa_kernel _Z6kernelI14subtract_rightLj256ELj32ELb1EJPiS1_jEEvDpT3_
		.amdhsa_group_segment_fixed_size 2048
		.amdhsa_private_segment_fixed_size 0
		.amdhsa_kernarg_size 20
		.amdhsa_user_sgpr_count 2
		.amdhsa_user_sgpr_dispatch_ptr 0
		.amdhsa_user_sgpr_queue_ptr 0
		.amdhsa_user_sgpr_kernarg_segment_ptr 1
		.amdhsa_user_sgpr_dispatch_id 0
		.amdhsa_user_sgpr_kernarg_preload_length 0
		.amdhsa_user_sgpr_kernarg_preload_offset 0
		.amdhsa_user_sgpr_private_segment_size 0
		.amdhsa_wavefront_size32 1
		.amdhsa_uses_dynamic_stack 0
		.amdhsa_enable_private_segment 0
		.amdhsa_system_sgpr_workgroup_id_x 1
		.amdhsa_system_sgpr_workgroup_id_y 0
		.amdhsa_system_sgpr_workgroup_id_z 0
		.amdhsa_system_sgpr_workgroup_info 0
		.amdhsa_system_vgpr_workitem_id 0
		.amdhsa_next_free_vgpr 62
		.amdhsa_next_free_sgpr 9
		.amdhsa_named_barrier_count 0
		.amdhsa_reserve_vcc 1
		.amdhsa_float_round_mode_32 0
		.amdhsa_float_round_mode_16_64 0
		.amdhsa_float_denorm_mode_32 3
		.amdhsa_float_denorm_mode_16_64 3
		.amdhsa_fp16_overflow 0
		.amdhsa_memory_ordered 1
		.amdhsa_forward_progress 1
		.amdhsa_inst_pref_size 12
		.amdhsa_round_robin_scheduling 0
		.amdhsa_exception_fp_ieee_invalid_op 0
		.amdhsa_exception_fp_denorm_src 0
		.amdhsa_exception_fp_ieee_div_zero 0
		.amdhsa_exception_fp_ieee_overflow 0
		.amdhsa_exception_fp_ieee_underflow 0
		.amdhsa_exception_fp_ieee_inexact 0
		.amdhsa_exception_int_div_zero 0
	.end_amdhsa_kernel
	.section	.text._Z6kernelI14subtract_rightLj256ELj32ELb1EJPiS1_jEEvDpT3_,"axG",@progbits,_Z6kernelI14subtract_rightLj256ELj32ELb1EJPiS1_jEEvDpT3_,comdat
.Lfunc_end95:
	.size	_Z6kernelI14subtract_rightLj256ELj32ELb1EJPiS1_jEEvDpT3_, .Lfunc_end95-_Z6kernelI14subtract_rightLj256ELj32ELb1EJPiS1_jEEvDpT3_
                                        ; -- End function
	.set _Z6kernelI14subtract_rightLj256ELj32ELb1EJPiS1_jEEvDpT3_.num_vgpr, 62
	.set _Z6kernelI14subtract_rightLj256ELj32ELb1EJPiS1_jEEvDpT3_.num_agpr, 0
	.set _Z6kernelI14subtract_rightLj256ELj32ELb1EJPiS1_jEEvDpT3_.numbered_sgpr, 9
	.set _Z6kernelI14subtract_rightLj256ELj32ELb1EJPiS1_jEEvDpT3_.num_named_barrier, 0
	.set _Z6kernelI14subtract_rightLj256ELj32ELb1EJPiS1_jEEvDpT3_.private_seg_size, 0
	.set _Z6kernelI14subtract_rightLj256ELj32ELb1EJPiS1_jEEvDpT3_.uses_vcc, 1
	.set _Z6kernelI14subtract_rightLj256ELj32ELb1EJPiS1_jEEvDpT3_.uses_flat_scratch, 0
	.set _Z6kernelI14subtract_rightLj256ELj32ELb1EJPiS1_jEEvDpT3_.has_dyn_sized_stack, 0
	.set _Z6kernelI14subtract_rightLj256ELj32ELb1EJPiS1_jEEvDpT3_.has_recursion, 0
	.set _Z6kernelI14subtract_rightLj256ELj32ELb1EJPiS1_jEEvDpT3_.has_indirect_call, 0
	.section	.AMDGPU.csdata,"",@progbits
; Kernel info:
; codeLenInByte = 1476
; TotalNumSgprs: 11
; NumVgprs: 62
; ScratchSize: 0
; MemoryBound: 0
; FloatMode: 240
; IeeeMode: 1
; LDSByteSize: 2048 bytes/workgroup (compile time only)
; SGPRBlocks: 0
; VGPRBlocks: 3
; NumSGPRsForWavesPerEU: 11
; NumVGPRsForWavesPerEU: 62
; NamedBarCnt: 0
; Occupancy: 16
; WaveLimiterHint : 1
; COMPUTE_PGM_RSRC2:SCRATCH_EN: 0
; COMPUTE_PGM_RSRC2:USER_SGPR: 2
; COMPUTE_PGM_RSRC2:TRAP_HANDLER: 0
; COMPUTE_PGM_RSRC2:TGID_X_EN: 1
; COMPUTE_PGM_RSRC2:TGID_Y_EN: 0
; COMPUTE_PGM_RSRC2:TGID_Z_EN: 0
; COMPUTE_PGM_RSRC2:TIDIG_COMP_CNT: 0
	.section	.text._Z6kernelI14subtract_rightLj256ELj1ELb1EJPfS1_jEEvDpT3_,"axG",@progbits,_Z6kernelI14subtract_rightLj256ELj1ELb1EJPfS1_jEEvDpT3_,comdat
	.protected	_Z6kernelI14subtract_rightLj256ELj1ELb1EJPfS1_jEEvDpT3_ ; -- Begin function _Z6kernelI14subtract_rightLj256ELj1ELb1EJPfS1_jEEvDpT3_
	.globl	_Z6kernelI14subtract_rightLj256ELj1ELb1EJPfS1_jEEvDpT3_
	.p2align	8
	.type	_Z6kernelI14subtract_rightLj256ELj1ELb1EJPfS1_jEEvDpT3_,@function
_Z6kernelI14subtract_rightLj256ELj1ELb1EJPfS1_jEEvDpT3_: ; @_Z6kernelI14subtract_rightLj256ELj1ELb1EJPfS1_jEEvDpT3_
; %bb.0:
	s_load_b128 s[4:7], s[0:1], 0x0
	s_bfe_u32 s2, ttmp6, 0x4000c
	s_and_b32 s3, ttmp6, 15
	s_add_co_i32 s2, s2, 1
	s_getreg_b32 s8, hwreg(HW_REG_IB_STS2, 6, 4)
	s_mul_i32 s2, ttmp9, s2
	s_wait_xcnt 0x0
	s_load_b32 s0, s[0:1], 0x10
	s_add_co_i32 s3, s3, s2
	s_cmp_eq_u32 s8, 0
	s_cselect_b32 s2, ttmp9, s3
	s_mov_b32 s3, 0
	s_lshl_b32 s2, s2, 8
	s_delay_alu instid0(SALU_CYCLE_1)
	s_lshl_b64 s[2:3], s[2:3], 2
	s_wait_kmcnt 0x0
	s_add_nc_u64 s[4:5], s[4:5], s[2:3]
	global_load_b32 v1, v0, s[4:5] scale_offset
	s_cmp_eq_u32 s0, 0
	s_cbranch_scc1 .LBB96_5
; %bb.1:
	v_lshlrev_b32_e32 v2, 2, v0
	v_cmp_ne_u32_e32 vcc_lo, 0xff, v0
	s_branch .LBB96_3
.LBB96_2:                               ;   in Loop: Header=BB96_3 Depth=1
	s_or_b32 exec_lo, exec_lo, s1
	s_wait_dscnt 0x0
	v_sub_f32_e32 v3, v1, v3
	s_add_co_i32 s0, s0, -1
	s_delay_alu instid0(SALU_CYCLE_1) | instskip(SKIP_1) | instid1(VALU_DEP_1)
	s_cmp_lg_u32 s0, 0
	s_barrier_signal -1
	v_add_f32_e32 v1, v1, v3
	s_barrier_wait -1
	s_cbranch_scc0 .LBB96_5
.LBB96_3:                               ; =>This Inner Loop Header: Depth=1
	v_mov_b32_e32 v3, 0x42f60000
	s_wait_loadcnt 0x0
	ds_store_b32 v2, v1 offset:1024
	s_wait_dscnt 0x0
	s_barrier_signal -1
	s_barrier_wait -1
	s_and_saveexec_b32 s1, vcc_lo
	s_cbranch_execz .LBB96_2
; %bb.4:                                ;   in Loop: Header=BB96_3 Depth=1
	ds_load_b32 v3, v2 offset:1028
	s_branch .LBB96_2
.LBB96_5:
	s_add_nc_u64 s[0:1], s[6:7], s[2:3]
	s_wait_loadcnt 0x0
	global_store_b32 v0, v1, s[0:1] scale_offset
	s_endpgm
	.section	.rodata,"a",@progbits
	.p2align	6, 0x0
	.amdhsa_kernel _Z6kernelI14subtract_rightLj256ELj1ELb1EJPfS1_jEEvDpT3_
		.amdhsa_group_segment_fixed_size 2048
		.amdhsa_private_segment_fixed_size 0
		.amdhsa_kernarg_size 20
		.amdhsa_user_sgpr_count 2
		.amdhsa_user_sgpr_dispatch_ptr 0
		.amdhsa_user_sgpr_queue_ptr 0
		.amdhsa_user_sgpr_kernarg_segment_ptr 1
		.amdhsa_user_sgpr_dispatch_id 0
		.amdhsa_user_sgpr_kernarg_preload_length 0
		.amdhsa_user_sgpr_kernarg_preload_offset 0
		.amdhsa_user_sgpr_private_segment_size 0
		.amdhsa_wavefront_size32 1
		.amdhsa_uses_dynamic_stack 0
		.amdhsa_enable_private_segment 0
		.amdhsa_system_sgpr_workgroup_id_x 1
		.amdhsa_system_sgpr_workgroup_id_y 0
		.amdhsa_system_sgpr_workgroup_id_z 0
		.amdhsa_system_sgpr_workgroup_info 0
		.amdhsa_system_vgpr_workitem_id 0
		.amdhsa_next_free_vgpr 4
		.amdhsa_next_free_sgpr 9
		.amdhsa_named_barrier_count 0
		.amdhsa_reserve_vcc 1
		.amdhsa_float_round_mode_32 0
		.amdhsa_float_round_mode_16_64 0
		.amdhsa_float_denorm_mode_32 3
		.amdhsa_float_denorm_mode_16_64 3
		.amdhsa_fp16_overflow 0
		.amdhsa_memory_ordered 1
		.amdhsa_forward_progress 1
		.amdhsa_inst_pref_size 2
		.amdhsa_round_robin_scheduling 0
		.amdhsa_exception_fp_ieee_invalid_op 0
		.amdhsa_exception_fp_denorm_src 0
		.amdhsa_exception_fp_ieee_div_zero 0
		.amdhsa_exception_fp_ieee_overflow 0
		.amdhsa_exception_fp_ieee_underflow 0
		.amdhsa_exception_fp_ieee_inexact 0
		.amdhsa_exception_int_div_zero 0
	.end_amdhsa_kernel
	.section	.text._Z6kernelI14subtract_rightLj256ELj1ELb1EJPfS1_jEEvDpT3_,"axG",@progbits,_Z6kernelI14subtract_rightLj256ELj1ELb1EJPfS1_jEEvDpT3_,comdat
.Lfunc_end96:
	.size	_Z6kernelI14subtract_rightLj256ELj1ELb1EJPfS1_jEEvDpT3_, .Lfunc_end96-_Z6kernelI14subtract_rightLj256ELj1ELb1EJPfS1_jEEvDpT3_
                                        ; -- End function
	.set _Z6kernelI14subtract_rightLj256ELj1ELb1EJPfS1_jEEvDpT3_.num_vgpr, 4
	.set _Z6kernelI14subtract_rightLj256ELj1ELb1EJPfS1_jEEvDpT3_.num_agpr, 0
	.set _Z6kernelI14subtract_rightLj256ELj1ELb1EJPfS1_jEEvDpT3_.numbered_sgpr, 9
	.set _Z6kernelI14subtract_rightLj256ELj1ELb1EJPfS1_jEEvDpT3_.num_named_barrier, 0
	.set _Z6kernelI14subtract_rightLj256ELj1ELb1EJPfS1_jEEvDpT3_.private_seg_size, 0
	.set _Z6kernelI14subtract_rightLj256ELj1ELb1EJPfS1_jEEvDpT3_.uses_vcc, 1
	.set _Z6kernelI14subtract_rightLj256ELj1ELb1EJPfS1_jEEvDpT3_.uses_flat_scratch, 0
	.set _Z6kernelI14subtract_rightLj256ELj1ELb1EJPfS1_jEEvDpT3_.has_dyn_sized_stack, 0
	.set _Z6kernelI14subtract_rightLj256ELj1ELb1EJPfS1_jEEvDpT3_.has_recursion, 0
	.set _Z6kernelI14subtract_rightLj256ELj1ELb1EJPfS1_jEEvDpT3_.has_indirect_call, 0
	.section	.AMDGPU.csdata,"",@progbits
; Kernel info:
; codeLenInByte = 232
; TotalNumSgprs: 11
; NumVgprs: 4
; ScratchSize: 0
; MemoryBound: 0
; FloatMode: 240
; IeeeMode: 1
; LDSByteSize: 2048 bytes/workgroup (compile time only)
; SGPRBlocks: 0
; VGPRBlocks: 0
; NumSGPRsForWavesPerEU: 11
; NumVGPRsForWavesPerEU: 4
; NamedBarCnt: 0
; Occupancy: 16
; WaveLimiterHint : 0
; COMPUTE_PGM_RSRC2:SCRATCH_EN: 0
; COMPUTE_PGM_RSRC2:USER_SGPR: 2
; COMPUTE_PGM_RSRC2:TRAP_HANDLER: 0
; COMPUTE_PGM_RSRC2:TGID_X_EN: 1
; COMPUTE_PGM_RSRC2:TGID_Y_EN: 0
; COMPUTE_PGM_RSRC2:TGID_Z_EN: 0
; COMPUTE_PGM_RSRC2:TIDIG_COMP_CNT: 0
	.section	.text._Z6kernelI14subtract_rightLj256ELj3ELb1EJPfS1_jEEvDpT3_,"axG",@progbits,_Z6kernelI14subtract_rightLj256ELj3ELb1EJPfS1_jEEvDpT3_,comdat
	.protected	_Z6kernelI14subtract_rightLj256ELj3ELb1EJPfS1_jEEvDpT3_ ; -- Begin function _Z6kernelI14subtract_rightLj256ELj3ELb1EJPfS1_jEEvDpT3_
	.globl	_Z6kernelI14subtract_rightLj256ELj3ELb1EJPfS1_jEEvDpT3_
	.p2align	8
	.type	_Z6kernelI14subtract_rightLj256ELj3ELb1EJPfS1_jEEvDpT3_,@function
_Z6kernelI14subtract_rightLj256ELj3ELb1EJPfS1_jEEvDpT3_: ; @_Z6kernelI14subtract_rightLj256ELj3ELb1EJPfS1_jEEvDpT3_
; %bb.0:
	s_load_b128 s[4:7], s[0:1], 0x0
	s_bfe_u32 s2, ttmp6, 0x4000c
	s_and_b32 s3, ttmp6, 15
	s_add_co_i32 s2, s2, 1
	s_getreg_b32 s8, hwreg(HW_REG_IB_STS2, 6, 4)
	s_mul_i32 s2, ttmp9, s2
	s_wait_xcnt 0x0
	s_load_b32 s0, s[0:1], 0x10
	s_add_co_i32 s3, s3, s2
	s_cmp_eq_u32 s8, 0
	s_cselect_b32 s2, ttmp9, s3
	s_mov_b32 s3, 0
	s_mulk_i32 s2, 0x300
	s_delay_alu instid0(SALU_CYCLE_1)
	s_lshl_b64 s[2:3], s[2:3], 2
	s_wait_kmcnt 0x0
	s_add_nc_u64 s[4:5], s[4:5], s[2:3]
	s_clause 0x2
	global_load_b32 v2, v0, s[4:5] scale_offset
	global_load_b32 v3, v0, s[4:5] offset:1024 scale_offset
	global_load_b32 v5, v0, s[4:5] offset:2048 scale_offset
	s_cmp_eq_u32 s0, 0
	s_cbranch_scc1 .LBB97_5
; %bb.1:
	v_lshlrev_b32_e32 v1, 2, v0
	v_cmp_ne_u32_e32 vcc_lo, 0xff, v0
	s_branch .LBB97_3
.LBB97_2:                               ;   in Loop: Header=BB97_3 Depth=1
	s_or_b32 exec_lo, exec_lo, s1
	s_wait_dscnt 0x0
	v_dual_mov_b32 v4, v3 :: v_dual_sub_f32 v8, v5, v6
	s_add_co_i32 s0, s0, -1
	s_delay_alu instid0(SALU_CYCLE_1) | instskip(NEXT) | instid1(VALU_DEP_1)
	s_cmp_lg_u32 s0, 0
	v_pk_add_f32 v[6:7], v[2:3], v[4:5] neg_lo:[0,1] neg_hi:[0,1]
	s_delay_alu instid0(VALU_DEP_2) | instskip(SKIP_2) | instid1(VALU_DEP_2)
	v_add_f32_e32 v5, v5, v8
	s_barrier_signal -1
	s_barrier_wait -1
	v_pk_add_f32 v[2:3], v[2:3], v[6:7]
	s_cbranch_scc0 .LBB97_5
.LBB97_3:                               ; =>This Inner Loop Header: Depth=1
	v_mov_b32_e32 v6, 0x42f60000
	s_wait_loadcnt 0x2
	ds_store_b32 v1, v2 offset:1024
	s_wait_loadcnt_dscnt 0x0
	s_barrier_signal -1
	s_barrier_wait -1
	s_and_saveexec_b32 s1, vcc_lo
	s_cbranch_execz .LBB97_2
; %bb.4:                                ;   in Loop: Header=BB97_3 Depth=1
	ds_load_b32 v6, v1 offset:1028
	s_branch .LBB97_2
.LBB97_5:
	s_add_nc_u64 s[0:1], s[6:7], s[2:3]
	s_wait_loadcnt 0x2
	global_store_b32 v0, v2, s[0:1] scale_offset
	s_wait_loadcnt 0x1
	global_store_b32 v0, v3, s[0:1] offset:1024 scale_offset
	s_wait_loadcnt 0x0
	global_store_b32 v0, v5, s[0:1] offset:2048 scale_offset
	s_endpgm
	.section	.rodata,"a",@progbits
	.p2align	6, 0x0
	.amdhsa_kernel _Z6kernelI14subtract_rightLj256ELj3ELb1EJPfS1_jEEvDpT3_
		.amdhsa_group_segment_fixed_size 2048
		.amdhsa_private_segment_fixed_size 0
		.amdhsa_kernarg_size 20
		.amdhsa_user_sgpr_count 2
		.amdhsa_user_sgpr_dispatch_ptr 0
		.amdhsa_user_sgpr_queue_ptr 0
		.amdhsa_user_sgpr_kernarg_segment_ptr 1
		.amdhsa_user_sgpr_dispatch_id 0
		.amdhsa_user_sgpr_kernarg_preload_length 0
		.amdhsa_user_sgpr_kernarg_preload_offset 0
		.amdhsa_user_sgpr_private_segment_size 0
		.amdhsa_wavefront_size32 1
		.amdhsa_uses_dynamic_stack 0
		.amdhsa_enable_private_segment 0
		.amdhsa_system_sgpr_workgroup_id_x 1
		.amdhsa_system_sgpr_workgroup_id_y 0
		.amdhsa_system_sgpr_workgroup_id_z 0
		.amdhsa_system_sgpr_workgroup_info 0
		.amdhsa_system_vgpr_workitem_id 0
		.amdhsa_next_free_vgpr 9
		.amdhsa_next_free_sgpr 9
		.amdhsa_named_barrier_count 0
		.amdhsa_reserve_vcc 1
		.amdhsa_float_round_mode_32 0
		.amdhsa_float_round_mode_16_64 0
		.amdhsa_float_denorm_mode_32 3
		.amdhsa_float_denorm_mode_16_64 3
		.amdhsa_fp16_overflow 0
		.amdhsa_memory_ordered 1
		.amdhsa_forward_progress 1
		.amdhsa_inst_pref_size 3
		.amdhsa_round_robin_scheduling 0
		.amdhsa_exception_fp_ieee_invalid_op 0
		.amdhsa_exception_fp_denorm_src 0
		.amdhsa_exception_fp_ieee_div_zero 0
		.amdhsa_exception_fp_ieee_overflow 0
		.amdhsa_exception_fp_ieee_underflow 0
		.amdhsa_exception_fp_ieee_inexact 0
		.amdhsa_exception_int_div_zero 0
	.end_amdhsa_kernel
	.section	.text._Z6kernelI14subtract_rightLj256ELj3ELb1EJPfS1_jEEvDpT3_,"axG",@progbits,_Z6kernelI14subtract_rightLj256ELj3ELb1EJPfS1_jEEvDpT3_,comdat
.Lfunc_end97:
	.size	_Z6kernelI14subtract_rightLj256ELj3ELb1EJPfS1_jEEvDpT3_, .Lfunc_end97-_Z6kernelI14subtract_rightLj256ELj3ELb1EJPfS1_jEEvDpT3_
                                        ; -- End function
	.set _Z6kernelI14subtract_rightLj256ELj3ELb1EJPfS1_jEEvDpT3_.num_vgpr, 9
	.set _Z6kernelI14subtract_rightLj256ELj3ELb1EJPfS1_jEEvDpT3_.num_agpr, 0
	.set _Z6kernelI14subtract_rightLj256ELj3ELb1EJPfS1_jEEvDpT3_.numbered_sgpr, 9
	.set _Z6kernelI14subtract_rightLj256ELj3ELb1EJPfS1_jEEvDpT3_.num_named_barrier, 0
	.set _Z6kernelI14subtract_rightLj256ELj3ELb1EJPfS1_jEEvDpT3_.private_seg_size, 0
	.set _Z6kernelI14subtract_rightLj256ELj3ELb1EJPfS1_jEEvDpT3_.uses_vcc, 1
	.set _Z6kernelI14subtract_rightLj256ELj3ELb1EJPfS1_jEEvDpT3_.uses_flat_scratch, 0
	.set _Z6kernelI14subtract_rightLj256ELj3ELb1EJPfS1_jEEvDpT3_.has_dyn_sized_stack, 0
	.set _Z6kernelI14subtract_rightLj256ELj3ELb1EJPfS1_jEEvDpT3_.has_recursion, 0
	.set _Z6kernelI14subtract_rightLj256ELj3ELb1EJPfS1_jEEvDpT3_.has_indirect_call, 0
	.section	.AMDGPU.csdata,"",@progbits
; Kernel info:
; codeLenInByte = 320
; TotalNumSgprs: 11
; NumVgprs: 9
; ScratchSize: 0
; MemoryBound: 0
; FloatMode: 240
; IeeeMode: 1
; LDSByteSize: 2048 bytes/workgroup (compile time only)
; SGPRBlocks: 0
; VGPRBlocks: 0
; NumSGPRsForWavesPerEU: 11
; NumVGPRsForWavesPerEU: 9
; NamedBarCnt: 0
; Occupancy: 16
; WaveLimiterHint : 1
; COMPUTE_PGM_RSRC2:SCRATCH_EN: 0
; COMPUTE_PGM_RSRC2:USER_SGPR: 2
; COMPUTE_PGM_RSRC2:TRAP_HANDLER: 0
; COMPUTE_PGM_RSRC2:TGID_X_EN: 1
; COMPUTE_PGM_RSRC2:TGID_Y_EN: 0
; COMPUTE_PGM_RSRC2:TGID_Z_EN: 0
; COMPUTE_PGM_RSRC2:TIDIG_COMP_CNT: 0
	.section	.text._Z6kernelI14subtract_rightLj256ELj4ELb1EJPfS1_jEEvDpT3_,"axG",@progbits,_Z6kernelI14subtract_rightLj256ELj4ELb1EJPfS1_jEEvDpT3_,comdat
	.protected	_Z6kernelI14subtract_rightLj256ELj4ELb1EJPfS1_jEEvDpT3_ ; -- Begin function _Z6kernelI14subtract_rightLj256ELj4ELb1EJPfS1_jEEvDpT3_
	.globl	_Z6kernelI14subtract_rightLj256ELj4ELb1EJPfS1_jEEvDpT3_
	.p2align	8
	.type	_Z6kernelI14subtract_rightLj256ELj4ELb1EJPfS1_jEEvDpT3_,@function
_Z6kernelI14subtract_rightLj256ELj4ELb1EJPfS1_jEEvDpT3_: ; @_Z6kernelI14subtract_rightLj256ELj4ELb1EJPfS1_jEEvDpT3_
; %bb.0:
	s_load_b128 s[4:7], s[0:1], 0x0
	s_bfe_u32 s2, ttmp6, 0x4000c
	s_and_b32 s3, ttmp6, 15
	s_add_co_i32 s2, s2, 1
	s_getreg_b32 s8, hwreg(HW_REG_IB_STS2, 6, 4)
	s_mul_i32 s2, ttmp9, s2
	s_wait_xcnt 0x0
	s_load_b32 s0, s[0:1], 0x10
	s_add_co_i32 s3, s3, s2
	s_cmp_eq_u32 s8, 0
	s_cselect_b32 s2, ttmp9, s3
	s_mov_b32 s3, 0
	s_lshl_b32 s2, s2, 10
	s_delay_alu instid0(SALU_CYCLE_1)
	s_lshl_b64 s[2:3], s[2:3], 2
	s_wait_kmcnt 0x0
	s_add_nc_u64 s[4:5], s[4:5], s[2:3]
	s_clause 0x3
	global_load_b32 v2, v0, s[4:5] scale_offset
	global_load_b32 v3, v0, s[4:5] offset:1024 scale_offset
	global_load_b32 v7, v0, s[4:5] offset:2048 scale_offset
	;; [unrolled: 1-line block ×3, first 2 shown]
	s_cmp_eq_u32 s0, 0
	s_cbranch_scc1 .LBB98_5
; %bb.1:
	v_lshlrev_b32_e32 v1, 2, v0
	v_cmp_ne_u32_e32 vcc_lo, 0xff, v0
	s_branch .LBB98_3
.LBB98_2:                               ;   in Loop: Header=BB98_3 Depth=1
	s_or_b32 exec_lo, exec_lo, s1
	s_wait_dscnt 0x0
	v_dual_mov_b32 v6, v3 :: v_dual_sub_f32 v9, v5, v4
	v_dual_sub_f32 v8, v7, v5 :: v_dual_mov_b32 v4, v7
	s_add_co_i32 s0, s0, -1
	s_delay_alu instid0(VALU_DEP_2) | instskip(SKIP_1) | instid1(VALU_DEP_2)
	v_pk_add_f32 v[6:7], v[2:3], v[6:7] neg_lo:[0,1] neg_hi:[0,1]
	s_cmp_lg_u32 s0, 0
	v_pk_add_f32 v[4:5], v[4:5], v[8:9]
	s_barrier_signal -1
	s_delay_alu instid0(VALU_DEP_2) | instskip(SKIP_1) | instid1(VALU_DEP_2)
	v_pk_add_f32 v[2:3], v[2:3], v[6:7]
	s_barrier_wait -1
	v_mov_b32_e32 v7, v4
	s_cbranch_scc0 .LBB98_5
.LBB98_3:                               ; =>This Inner Loop Header: Depth=1
	v_mov_b32_e32 v4, 0x42f60000
	s_wait_loadcnt 0x3
	ds_store_b32 v1, v2 offset:1024
	s_wait_loadcnt_dscnt 0x0
	s_barrier_signal -1
	s_barrier_wait -1
	s_and_saveexec_b32 s1, vcc_lo
	s_cbranch_execz .LBB98_2
; %bb.4:                                ;   in Loop: Header=BB98_3 Depth=1
	ds_load_b32 v4, v1 offset:1028
	s_branch .LBB98_2
.LBB98_5:
	s_add_nc_u64 s[0:1], s[6:7], s[2:3]
	s_wait_loadcnt 0x3
	global_store_b32 v0, v2, s[0:1] scale_offset
	s_wait_loadcnt 0x2
	global_store_b32 v0, v3, s[0:1] offset:1024 scale_offset
	s_wait_loadcnt 0x1
	global_store_b32 v0, v7, s[0:1] offset:2048 scale_offset
	s_wait_loadcnt 0x0
	global_store_b32 v0, v5, s[0:1] offset:3072 scale_offset
	s_endpgm
	.section	.rodata,"a",@progbits
	.p2align	6, 0x0
	.amdhsa_kernel _Z6kernelI14subtract_rightLj256ELj4ELb1EJPfS1_jEEvDpT3_
		.amdhsa_group_segment_fixed_size 2048
		.amdhsa_private_segment_fixed_size 0
		.amdhsa_kernarg_size 20
		.amdhsa_user_sgpr_count 2
		.amdhsa_user_sgpr_dispatch_ptr 0
		.amdhsa_user_sgpr_queue_ptr 0
		.amdhsa_user_sgpr_kernarg_segment_ptr 1
		.amdhsa_user_sgpr_dispatch_id 0
		.amdhsa_user_sgpr_kernarg_preload_length 0
		.amdhsa_user_sgpr_kernarg_preload_offset 0
		.amdhsa_user_sgpr_private_segment_size 0
		.amdhsa_wavefront_size32 1
		.amdhsa_uses_dynamic_stack 0
		.amdhsa_enable_private_segment 0
		.amdhsa_system_sgpr_workgroup_id_x 1
		.amdhsa_system_sgpr_workgroup_id_y 0
		.amdhsa_system_sgpr_workgroup_id_z 0
		.amdhsa_system_sgpr_workgroup_info 0
		.amdhsa_system_vgpr_workitem_id 0
		.amdhsa_next_free_vgpr 10
		.amdhsa_next_free_sgpr 9
		.amdhsa_named_barrier_count 0
		.amdhsa_reserve_vcc 1
		.amdhsa_float_round_mode_32 0
		.amdhsa_float_round_mode_16_64 0
		.amdhsa_float_denorm_mode_32 3
		.amdhsa_float_denorm_mode_16_64 3
		.amdhsa_fp16_overflow 0
		.amdhsa_memory_ordered 1
		.amdhsa_forward_progress 1
		.amdhsa_inst_pref_size 3
		.amdhsa_round_robin_scheduling 0
		.amdhsa_exception_fp_ieee_invalid_op 0
		.amdhsa_exception_fp_denorm_src 0
		.amdhsa_exception_fp_ieee_div_zero 0
		.amdhsa_exception_fp_ieee_overflow 0
		.amdhsa_exception_fp_ieee_underflow 0
		.amdhsa_exception_fp_ieee_inexact 0
		.amdhsa_exception_int_div_zero 0
	.end_amdhsa_kernel
	.section	.text._Z6kernelI14subtract_rightLj256ELj4ELb1EJPfS1_jEEvDpT3_,"axG",@progbits,_Z6kernelI14subtract_rightLj256ELj4ELb1EJPfS1_jEEvDpT3_,comdat
.Lfunc_end98:
	.size	_Z6kernelI14subtract_rightLj256ELj4ELb1EJPfS1_jEEvDpT3_, .Lfunc_end98-_Z6kernelI14subtract_rightLj256ELj4ELb1EJPfS1_jEEvDpT3_
                                        ; -- End function
	.set _Z6kernelI14subtract_rightLj256ELj4ELb1EJPfS1_jEEvDpT3_.num_vgpr, 10
	.set _Z6kernelI14subtract_rightLj256ELj4ELb1EJPfS1_jEEvDpT3_.num_agpr, 0
	.set _Z6kernelI14subtract_rightLj256ELj4ELb1EJPfS1_jEEvDpT3_.numbered_sgpr, 9
	.set _Z6kernelI14subtract_rightLj256ELj4ELb1EJPfS1_jEEvDpT3_.num_named_barrier, 0
	.set _Z6kernelI14subtract_rightLj256ELj4ELb1EJPfS1_jEEvDpT3_.private_seg_size, 0
	.set _Z6kernelI14subtract_rightLj256ELj4ELb1EJPfS1_jEEvDpT3_.uses_vcc, 1
	.set _Z6kernelI14subtract_rightLj256ELj4ELb1EJPfS1_jEEvDpT3_.uses_flat_scratch, 0
	.set _Z6kernelI14subtract_rightLj256ELj4ELb1EJPfS1_jEEvDpT3_.has_dyn_sized_stack, 0
	.set _Z6kernelI14subtract_rightLj256ELj4ELb1EJPfS1_jEEvDpT3_.has_recursion, 0
	.set _Z6kernelI14subtract_rightLj256ELj4ELb1EJPfS1_jEEvDpT3_.has_indirect_call, 0
	.section	.AMDGPU.csdata,"",@progbits
; Kernel info:
; codeLenInByte = 364
; TotalNumSgprs: 11
; NumVgprs: 10
; ScratchSize: 0
; MemoryBound: 0
; FloatMode: 240
; IeeeMode: 1
; LDSByteSize: 2048 bytes/workgroup (compile time only)
; SGPRBlocks: 0
; VGPRBlocks: 0
; NumSGPRsForWavesPerEU: 11
; NumVGPRsForWavesPerEU: 10
; NamedBarCnt: 0
; Occupancy: 16
; WaveLimiterHint : 1
; COMPUTE_PGM_RSRC2:SCRATCH_EN: 0
; COMPUTE_PGM_RSRC2:USER_SGPR: 2
; COMPUTE_PGM_RSRC2:TRAP_HANDLER: 0
; COMPUTE_PGM_RSRC2:TGID_X_EN: 1
; COMPUTE_PGM_RSRC2:TGID_Y_EN: 0
; COMPUTE_PGM_RSRC2:TGID_Z_EN: 0
; COMPUTE_PGM_RSRC2:TIDIG_COMP_CNT: 0
	.section	.text._Z6kernelI14subtract_rightLj256ELj8ELb1EJPfS1_jEEvDpT3_,"axG",@progbits,_Z6kernelI14subtract_rightLj256ELj8ELb1EJPfS1_jEEvDpT3_,comdat
	.protected	_Z6kernelI14subtract_rightLj256ELj8ELb1EJPfS1_jEEvDpT3_ ; -- Begin function _Z6kernelI14subtract_rightLj256ELj8ELb1EJPfS1_jEEvDpT3_
	.globl	_Z6kernelI14subtract_rightLj256ELj8ELb1EJPfS1_jEEvDpT3_
	.p2align	8
	.type	_Z6kernelI14subtract_rightLj256ELj8ELb1EJPfS1_jEEvDpT3_,@function
_Z6kernelI14subtract_rightLj256ELj8ELb1EJPfS1_jEEvDpT3_: ; @_Z6kernelI14subtract_rightLj256ELj8ELb1EJPfS1_jEEvDpT3_
; %bb.0:
	s_load_b128 s[4:7], s[0:1], 0x0
	s_bfe_u32 s2, ttmp6, 0x4000c
	s_and_b32 s3, ttmp6, 15
	s_add_co_i32 s2, s2, 1
	s_getreg_b32 s8, hwreg(HW_REG_IB_STS2, 6, 4)
	s_mul_i32 s2, ttmp9, s2
	s_wait_xcnt 0x0
	s_load_b32 s0, s[0:1], 0x10
	s_add_co_i32 s3, s3, s2
	s_cmp_eq_u32 s8, 0
	s_cselect_b32 s2, ttmp9, s3
	s_mov_b32 s3, 0
	s_lshl_b32 s2, s2, 11
	s_delay_alu instid0(SALU_CYCLE_1)
	s_lshl_b64 s[2:3], s[2:3], 2
	s_wait_kmcnt 0x0
	s_add_nc_u64 s[4:5], s[4:5], s[2:3]
	s_clause 0x7
	global_load_b32 v2, v0, s[4:5] scale_offset
	global_load_b32 v3, v0, s[4:5] offset:1024 scale_offset
	global_load_b32 v11, v0, s[4:5] offset:2048 scale_offset
	;; [unrolled: 1-line block ×7, first 2 shown]
	s_cmp_eq_u32 s0, 0
	s_cbranch_scc1 .LBB99_5
; %bb.1:
	v_lshlrev_b32_e32 v1, 2, v0
	v_cmp_ne_u32_e32 vcc_lo, 0xff, v0
	s_branch .LBB99_3
.LBB99_2:                               ;   in Loop: Header=BB99_3 Depth=1
	s_or_b32 exec_lo, exec_lo, s1
	v_dual_mov_b32 v8, v11 :: v_dual_mov_b32 v14, v9
	v_dual_mov_b32 v6, v15 :: v_dual_mov_b32 v12, v7
	v_dual_mov_b32 v10, v3 :: v_dual_sub_f32 v18, v13, v5
	s_delay_alu instid0(VALU_DEP_3) | instskip(SKIP_1) | instid1(VALU_DEP_3)
	v_pk_add_f32 v[14:15], v[8:9], v[14:15] neg_lo:[0,1] neg_hi:[0,1]
	s_add_co_i32 s0, s0, -1
	v_pk_add_f32 v[16:17], v[6:7], v[12:13] neg_lo:[0,1] neg_hi:[0,1]
	s_delay_alu instid0(VALU_DEP_3)
	v_pk_add_f32 v[10:11], v[2:3], v[10:11] neg_lo:[0,1] neg_hi:[0,1]
	s_cmp_lg_u32 s0, 0
	v_pk_add_f32 v[8:9], v[8:9], v[14:15]
	s_wait_dscnt 0x0
	v_sub_f32_e32 v19, v5, v4
	v_pk_add_f32 v[6:7], v[6:7], v[16:17]
	v_mov_b32_e32 v4, v13
	v_pk_add_f32 v[2:3], v[2:3], v[10:11]
	v_mov_b32_e32 v11, v8
	s_delay_alu instid0(VALU_DEP_4) | instskip(NEXT) | instid1(VALU_DEP_4)
	v_mov_b32_e32 v15, v6
	v_pk_add_f32 v[4:5], v[4:5], v[18:19]
	s_barrier_signal -1
	s_barrier_wait -1
	s_delay_alu instid0(VALU_DEP_1)
	v_mov_b32_e32 v13, v4
	s_cbranch_scc0 .LBB99_5
.LBB99_3:                               ; =>This Inner Loop Header: Depth=1
	v_mov_b32_e32 v4, 0x42f60000
	s_wait_loadcnt 0x7
	ds_store_b32 v1, v2 offset:1024
	s_wait_loadcnt_dscnt 0x0
	s_barrier_signal -1
	s_barrier_wait -1
	s_and_saveexec_b32 s1, vcc_lo
	s_cbranch_execz .LBB99_2
; %bb.4:                                ;   in Loop: Header=BB99_3 Depth=1
	ds_load_b32 v4, v1 offset:1028
	s_branch .LBB99_2
.LBB99_5:
	s_add_nc_u64 s[0:1], s[6:7], s[2:3]
	s_wait_loadcnt 0x7
	global_store_b32 v0, v2, s[0:1] scale_offset
	s_wait_loadcnt 0x6
	global_store_b32 v0, v3, s[0:1] offset:1024 scale_offset
	s_wait_loadcnt 0x5
	global_store_b32 v0, v11, s[0:1] offset:2048 scale_offset
	;; [unrolled: 2-line block ×7, first 2 shown]
	s_endpgm
	.section	.rodata,"a",@progbits
	.p2align	6, 0x0
	.amdhsa_kernel _Z6kernelI14subtract_rightLj256ELj8ELb1EJPfS1_jEEvDpT3_
		.amdhsa_group_segment_fixed_size 2048
		.amdhsa_private_segment_fixed_size 0
		.amdhsa_kernarg_size 20
		.amdhsa_user_sgpr_count 2
		.amdhsa_user_sgpr_dispatch_ptr 0
		.amdhsa_user_sgpr_queue_ptr 0
		.amdhsa_user_sgpr_kernarg_segment_ptr 1
		.amdhsa_user_sgpr_dispatch_id 0
		.amdhsa_user_sgpr_kernarg_preload_length 0
		.amdhsa_user_sgpr_kernarg_preload_offset 0
		.amdhsa_user_sgpr_private_segment_size 0
		.amdhsa_wavefront_size32 1
		.amdhsa_uses_dynamic_stack 0
		.amdhsa_enable_private_segment 0
		.amdhsa_system_sgpr_workgroup_id_x 1
		.amdhsa_system_sgpr_workgroup_id_y 0
		.amdhsa_system_sgpr_workgroup_id_z 0
		.amdhsa_system_sgpr_workgroup_info 0
		.amdhsa_system_vgpr_workitem_id 0
		.amdhsa_next_free_vgpr 20
		.amdhsa_next_free_sgpr 9
		.amdhsa_named_barrier_count 0
		.amdhsa_reserve_vcc 1
		.amdhsa_float_round_mode_32 0
		.amdhsa_float_round_mode_16_64 0
		.amdhsa_float_denorm_mode_32 3
		.amdhsa_float_denorm_mode_16_64 3
		.amdhsa_fp16_overflow 0
		.amdhsa_memory_ordered 1
		.amdhsa_forward_progress 1
		.amdhsa_inst_pref_size 5
		.amdhsa_round_robin_scheduling 0
		.amdhsa_exception_fp_ieee_invalid_op 0
		.amdhsa_exception_fp_denorm_src 0
		.amdhsa_exception_fp_ieee_div_zero 0
		.amdhsa_exception_fp_ieee_overflow 0
		.amdhsa_exception_fp_ieee_underflow 0
		.amdhsa_exception_fp_ieee_inexact 0
		.amdhsa_exception_int_div_zero 0
	.end_amdhsa_kernel
	.section	.text._Z6kernelI14subtract_rightLj256ELj8ELb1EJPfS1_jEEvDpT3_,"axG",@progbits,_Z6kernelI14subtract_rightLj256ELj8ELb1EJPfS1_jEEvDpT3_,comdat
.Lfunc_end99:
	.size	_Z6kernelI14subtract_rightLj256ELj8ELb1EJPfS1_jEEvDpT3_, .Lfunc_end99-_Z6kernelI14subtract_rightLj256ELj8ELb1EJPfS1_jEEvDpT3_
                                        ; -- End function
	.set _Z6kernelI14subtract_rightLj256ELj8ELb1EJPfS1_jEEvDpT3_.num_vgpr, 20
	.set _Z6kernelI14subtract_rightLj256ELj8ELb1EJPfS1_jEEvDpT3_.num_agpr, 0
	.set _Z6kernelI14subtract_rightLj256ELj8ELb1EJPfS1_jEEvDpT3_.numbered_sgpr, 9
	.set _Z6kernelI14subtract_rightLj256ELj8ELb1EJPfS1_jEEvDpT3_.num_named_barrier, 0
	.set _Z6kernelI14subtract_rightLj256ELj8ELb1EJPfS1_jEEvDpT3_.private_seg_size, 0
	.set _Z6kernelI14subtract_rightLj256ELj8ELb1EJPfS1_jEEvDpT3_.uses_vcc, 1
	.set _Z6kernelI14subtract_rightLj256ELj8ELb1EJPfS1_jEEvDpT3_.uses_flat_scratch, 0
	.set _Z6kernelI14subtract_rightLj256ELj8ELb1EJPfS1_jEEvDpT3_.has_dyn_sized_stack, 0
	.set _Z6kernelI14subtract_rightLj256ELj8ELb1EJPfS1_jEEvDpT3_.has_recursion, 0
	.set _Z6kernelI14subtract_rightLj256ELj8ELb1EJPfS1_jEEvDpT3_.has_indirect_call, 0
	.section	.AMDGPU.csdata,"",@progbits
; Kernel info:
; codeLenInByte = 548
; TotalNumSgprs: 11
; NumVgprs: 20
; ScratchSize: 0
; MemoryBound: 0
; FloatMode: 240
; IeeeMode: 1
; LDSByteSize: 2048 bytes/workgroup (compile time only)
; SGPRBlocks: 0
; VGPRBlocks: 1
; NumSGPRsForWavesPerEU: 11
; NumVGPRsForWavesPerEU: 20
; NamedBarCnt: 0
; Occupancy: 16
; WaveLimiterHint : 1
; COMPUTE_PGM_RSRC2:SCRATCH_EN: 0
; COMPUTE_PGM_RSRC2:USER_SGPR: 2
; COMPUTE_PGM_RSRC2:TRAP_HANDLER: 0
; COMPUTE_PGM_RSRC2:TGID_X_EN: 1
; COMPUTE_PGM_RSRC2:TGID_Y_EN: 0
; COMPUTE_PGM_RSRC2:TGID_Z_EN: 0
; COMPUTE_PGM_RSRC2:TIDIG_COMP_CNT: 0
	.section	.text._Z6kernelI14subtract_rightLj256ELj16ELb1EJPfS1_jEEvDpT3_,"axG",@progbits,_Z6kernelI14subtract_rightLj256ELj16ELb1EJPfS1_jEEvDpT3_,comdat
	.protected	_Z6kernelI14subtract_rightLj256ELj16ELb1EJPfS1_jEEvDpT3_ ; -- Begin function _Z6kernelI14subtract_rightLj256ELj16ELb1EJPfS1_jEEvDpT3_
	.globl	_Z6kernelI14subtract_rightLj256ELj16ELb1EJPfS1_jEEvDpT3_
	.p2align	8
	.type	_Z6kernelI14subtract_rightLj256ELj16ELb1EJPfS1_jEEvDpT3_,@function
_Z6kernelI14subtract_rightLj256ELj16ELb1EJPfS1_jEEvDpT3_: ; @_Z6kernelI14subtract_rightLj256ELj16ELb1EJPfS1_jEEvDpT3_
; %bb.0:
	s_load_b128 s[4:7], s[0:1], 0x0
	s_bfe_u32 s2, ttmp6, 0x4000c
	s_and_b32 s3, ttmp6, 15
	s_add_co_i32 s2, s2, 1
	s_getreg_b32 s8, hwreg(HW_REG_IB_STS2, 6, 4)
	s_mul_i32 s2, ttmp9, s2
	s_wait_xcnt 0x0
	s_load_b32 s0, s[0:1], 0x10
	s_add_co_i32 s3, s3, s2
	s_cmp_eq_u32 s8, 0
	s_cselect_b32 s2, ttmp9, s3
	s_mov_b32 s3, 0
	s_lshl_b32 s2, s2, 12
	s_delay_alu instid0(SALU_CYCLE_1)
	s_lshl_b64 s[2:3], s[2:3], 2
	s_wait_kmcnt 0x0
	s_add_nc_u64 s[4:5], s[4:5], s[2:3]
	s_clause 0xf
	global_load_b32 v2, v0, s[4:5] scale_offset
	global_load_b32 v3, v0, s[4:5] offset:1024 scale_offset
	global_load_b32 v11, v0, s[4:5] offset:2048 scale_offset
	;; [unrolled: 1-line block ×15, first 2 shown]
	s_cmp_eq_u32 s0, 0
	s_cbranch_scc1 .LBB100_5
; %bb.1:
	s_wait_loadcnt 0xe
	v_dual_mov_b32 v10, v3 :: v_dual_lshlrev_b32 v1, 2, v0
	s_wait_loadcnt 0xc
	v_dual_mov_b32 v12, v11 :: v_dual_mov_b32 v14, v13
	s_wait_loadcnt 0x8
	v_dual_mov_b32 v16, v5 :: v_dual_mov_b32 v18, v17
	;; [unrolled: 2-line block ×4, first 2 shown]
	v_cmp_ne_u32_e32 vcc_lo, 0xff, v0
	s_branch .LBB100_3
.LBB100_2:                              ;   in Loop: Header=BB100_3 Depth=1
	s_or_b32 exec_lo, exec_lo, s1
	v_dual_mov_b32 v30, v15 :: v_dual_mov_b32 v31, v4
	v_dual_mov_b32 v38, v21 :: v_dual_mov_b32 v39, v6
	v_mov_b32_e32 v8, v27
	v_pk_add_f32 v[32:33], v[2:3], v[10:11] neg_lo:[0,1] neg_hi:[0,1]
	v_pk_add_f32 v[34:35], v[10:11], v[12:13] neg_lo:[0,1] neg_hi:[0,1]
	;; [unrolled: 1-line block ×12, first 2 shown]
	s_wait_dscnt 0x0
	v_sub_f32_e32 v8, v9, v28
	v_pk_add_f32 v[2:3], v[2:3], v[32:33]
	v_pk_add_f32 v[10:11], v[10:11], v[34:35]
	;; [unrolled: 1-line block ×12, first 2 shown]
	v_add_f32_e32 v9, v9, v8
	s_add_co_i32 s0, s0, -1
	s_delay_alu instid0(SALU_CYCLE_1)
	s_cmp_lg_u32 s0, 0
	s_barrier_signal -1
	s_barrier_wait -1
	s_cbranch_scc0 .LBB100_5
.LBB100_3:                              ; =>This Inner Loop Header: Depth=1
	v_mov_b32_e32 v28, 0x42f60000
	ds_store_b32 v1, v2 offset:1024
	s_wait_loadcnt_dscnt 0x0
	s_barrier_signal -1
	s_barrier_wait -1
	s_and_saveexec_b32 s1, vcc_lo
	s_cbranch_execz .LBB100_2
; %bb.4:                                ;   in Loop: Header=BB100_3 Depth=1
	ds_load_b32 v28, v1 offset:1028
	s_branch .LBB100_2
.LBB100_5:
	s_add_nc_u64 s[0:1], s[6:7], s[2:3]
	s_wait_loadcnt 0xf
	global_store_b32 v0, v2, s[0:1] scale_offset
	s_wait_loadcnt 0xe
	global_store_b32 v0, v3, s[0:1] offset:1024 scale_offset
	s_wait_loadcnt 0xd
	global_store_b32 v0, v11, s[0:1] offset:2048 scale_offset
	;; [unrolled: 2-line block ×15, first 2 shown]
	s_endpgm
	.section	.rodata,"a",@progbits
	.p2align	6, 0x0
	.amdhsa_kernel _Z6kernelI14subtract_rightLj256ELj16ELb1EJPfS1_jEEvDpT3_
		.amdhsa_group_segment_fixed_size 2048
		.amdhsa_private_segment_fixed_size 0
		.amdhsa_kernarg_size 20
		.amdhsa_user_sgpr_count 2
		.amdhsa_user_sgpr_dispatch_ptr 0
		.amdhsa_user_sgpr_queue_ptr 0
		.amdhsa_user_sgpr_kernarg_segment_ptr 1
		.amdhsa_user_sgpr_dispatch_id 0
		.amdhsa_user_sgpr_kernarg_preload_length 0
		.amdhsa_user_sgpr_kernarg_preload_offset 0
		.amdhsa_user_sgpr_private_segment_size 0
		.amdhsa_wavefront_size32 1
		.amdhsa_uses_dynamic_stack 0
		.amdhsa_enable_private_segment 0
		.amdhsa_system_sgpr_workgroup_id_x 1
		.amdhsa_system_sgpr_workgroup_id_y 0
		.amdhsa_system_sgpr_workgroup_id_z 0
		.amdhsa_system_sgpr_workgroup_info 0
		.amdhsa_system_vgpr_workitem_id 0
		.amdhsa_next_free_vgpr 54
		.amdhsa_next_free_sgpr 9
		.amdhsa_named_barrier_count 0
		.amdhsa_reserve_vcc 1
		.amdhsa_float_round_mode_32 0
		.amdhsa_float_round_mode_16_64 0
		.amdhsa_float_denorm_mode_32 3
		.amdhsa_float_denorm_mode_16_64 3
		.amdhsa_fp16_overflow 0
		.amdhsa_memory_ordered 1
		.amdhsa_forward_progress 1
		.amdhsa_inst_pref_size 8
		.amdhsa_round_robin_scheduling 0
		.amdhsa_exception_fp_ieee_invalid_op 0
		.amdhsa_exception_fp_denorm_src 0
		.amdhsa_exception_fp_ieee_div_zero 0
		.amdhsa_exception_fp_ieee_overflow 0
		.amdhsa_exception_fp_ieee_underflow 0
		.amdhsa_exception_fp_ieee_inexact 0
		.amdhsa_exception_int_div_zero 0
	.end_amdhsa_kernel
	.section	.text._Z6kernelI14subtract_rightLj256ELj16ELb1EJPfS1_jEEvDpT3_,"axG",@progbits,_Z6kernelI14subtract_rightLj256ELj16ELb1EJPfS1_jEEvDpT3_,comdat
.Lfunc_end100:
	.size	_Z6kernelI14subtract_rightLj256ELj16ELb1EJPfS1_jEEvDpT3_, .Lfunc_end100-_Z6kernelI14subtract_rightLj256ELj16ELb1EJPfS1_jEEvDpT3_
                                        ; -- End function
	.set _Z6kernelI14subtract_rightLj256ELj16ELb1EJPfS1_jEEvDpT3_.num_vgpr, 54
	.set _Z6kernelI14subtract_rightLj256ELj16ELb1EJPfS1_jEEvDpT3_.num_agpr, 0
	.set _Z6kernelI14subtract_rightLj256ELj16ELb1EJPfS1_jEEvDpT3_.numbered_sgpr, 9
	.set _Z6kernelI14subtract_rightLj256ELj16ELb1EJPfS1_jEEvDpT3_.num_named_barrier, 0
	.set _Z6kernelI14subtract_rightLj256ELj16ELb1EJPfS1_jEEvDpT3_.private_seg_size, 0
	.set _Z6kernelI14subtract_rightLj256ELj16ELb1EJPfS1_jEEvDpT3_.uses_vcc, 1
	.set _Z6kernelI14subtract_rightLj256ELj16ELb1EJPfS1_jEEvDpT3_.uses_flat_scratch, 0
	.set _Z6kernelI14subtract_rightLj256ELj16ELb1EJPfS1_jEEvDpT3_.has_dyn_sized_stack, 0
	.set _Z6kernelI14subtract_rightLj256ELj16ELb1EJPfS1_jEEvDpT3_.has_recursion, 0
	.set _Z6kernelI14subtract_rightLj256ELj16ELb1EJPfS1_jEEvDpT3_.has_indirect_call, 0
	.section	.AMDGPU.csdata,"",@progbits
; Kernel info:
; codeLenInByte = 936
; TotalNumSgprs: 11
; NumVgprs: 54
; ScratchSize: 0
; MemoryBound: 0
; FloatMode: 240
; IeeeMode: 1
; LDSByteSize: 2048 bytes/workgroup (compile time only)
; SGPRBlocks: 0
; VGPRBlocks: 3
; NumSGPRsForWavesPerEU: 11
; NumVGPRsForWavesPerEU: 54
; NamedBarCnt: 0
; Occupancy: 16
; WaveLimiterHint : 1
; COMPUTE_PGM_RSRC2:SCRATCH_EN: 0
; COMPUTE_PGM_RSRC2:USER_SGPR: 2
; COMPUTE_PGM_RSRC2:TRAP_HANDLER: 0
; COMPUTE_PGM_RSRC2:TGID_X_EN: 1
; COMPUTE_PGM_RSRC2:TGID_Y_EN: 0
; COMPUTE_PGM_RSRC2:TGID_Z_EN: 0
; COMPUTE_PGM_RSRC2:TIDIG_COMP_CNT: 0
	.section	.text._Z6kernelI14subtract_rightLj256ELj32ELb1EJPfS1_jEEvDpT3_,"axG",@progbits,_Z6kernelI14subtract_rightLj256ELj32ELb1EJPfS1_jEEvDpT3_,comdat
	.protected	_Z6kernelI14subtract_rightLj256ELj32ELb1EJPfS1_jEEvDpT3_ ; -- Begin function _Z6kernelI14subtract_rightLj256ELj32ELb1EJPfS1_jEEvDpT3_
	.globl	_Z6kernelI14subtract_rightLj256ELj32ELb1EJPfS1_jEEvDpT3_
	.p2align	8
	.type	_Z6kernelI14subtract_rightLj256ELj32ELb1EJPfS1_jEEvDpT3_,@function
_Z6kernelI14subtract_rightLj256ELj32ELb1EJPfS1_jEEvDpT3_: ; @_Z6kernelI14subtract_rightLj256ELj32ELb1EJPfS1_jEEvDpT3_
; %bb.0:
	s_load_b128 s[4:7], s[0:1], 0x0
	s_bfe_u32 s2, ttmp6, 0x4000c
	s_and_b32 s3, ttmp6, 15
	s_add_co_i32 s2, s2, 1
	s_getreg_b32 s8, hwreg(HW_REG_IB_STS2, 6, 4)
	s_mul_i32 s2, ttmp9, s2
	s_wait_xcnt 0x0
	s_load_b32 s0, s[0:1], 0x10
	s_add_co_i32 s3, s3, s2
	s_cmp_eq_u32 s8, 0
	s_cselect_b32 s2, ttmp9, s3
	s_mov_b32 s3, 0
	s_lshl_b32 s2, s2, 13
	s_delay_alu instid0(SALU_CYCLE_1)
	s_lshl_b64 s[2:3], s[2:3], 2
	s_wait_kmcnt 0x0
	s_add_nc_u64 s[4:5], s[4:5], s[2:3]
	s_clause 0x1f
	global_load_b32 v2, v0, s[4:5] scale_offset
	global_load_b32 v3, v0, s[4:5] offset:1024 scale_offset
	global_load_b32 v17, v0, s[4:5] offset:2048 scale_offset
	;; [unrolled: 1-line block ×31, first 2 shown]
	s_cmp_eq_u32 s0, 0
	s_cbranch_scc1 .LBB101_5
; %bb.1:
	s_wait_loadcnt 0x1e
	v_dual_mov_b32 v16, v3 :: v_dual_lshlrev_b32 v1, 2, v0
	s_wait_loadcnt 0x1c
	v_dual_mov_b32 v18, v17 :: v_dual_mov_b32 v20, v19
	s_wait_loadcnt 0x18
	v_dual_mov_b32 v22, v5 :: v_dual_mov_b32 v24, v23
	;; [unrolled: 2-line block ×8, first 2 shown]
	s_wait_loadcnt 0x3
	v_mov_b32_e32 v50, v49
	v_cmp_ne_u32_e32 vcc_lo, 0xff, v0
	s_branch .LBB101_3
.LBB101_2:                              ;   in Loop: Header=BB101_3 Depth=1
	s_or_b32 exec_lo, exec_lo, s1
	v_dual_mov_b32 v54, v21 :: v_dual_mov_b32 v55, v4
	v_pk_add_f32 v[58:59], v[16:17], v[18:19] neg_lo:[0,1] neg_hi:[0,1]
	v_pk_add_f32 v[60:61], v[18:19], v[20:21] neg_lo:[0,1] neg_hi:[0,1]
	;; [unrolled: 1-line block ×3, first 2 shown]
	v_mov_b32_e32 v52, v15
	v_pk_add_f32 v[54:55], v[20:21], v[54:55] neg_lo:[0,1] neg_hi:[0,1]
	v_pk_add_f32 v[16:17], v[16:17], v[58:59]
	v_dual_mov_b32 v58, v27 :: v_dual_mov_b32 v59, v6
	v_pk_add_f32 v[18:19], v[18:19], v[60:61]
	v_pk_add_f32 v[60:61], v[22:23], v[24:25] neg_lo:[0,1] neg_hi:[0,1]
	v_pk_add_f32 v[2:3], v[2:3], v[56:57]
	v_pk_add_f32 v[56:57], v[4:5], v[22:23] neg_lo:[0,1] neg_hi:[0,1]
	;; [unrolled: 2-line block ×3, first 2 shown]
	v_pk_add_f32 v[58:59], v[26:27], v[58:59] neg_lo:[0,1] neg_hi:[0,1]
	v_pk_add_f32 v[22:23], v[22:23], v[60:61]
	v_dual_mov_b32 v60, v33 :: v_dual_mov_b32 v61, v8
	s_delay_alu instid0(VALU_DEP_4)
	v_pk_add_f32 v[24:25], v[24:25], v[54:55]
	v_pk_add_f32 v[54:55], v[28:29], v[30:31] neg_lo:[0,1] neg_hi:[0,1]
	v_pk_add_f32 v[26:27], v[26:27], v[58:59]
	v_pk_add_f32 v[58:59], v[30:31], v[32:33] neg_lo:[0,1] neg_hi:[0,1]
	v_pk_add_f32 v[60:61], v[32:33], v[60:61] neg_lo:[0,1] neg_hi:[0,1]
	v_pk_add_f32 v[4:5], v[4:5], v[56:57]
	v_pk_add_f32 v[56:57], v[6:7], v[28:29] neg_lo:[0,1] neg_hi:[0,1]
	v_pk_add_f32 v[28:29], v[28:29], v[54:55]
	v_dual_mov_b32 v54, v39 :: v_dual_mov_b32 v55, v10
	v_pk_add_f32 v[30:31], v[30:31], v[58:59]
	v_pk_add_f32 v[58:59], v[34:35], v[36:37] neg_lo:[0,1] neg_hi:[0,1]
	v_pk_add_f32 v[32:33], v[32:33], v[60:61]
	v_pk_add_f32 v[60:61], v[36:37], v[38:39] neg_lo:[0,1] neg_hi:[0,1]
	v_pk_add_f32 v[6:7], v[6:7], v[56:57]
	v_pk_add_f32 v[56:57], v[8:9], v[34:35] neg_lo:[0,1] neg_hi:[0,1]
	v_pk_add_f32 v[54:55], v[38:39], v[54:55] neg_lo:[0,1] neg_hi:[0,1]
	v_pk_add_f32 v[34:35], v[34:35], v[58:59]
	v_dual_mov_b32 v58, v45 :: v_dual_mov_b32 v59, v12
	v_pk_add_f32 v[36:37], v[36:37], v[60:61]
	v_pk_add_f32 v[60:61], v[40:41], v[42:43] neg_lo:[0,1] neg_hi:[0,1]
	v_pk_add_f32 v[8:9], v[8:9], v[56:57]
	v_pk_add_f32 v[56:57], v[10:11], v[40:41] neg_lo:[0,1] neg_hi:[0,1]
	v_pk_add_f32 v[38:39], v[38:39], v[54:55]
	v_pk_add_f32 v[54:55], v[42:43], v[44:45] neg_lo:[0,1] neg_hi:[0,1]
	;; [unrolled: 9-line block ×3, first 2 shown]
	v_pk_add_f32 v[60:61], v[50:51], v[60:61] neg_lo:[0,1] neg_hi:[0,1]
	s_wait_dscnt 0x0
	v_pk_add_f32 v[52:53], v[14:15], v[52:53] neg_lo:[0,1] neg_hi:[0,1]
	v_pk_add_f32 v[12:13], v[12:13], v[56:57]
	v_pk_add_f32 v[46:47], v[46:47], v[54:55]
	;; [unrolled: 1-line block ×5, first 2 shown]
	s_add_co_i32 s0, s0, -1
	s_delay_alu instid0(SALU_CYCLE_1)
	s_cmp_lg_u32 s0, 0
	s_barrier_signal -1
	s_barrier_wait -1
	s_cbranch_scc0 .LBB101_5
.LBB101_3:                              ; =>This Inner Loop Header: Depth=1
	v_mov_b32_e32 v53, 0x42f60000
	ds_store_b32 v1, v2 offset:1024
	s_wait_loadcnt_dscnt 0x0
	s_barrier_signal -1
	s_barrier_wait -1
	s_and_saveexec_b32 s1, vcc_lo
	s_cbranch_execz .LBB101_2
; %bb.4:                                ;   in Loop: Header=BB101_3 Depth=1
	ds_load_b32 v53, v1 offset:1028
	s_branch .LBB101_2
.LBB101_5:
	s_add_nc_u64 s[0:1], s[6:7], s[2:3]
	s_wait_loadcnt 0x1f
	global_store_b32 v0, v2, s[0:1] scale_offset
	s_wait_loadcnt 0x1e
	global_store_b32 v0, v3, s[0:1] offset:1024 scale_offset
	s_wait_loadcnt 0x1d
	global_store_b32 v0, v17, s[0:1] offset:2048 scale_offset
	;; [unrolled: 2-line block ×31, first 2 shown]
	s_endpgm
	.section	.rodata,"a",@progbits
	.p2align	6, 0x0
	.amdhsa_kernel _Z6kernelI14subtract_rightLj256ELj32ELb1EJPfS1_jEEvDpT3_
		.amdhsa_group_segment_fixed_size 2048
		.amdhsa_private_segment_fixed_size 0
		.amdhsa_kernarg_size 20
		.amdhsa_user_sgpr_count 2
		.amdhsa_user_sgpr_dispatch_ptr 0
		.amdhsa_user_sgpr_queue_ptr 0
		.amdhsa_user_sgpr_kernarg_segment_ptr 1
		.amdhsa_user_sgpr_dispatch_id 0
		.amdhsa_user_sgpr_kernarg_preload_length 0
		.amdhsa_user_sgpr_kernarg_preload_offset 0
		.amdhsa_user_sgpr_private_segment_size 0
		.amdhsa_wavefront_size32 1
		.amdhsa_uses_dynamic_stack 0
		.amdhsa_enable_private_segment 0
		.amdhsa_system_sgpr_workgroup_id_x 1
		.amdhsa_system_sgpr_workgroup_id_y 0
		.amdhsa_system_sgpr_workgroup_id_z 0
		.amdhsa_system_sgpr_workgroup_info 0
		.amdhsa_system_vgpr_workitem_id 0
		.amdhsa_next_free_vgpr 62
		.amdhsa_next_free_sgpr 9
		.amdhsa_named_barrier_count 0
		.amdhsa_reserve_vcc 1
		.amdhsa_float_round_mode_32 0
		.amdhsa_float_round_mode_16_64 0
		.amdhsa_float_denorm_mode_32 3
		.amdhsa_float_denorm_mode_16_64 3
		.amdhsa_fp16_overflow 0
		.amdhsa_memory_ordered 1
		.amdhsa_forward_progress 1
		.amdhsa_inst_pref_size 14
		.amdhsa_round_robin_scheduling 0
		.amdhsa_exception_fp_ieee_invalid_op 0
		.amdhsa_exception_fp_denorm_src 0
		.amdhsa_exception_fp_ieee_div_zero 0
		.amdhsa_exception_fp_ieee_overflow 0
		.amdhsa_exception_fp_ieee_underflow 0
		.amdhsa_exception_fp_ieee_inexact 0
		.amdhsa_exception_int_div_zero 0
	.end_amdhsa_kernel
	.section	.text._Z6kernelI14subtract_rightLj256ELj32ELb1EJPfS1_jEEvDpT3_,"axG",@progbits,_Z6kernelI14subtract_rightLj256ELj32ELb1EJPfS1_jEEvDpT3_,comdat
.Lfunc_end101:
	.size	_Z6kernelI14subtract_rightLj256ELj32ELb1EJPfS1_jEEvDpT3_, .Lfunc_end101-_Z6kernelI14subtract_rightLj256ELj32ELb1EJPfS1_jEEvDpT3_
                                        ; -- End function
	.set _Z6kernelI14subtract_rightLj256ELj32ELb1EJPfS1_jEEvDpT3_.num_vgpr, 62
	.set _Z6kernelI14subtract_rightLj256ELj32ELb1EJPfS1_jEEvDpT3_.num_agpr, 0
	.set _Z6kernelI14subtract_rightLj256ELj32ELb1EJPfS1_jEEvDpT3_.numbered_sgpr, 9
	.set _Z6kernelI14subtract_rightLj256ELj32ELb1EJPfS1_jEEvDpT3_.num_named_barrier, 0
	.set _Z6kernelI14subtract_rightLj256ELj32ELb1EJPfS1_jEEvDpT3_.private_seg_size, 0
	.set _Z6kernelI14subtract_rightLj256ELj32ELb1EJPfS1_jEEvDpT3_.uses_vcc, 1
	.set _Z6kernelI14subtract_rightLj256ELj32ELb1EJPfS1_jEEvDpT3_.uses_flat_scratch, 0
	.set _Z6kernelI14subtract_rightLj256ELj32ELb1EJPfS1_jEEvDpT3_.has_dyn_sized_stack, 0
	.set _Z6kernelI14subtract_rightLj256ELj32ELb1EJPfS1_jEEvDpT3_.has_recursion, 0
	.set _Z6kernelI14subtract_rightLj256ELj32ELb1EJPfS1_jEEvDpT3_.has_indirect_call, 0
	.section	.AMDGPU.csdata,"",@progbits
; Kernel info:
; codeLenInByte = 1692
; TotalNumSgprs: 11
; NumVgprs: 62
; ScratchSize: 0
; MemoryBound: 0
; FloatMode: 240
; IeeeMode: 1
; LDSByteSize: 2048 bytes/workgroup (compile time only)
; SGPRBlocks: 0
; VGPRBlocks: 3
; NumSGPRsForWavesPerEU: 11
; NumVGPRsForWavesPerEU: 62
; NamedBarCnt: 0
; Occupancy: 16
; WaveLimiterHint : 1
; COMPUTE_PGM_RSRC2:SCRATCH_EN: 0
; COMPUTE_PGM_RSRC2:USER_SGPR: 2
; COMPUTE_PGM_RSRC2:TRAP_HANDLER: 0
; COMPUTE_PGM_RSRC2:TGID_X_EN: 1
; COMPUTE_PGM_RSRC2:TGID_Y_EN: 0
; COMPUTE_PGM_RSRC2:TGID_Z_EN: 0
; COMPUTE_PGM_RSRC2:TIDIG_COMP_CNT: 0
	.section	.text._Z6kernelI14subtract_rightLj256ELj1ELb1EJPaS1_jEEvDpT3_,"axG",@progbits,_Z6kernelI14subtract_rightLj256ELj1ELb1EJPaS1_jEEvDpT3_,comdat
	.protected	_Z6kernelI14subtract_rightLj256ELj1ELb1EJPaS1_jEEvDpT3_ ; -- Begin function _Z6kernelI14subtract_rightLj256ELj1ELb1EJPaS1_jEEvDpT3_
	.globl	_Z6kernelI14subtract_rightLj256ELj1ELb1EJPaS1_jEEvDpT3_
	.p2align	8
	.type	_Z6kernelI14subtract_rightLj256ELj1ELb1EJPaS1_jEEvDpT3_,@function
_Z6kernelI14subtract_rightLj256ELj1ELb1EJPaS1_jEEvDpT3_: ; @_Z6kernelI14subtract_rightLj256ELj1ELb1EJPaS1_jEEvDpT3_
; %bb.0:
	s_load_b128 s[4:7], s[0:1], 0x0
	s_bfe_u32 s2, ttmp6, 0x4000c
	s_and_b32 s3, ttmp6, 15
	s_add_co_i32 s2, s2, 1
	s_getreg_b32 s8, hwreg(HW_REG_IB_STS2, 6, 4)
	s_mul_i32 s2, ttmp9, s2
	s_wait_xcnt 0x0
	s_load_b32 s0, s[0:1], 0x10
	s_add_co_i32 s3, s3, s2
	s_cmp_eq_u32 s8, 0
	v_mov_b32_e32 v1, 0
	s_cselect_b32 s2, ttmp9, s3
	s_mov_b32 s3, 0
	s_lshl_b32 s2, s2, 8
	s_wait_kmcnt 0x0
	s_add_nc_u64 s[4:5], s[4:5], s[2:3]
	global_load_u8 v2, v0, s[4:5]
	s_cmp_eq_u32 s0, 0
	s_cbranch_scc1 .LBB102_5
; %bb.1:
	v_cmp_ne_u32_e32 vcc_lo, 0xff, v0
	s_branch .LBB102_3
.LBB102_2:                              ;   in Loop: Header=BB102_3 Depth=1
	s_or_b32 exec_lo, exec_lo, s1
	v_lshlrev_b16 v2, 1, v2
	s_add_co_i32 s0, s0, -1
	s_wait_dscnt 0x0
	s_cmp_lg_u32 s0, 0
	s_barrier_signal -1
	v_sub_nc_u16 v2, v2, v3
	s_barrier_wait -1
	s_cbranch_scc0 .LBB102_5
.LBB102_3:                              ; =>This Inner Loop Header: Depth=1
	v_mov_b32_e32 v3, 0x7b
	s_wait_loadcnt 0x0
	ds_store_b8 v0, v2 offset:256
	s_wait_dscnt 0x0
	s_barrier_signal -1
	s_barrier_wait -1
	s_and_saveexec_b32 s1, vcc_lo
	s_cbranch_execz .LBB102_2
; %bb.4:                                ;   in Loop: Header=BB102_3 Depth=1
	ds_load_u8 v3, v0 offset:257
	s_branch .LBB102_2
.LBB102_5:
	s_add_nc_u64 s[0:1], s[6:7], s[2:3]
	s_wait_xcnt 0x0
	v_add_nc_u64_e32 v[0:1], s[0:1], v[0:1]
	s_wait_loadcnt 0x0
	global_store_b8 v[0:1], v2, off
	s_endpgm
	.section	.rodata,"a",@progbits
	.p2align	6, 0x0
	.amdhsa_kernel _Z6kernelI14subtract_rightLj256ELj1ELb1EJPaS1_jEEvDpT3_
		.amdhsa_group_segment_fixed_size 512
		.amdhsa_private_segment_fixed_size 0
		.amdhsa_kernarg_size 20
		.amdhsa_user_sgpr_count 2
		.amdhsa_user_sgpr_dispatch_ptr 0
		.amdhsa_user_sgpr_queue_ptr 0
		.amdhsa_user_sgpr_kernarg_segment_ptr 1
		.amdhsa_user_sgpr_dispatch_id 0
		.amdhsa_user_sgpr_kernarg_preload_length 0
		.amdhsa_user_sgpr_kernarg_preload_offset 0
		.amdhsa_user_sgpr_private_segment_size 0
		.amdhsa_wavefront_size32 1
		.amdhsa_uses_dynamic_stack 0
		.amdhsa_enable_private_segment 0
		.amdhsa_system_sgpr_workgroup_id_x 1
		.amdhsa_system_sgpr_workgroup_id_y 0
		.amdhsa_system_sgpr_workgroup_id_z 0
		.amdhsa_system_sgpr_workgroup_info 0
		.amdhsa_system_vgpr_workitem_id 0
		.amdhsa_next_free_vgpr 4
		.amdhsa_next_free_sgpr 9
		.amdhsa_named_barrier_count 0
		.amdhsa_reserve_vcc 1
		.amdhsa_float_round_mode_32 0
		.amdhsa_float_round_mode_16_64 0
		.amdhsa_float_denorm_mode_32 3
		.amdhsa_float_denorm_mode_16_64 3
		.amdhsa_fp16_overflow 0
		.amdhsa_memory_ordered 1
		.amdhsa_forward_progress 1
		.amdhsa_inst_pref_size 2
		.amdhsa_round_robin_scheduling 0
		.amdhsa_exception_fp_ieee_invalid_op 0
		.amdhsa_exception_fp_denorm_src 0
		.amdhsa_exception_fp_ieee_div_zero 0
		.amdhsa_exception_fp_ieee_overflow 0
		.amdhsa_exception_fp_ieee_underflow 0
		.amdhsa_exception_fp_ieee_inexact 0
		.amdhsa_exception_int_div_zero 0
	.end_amdhsa_kernel
	.section	.text._Z6kernelI14subtract_rightLj256ELj1ELb1EJPaS1_jEEvDpT3_,"axG",@progbits,_Z6kernelI14subtract_rightLj256ELj1ELb1EJPaS1_jEEvDpT3_,comdat
.Lfunc_end102:
	.size	_Z6kernelI14subtract_rightLj256ELj1ELb1EJPaS1_jEEvDpT3_, .Lfunc_end102-_Z6kernelI14subtract_rightLj256ELj1ELb1EJPaS1_jEEvDpT3_
                                        ; -- End function
	.set _Z6kernelI14subtract_rightLj256ELj1ELb1EJPaS1_jEEvDpT3_.num_vgpr, 4
	.set _Z6kernelI14subtract_rightLj256ELj1ELb1EJPaS1_jEEvDpT3_.num_agpr, 0
	.set _Z6kernelI14subtract_rightLj256ELj1ELb1EJPaS1_jEEvDpT3_.numbered_sgpr, 9
	.set _Z6kernelI14subtract_rightLj256ELj1ELb1EJPaS1_jEEvDpT3_.num_named_barrier, 0
	.set _Z6kernelI14subtract_rightLj256ELj1ELb1EJPaS1_jEEvDpT3_.private_seg_size, 0
	.set _Z6kernelI14subtract_rightLj256ELj1ELb1EJPaS1_jEEvDpT3_.uses_vcc, 1
	.set _Z6kernelI14subtract_rightLj256ELj1ELb1EJPaS1_jEEvDpT3_.uses_flat_scratch, 0
	.set _Z6kernelI14subtract_rightLj256ELj1ELb1EJPaS1_jEEvDpT3_.has_dyn_sized_stack, 0
	.set _Z6kernelI14subtract_rightLj256ELj1ELb1EJPaS1_jEEvDpT3_.has_recursion, 0
	.set _Z6kernelI14subtract_rightLj256ELj1ELb1EJPaS1_jEEvDpT3_.has_indirect_call, 0
	.section	.AMDGPU.csdata,"",@progbits
; Kernel info:
; codeLenInByte = 236
; TotalNumSgprs: 11
; NumVgprs: 4
; ScratchSize: 0
; MemoryBound: 0
; FloatMode: 240
; IeeeMode: 1
; LDSByteSize: 512 bytes/workgroup (compile time only)
; SGPRBlocks: 0
; VGPRBlocks: 0
; NumSGPRsForWavesPerEU: 11
; NumVGPRsForWavesPerEU: 4
; NamedBarCnt: 0
; Occupancy: 16
; WaveLimiterHint : 0
; COMPUTE_PGM_RSRC2:SCRATCH_EN: 0
; COMPUTE_PGM_RSRC2:USER_SGPR: 2
; COMPUTE_PGM_RSRC2:TRAP_HANDLER: 0
; COMPUTE_PGM_RSRC2:TGID_X_EN: 1
; COMPUTE_PGM_RSRC2:TGID_Y_EN: 0
; COMPUTE_PGM_RSRC2:TGID_Z_EN: 0
; COMPUTE_PGM_RSRC2:TIDIG_COMP_CNT: 0
	.section	.text._Z6kernelI14subtract_rightLj256ELj3ELb1EJPaS1_jEEvDpT3_,"axG",@progbits,_Z6kernelI14subtract_rightLj256ELj3ELb1EJPaS1_jEEvDpT3_,comdat
	.protected	_Z6kernelI14subtract_rightLj256ELj3ELb1EJPaS1_jEEvDpT3_ ; -- Begin function _Z6kernelI14subtract_rightLj256ELj3ELb1EJPaS1_jEEvDpT3_
	.globl	_Z6kernelI14subtract_rightLj256ELj3ELb1EJPaS1_jEEvDpT3_
	.p2align	8
	.type	_Z6kernelI14subtract_rightLj256ELj3ELb1EJPaS1_jEEvDpT3_,@function
_Z6kernelI14subtract_rightLj256ELj3ELb1EJPaS1_jEEvDpT3_: ; @_Z6kernelI14subtract_rightLj256ELj3ELb1EJPaS1_jEEvDpT3_
; %bb.0:
	s_load_b128 s[4:7], s[0:1], 0x0
	s_bfe_u32 s2, ttmp6, 0x4000c
	s_and_b32 s3, ttmp6, 15
	s_add_co_i32 s2, s2, 1
	s_getreg_b32 s8, hwreg(HW_REG_IB_STS2, 6, 4)
	s_mul_i32 s2, ttmp9, s2
	s_wait_xcnt 0x0
	s_load_b32 s0, s[0:1], 0x10
	s_add_co_i32 s3, s3, s2
	s_cmp_eq_u32 s8, 0
	s_cselect_b32 s2, ttmp9, s3
	s_mov_b32 s3, 0
	s_mulk_i32 s2, 0x300
	s_wait_kmcnt 0x0
	s_add_nc_u64 s[4:5], s[4:5], s[2:3]
	s_clause 0x2
	global_load_u8 v1, v0, s[4:5] offset:256
	global_load_u8 v2, v0, s[4:5] offset:512
	global_load_u8 v3, v0, s[4:5]
	s_cmp_eq_u32 s0, 0
	s_wait_loadcnt 0x0
	v_perm_b32 v3, v3, v1, 0xc0c0004
	v_mov_b32_e32 v1, 0
	s_delay_alu instid0(VALU_DEP_2)
	v_lshl_or_b32 v2, v2, 16, v3
	s_cbranch_scc1 .LBB103_5
; %bb.1:
	v_cmp_ne_u32_e32 vcc_lo, 0xff, v0
	s_branch .LBB103_3
.LBB103_2:                              ;   in Loop: Header=BB103_3 Depth=1
	s_or_b32 exec_lo, exec_lo, s1
	v_dual_lshrrev_b32 v4, 8, v2 :: v_dual_lshrrev_b32 v5, 16, v2
	v_lshlrev_b16 v2, 1, v2
	s_add_co_i32 s0, s0, -1
	s_wait_dscnt 0x0
	s_delay_alu instid0(VALU_DEP_2)
	v_lshlrev_b16 v6, 1, v4
	v_lshlrev_b16 v7, 1, v5
	v_sub_nc_u16 v2, v2, v4
	s_cmp_lg_u32 s0, 0
	s_barrier_signal -1
	v_sub_nc_u16 v5, v6, v5
	v_sub_nc_u16 v3, v7, v3
	s_barrier_wait -1
	s_delay_alu instid0(VALU_DEP_2) | instskip(NEXT) | instid1(VALU_DEP_2)
	v_lshlrev_b16 v4, 8, v5
	v_and_b32_e32 v3, 0xff, v3
	s_delay_alu instid0(VALU_DEP_2) | instskip(NEXT) | instid1(VALU_DEP_2)
	v_bitop3_b16 v2, v2, v4, 0xff bitop3:0xec
	v_lshlrev_b32_e32 v3, 16, v3
	s_delay_alu instid0(VALU_DEP_2) | instskip(NEXT) | instid1(VALU_DEP_1)
	v_and_b32_e32 v2, 0xffff, v2
	v_or_b32_e32 v2, v2, v3
	s_cbranch_scc0 .LBB103_5
.LBB103_3:                              ; =>This Inner Loop Header: Depth=1
	v_mov_b32_e32 v3, 0x7b
	ds_store_b8 v0, v2 offset:256
	s_wait_dscnt 0x0
	s_barrier_signal -1
	s_barrier_wait -1
	s_and_saveexec_b32 s1, vcc_lo
	s_cbranch_execz .LBB103_2
; %bb.4:                                ;   in Loop: Header=BB103_3 Depth=1
	ds_load_u8 v3, v0 offset:257
	s_branch .LBB103_2
.LBB103_5:
	s_add_nc_u64 s[0:1], s[6:7], s[2:3]
	s_delay_alu instid0(VALU_DEP_1)
	v_lshrrev_b32_e32 v3, 8, v2
	v_add_nc_u64_e32 v[0:1], s[0:1], v[0:1]
	s_clause 0x2
	global_store_b8 v[0:1], v2, off
	global_store_b8 v[0:1], v3, off offset:256
	global_store_d16_hi_b8 v[0:1], v2, off offset:512
	s_endpgm
	.section	.rodata,"a",@progbits
	.p2align	6, 0x0
	.amdhsa_kernel _Z6kernelI14subtract_rightLj256ELj3ELb1EJPaS1_jEEvDpT3_
		.amdhsa_group_segment_fixed_size 512
		.amdhsa_private_segment_fixed_size 0
		.amdhsa_kernarg_size 20
		.amdhsa_user_sgpr_count 2
		.amdhsa_user_sgpr_dispatch_ptr 0
		.amdhsa_user_sgpr_queue_ptr 0
		.amdhsa_user_sgpr_kernarg_segment_ptr 1
		.amdhsa_user_sgpr_dispatch_id 0
		.amdhsa_user_sgpr_kernarg_preload_length 0
		.amdhsa_user_sgpr_kernarg_preload_offset 0
		.amdhsa_user_sgpr_private_segment_size 0
		.amdhsa_wavefront_size32 1
		.amdhsa_uses_dynamic_stack 0
		.amdhsa_enable_private_segment 0
		.amdhsa_system_sgpr_workgroup_id_x 1
		.amdhsa_system_sgpr_workgroup_id_y 0
		.amdhsa_system_sgpr_workgroup_id_z 0
		.amdhsa_system_sgpr_workgroup_info 0
		.amdhsa_system_vgpr_workitem_id 0
		.amdhsa_next_free_vgpr 8
		.amdhsa_next_free_sgpr 9
		.amdhsa_named_barrier_count 0
		.amdhsa_reserve_vcc 1
		.amdhsa_float_round_mode_32 0
		.amdhsa_float_round_mode_16_64 0
		.amdhsa_float_denorm_mode_32 3
		.amdhsa_float_denorm_mode_16_64 3
		.amdhsa_fp16_overflow 0
		.amdhsa_memory_ordered 1
		.amdhsa_forward_progress 1
		.amdhsa_inst_pref_size 4
		.amdhsa_round_robin_scheduling 0
		.amdhsa_exception_fp_ieee_invalid_op 0
		.amdhsa_exception_fp_denorm_src 0
		.amdhsa_exception_fp_ieee_div_zero 0
		.amdhsa_exception_fp_ieee_overflow 0
		.amdhsa_exception_fp_ieee_underflow 0
		.amdhsa_exception_fp_ieee_inexact 0
		.amdhsa_exception_int_div_zero 0
	.end_amdhsa_kernel
	.section	.text._Z6kernelI14subtract_rightLj256ELj3ELb1EJPaS1_jEEvDpT3_,"axG",@progbits,_Z6kernelI14subtract_rightLj256ELj3ELb1EJPaS1_jEEvDpT3_,comdat
.Lfunc_end103:
	.size	_Z6kernelI14subtract_rightLj256ELj3ELb1EJPaS1_jEEvDpT3_, .Lfunc_end103-_Z6kernelI14subtract_rightLj256ELj3ELb1EJPaS1_jEEvDpT3_
                                        ; -- End function
	.set _Z6kernelI14subtract_rightLj256ELj3ELb1EJPaS1_jEEvDpT3_.num_vgpr, 8
	.set _Z6kernelI14subtract_rightLj256ELj3ELb1EJPaS1_jEEvDpT3_.num_agpr, 0
	.set _Z6kernelI14subtract_rightLj256ELj3ELb1EJPaS1_jEEvDpT3_.numbered_sgpr, 9
	.set _Z6kernelI14subtract_rightLj256ELj3ELb1EJPaS1_jEEvDpT3_.num_named_barrier, 0
	.set _Z6kernelI14subtract_rightLj256ELj3ELb1EJPaS1_jEEvDpT3_.private_seg_size, 0
	.set _Z6kernelI14subtract_rightLj256ELj3ELb1EJPaS1_jEEvDpT3_.uses_vcc, 1
	.set _Z6kernelI14subtract_rightLj256ELj3ELb1EJPaS1_jEEvDpT3_.uses_flat_scratch, 0
	.set _Z6kernelI14subtract_rightLj256ELj3ELb1EJPaS1_jEEvDpT3_.has_dyn_sized_stack, 0
	.set _Z6kernelI14subtract_rightLj256ELj3ELb1EJPaS1_jEEvDpT3_.has_recursion, 0
	.set _Z6kernelI14subtract_rightLj256ELj3ELb1EJPaS1_jEEvDpT3_.has_indirect_call, 0
	.section	.AMDGPU.csdata,"",@progbits
; Kernel info:
; codeLenInByte = 420
; TotalNumSgprs: 11
; NumVgprs: 8
; ScratchSize: 0
; MemoryBound: 0
; FloatMode: 240
; IeeeMode: 1
; LDSByteSize: 512 bytes/workgroup (compile time only)
; SGPRBlocks: 0
; VGPRBlocks: 0
; NumSGPRsForWavesPerEU: 11
; NumVGPRsForWavesPerEU: 8
; NamedBarCnt: 0
; Occupancy: 16
; WaveLimiterHint : 1
; COMPUTE_PGM_RSRC2:SCRATCH_EN: 0
; COMPUTE_PGM_RSRC2:USER_SGPR: 2
; COMPUTE_PGM_RSRC2:TRAP_HANDLER: 0
; COMPUTE_PGM_RSRC2:TGID_X_EN: 1
; COMPUTE_PGM_RSRC2:TGID_Y_EN: 0
; COMPUTE_PGM_RSRC2:TGID_Z_EN: 0
; COMPUTE_PGM_RSRC2:TIDIG_COMP_CNT: 0
	.section	.text._Z6kernelI14subtract_rightLj256ELj4ELb1EJPaS1_jEEvDpT3_,"axG",@progbits,_Z6kernelI14subtract_rightLj256ELj4ELb1EJPaS1_jEEvDpT3_,comdat
	.protected	_Z6kernelI14subtract_rightLj256ELj4ELb1EJPaS1_jEEvDpT3_ ; -- Begin function _Z6kernelI14subtract_rightLj256ELj4ELb1EJPaS1_jEEvDpT3_
	.globl	_Z6kernelI14subtract_rightLj256ELj4ELb1EJPaS1_jEEvDpT3_
	.p2align	8
	.type	_Z6kernelI14subtract_rightLj256ELj4ELb1EJPaS1_jEEvDpT3_,@function
_Z6kernelI14subtract_rightLj256ELj4ELb1EJPaS1_jEEvDpT3_: ; @_Z6kernelI14subtract_rightLj256ELj4ELb1EJPaS1_jEEvDpT3_
; %bb.0:
	s_load_b128 s[4:7], s[0:1], 0x0
	s_bfe_u32 s2, ttmp6, 0x4000c
	s_and_b32 s3, ttmp6, 15
	s_add_co_i32 s2, s2, 1
	s_getreg_b32 s8, hwreg(HW_REG_IB_STS2, 6, 4)
	s_mul_i32 s2, ttmp9, s2
	s_wait_xcnt 0x0
	s_load_b32 s0, s[0:1], 0x10
	s_add_co_i32 s3, s3, s2
	s_cmp_eq_u32 s8, 0
	s_cselect_b32 s2, ttmp9, s3
	s_mov_b32 s3, 0
	s_lshl_b32 s2, s2, 10
	s_wait_kmcnt 0x0
	s_add_nc_u64 s[4:5], s[4:5], s[2:3]
	s_clause 0x3
	global_load_u8 v1, v0, s[4:5] offset:256
	global_load_u8 v2, v0, s[4:5] offset:512
	global_load_u8 v3, v0, s[4:5]
	global_load_u8 v4, v0, s[4:5] offset:768
	s_cmp_eq_u32 s0, 0
	s_wait_loadcnt 0x1
	v_perm_b32 v3, v3, v1, 0xc0c0004
	s_wait_loadcnt 0x0
	v_perm_b32 v2, v2, v4, 0xc0c0004
	v_mov_b32_e32 v1, 0
	s_delay_alu instid0(VALU_DEP_2)
	v_lshl_or_b32 v2, v2, 16, v3
	s_cbranch_scc1 .LBB104_5
; %bb.1:
	v_cmp_ne_u32_e32 vcc_lo, 0xff, v0
	s_branch .LBB104_3
.LBB104_2:                              ;   in Loop: Header=BB104_3 Depth=1
	s_or_b32 exec_lo, exec_lo, s1
	v_lshrrev_b16 v4, 8, v2
	v_dual_lshrrev_b32 v5, 24, v2 :: v_dual_lshrrev_b32 v6, 16, v2
	v_lshlrev_b16 v2, 1, v2
	s_add_co_i32 s0, s0, -1
	s_delay_alu instid0(VALU_DEP_3) | instskip(NEXT) | instid1(VALU_DEP_3)
	v_lshlrev_b16 v7, 1, v4
	v_lshlrev_b16 v8, 1, v5
	v_lshlrev_b16 v9, 1, v6
	v_sub_nc_u16 v2, v2, v4
	s_cmp_lg_u32 s0, 0
	v_sub_nc_u16 v6, v7, v6
	s_wait_dscnt 0x0
	v_sub_nc_u16 v3, v8, v3
	v_sub_nc_u16 v4, v9, v5
	s_barrier_signal -1
	v_lshlrev_b16 v5, 8, v6
	s_delay_alu instid0(VALU_DEP_3) | instskip(SKIP_1) | instid1(VALU_DEP_2)
	v_lshlrev_b16 v3, 8, v3
	s_barrier_wait -1
	v_bitop3_b16 v2, v2, v5, 0xff bitop3:0xec
	s_delay_alu instid0(VALU_DEP_2) | instskip(NEXT) | instid1(VALU_DEP_2)
	v_bitop3_b16 v3, v4, v3, 0xff bitop3:0xec
	v_and_b32_e32 v2, 0xffff, v2
	s_delay_alu instid0(VALU_DEP_2) | instskip(NEXT) | instid1(VALU_DEP_1)
	v_lshlrev_b32_e32 v3, 16, v3
	v_or_b32_e32 v2, v2, v3
	s_cbranch_scc0 .LBB104_5
.LBB104_3:                              ; =>This Inner Loop Header: Depth=1
	v_mov_b32_e32 v3, 0x7b
	ds_store_b8 v0, v2 offset:256
	s_wait_dscnt 0x0
	s_barrier_signal -1
	s_barrier_wait -1
	s_and_saveexec_b32 s1, vcc_lo
	s_cbranch_execz .LBB104_2
; %bb.4:                                ;   in Loop: Header=BB104_3 Depth=1
	ds_load_u8 v3, v0 offset:257
	s_branch .LBB104_2
.LBB104_5:
	s_add_nc_u64 s[0:1], s[6:7], s[2:3]
	s_delay_alu instid0(VALU_DEP_1)
	v_dual_lshrrev_b32 v3, 8, v2 :: v_dual_lshrrev_b32 v4, 24, v2
	v_add_nc_u64_e32 v[0:1], s[0:1], v[0:1]
	s_clause 0x3
	global_store_b8 v[0:1], v2, off
	global_store_b8 v[0:1], v3, off offset:256
	global_store_d16_hi_b8 v[0:1], v2, off offset:512
	global_store_b8 v[0:1], v4, off offset:768
	s_endpgm
	.section	.rodata,"a",@progbits
	.p2align	6, 0x0
	.amdhsa_kernel _Z6kernelI14subtract_rightLj256ELj4ELb1EJPaS1_jEEvDpT3_
		.amdhsa_group_segment_fixed_size 512
		.amdhsa_private_segment_fixed_size 0
		.amdhsa_kernarg_size 20
		.amdhsa_user_sgpr_count 2
		.amdhsa_user_sgpr_dispatch_ptr 0
		.amdhsa_user_sgpr_queue_ptr 0
		.amdhsa_user_sgpr_kernarg_segment_ptr 1
		.amdhsa_user_sgpr_dispatch_id 0
		.amdhsa_user_sgpr_kernarg_preload_length 0
		.amdhsa_user_sgpr_kernarg_preload_offset 0
		.amdhsa_user_sgpr_private_segment_size 0
		.amdhsa_wavefront_size32 1
		.amdhsa_uses_dynamic_stack 0
		.amdhsa_enable_private_segment 0
		.amdhsa_system_sgpr_workgroup_id_x 1
		.amdhsa_system_sgpr_workgroup_id_y 0
		.amdhsa_system_sgpr_workgroup_id_z 0
		.amdhsa_system_sgpr_workgroup_info 0
		.amdhsa_system_vgpr_workitem_id 0
		.amdhsa_next_free_vgpr 10
		.amdhsa_next_free_sgpr 9
		.amdhsa_named_barrier_count 0
		.amdhsa_reserve_vcc 1
		.amdhsa_float_round_mode_32 0
		.amdhsa_float_round_mode_16_64 0
		.amdhsa_float_denorm_mode_32 3
		.amdhsa_float_denorm_mode_16_64 3
		.amdhsa_fp16_overflow 0
		.amdhsa_memory_ordered 1
		.amdhsa_forward_progress 1
		.amdhsa_inst_pref_size 4
		.amdhsa_round_robin_scheduling 0
		.amdhsa_exception_fp_ieee_invalid_op 0
		.amdhsa_exception_fp_denorm_src 0
		.amdhsa_exception_fp_ieee_div_zero 0
		.amdhsa_exception_fp_ieee_overflow 0
		.amdhsa_exception_fp_ieee_underflow 0
		.amdhsa_exception_fp_ieee_inexact 0
		.amdhsa_exception_int_div_zero 0
	.end_amdhsa_kernel
	.section	.text._Z6kernelI14subtract_rightLj256ELj4ELb1EJPaS1_jEEvDpT3_,"axG",@progbits,_Z6kernelI14subtract_rightLj256ELj4ELb1EJPaS1_jEEvDpT3_,comdat
.Lfunc_end104:
	.size	_Z6kernelI14subtract_rightLj256ELj4ELb1EJPaS1_jEEvDpT3_, .Lfunc_end104-_Z6kernelI14subtract_rightLj256ELj4ELb1EJPaS1_jEEvDpT3_
                                        ; -- End function
	.set _Z6kernelI14subtract_rightLj256ELj4ELb1EJPaS1_jEEvDpT3_.num_vgpr, 10
	.set _Z6kernelI14subtract_rightLj256ELj4ELb1EJPaS1_jEEvDpT3_.num_agpr, 0
	.set _Z6kernelI14subtract_rightLj256ELj4ELb1EJPaS1_jEEvDpT3_.numbered_sgpr, 9
	.set _Z6kernelI14subtract_rightLj256ELj4ELb1EJPaS1_jEEvDpT3_.num_named_barrier, 0
	.set _Z6kernelI14subtract_rightLj256ELj4ELb1EJPaS1_jEEvDpT3_.private_seg_size, 0
	.set _Z6kernelI14subtract_rightLj256ELj4ELb1EJPaS1_jEEvDpT3_.uses_vcc, 1
	.set _Z6kernelI14subtract_rightLj256ELj4ELb1EJPaS1_jEEvDpT3_.uses_flat_scratch, 0
	.set _Z6kernelI14subtract_rightLj256ELj4ELb1EJPaS1_jEEvDpT3_.has_dyn_sized_stack, 0
	.set _Z6kernelI14subtract_rightLj256ELj4ELb1EJPaS1_jEEvDpT3_.has_recursion, 0
	.set _Z6kernelI14subtract_rightLj256ELj4ELb1EJPaS1_jEEvDpT3_.has_indirect_call, 0
	.section	.AMDGPU.csdata,"",@progbits
; Kernel info:
; codeLenInByte = 504
; TotalNumSgprs: 11
; NumVgprs: 10
; ScratchSize: 0
; MemoryBound: 0
; FloatMode: 240
; IeeeMode: 1
; LDSByteSize: 512 bytes/workgroup (compile time only)
; SGPRBlocks: 0
; VGPRBlocks: 0
; NumSGPRsForWavesPerEU: 11
; NumVGPRsForWavesPerEU: 10
; NamedBarCnt: 0
; Occupancy: 16
; WaveLimiterHint : 1
; COMPUTE_PGM_RSRC2:SCRATCH_EN: 0
; COMPUTE_PGM_RSRC2:USER_SGPR: 2
; COMPUTE_PGM_RSRC2:TRAP_HANDLER: 0
; COMPUTE_PGM_RSRC2:TGID_X_EN: 1
; COMPUTE_PGM_RSRC2:TGID_Y_EN: 0
; COMPUTE_PGM_RSRC2:TGID_Z_EN: 0
; COMPUTE_PGM_RSRC2:TIDIG_COMP_CNT: 0
	.section	.text._Z6kernelI14subtract_rightLj256ELj8ELb1EJPaS1_jEEvDpT3_,"axG",@progbits,_Z6kernelI14subtract_rightLj256ELj8ELb1EJPaS1_jEEvDpT3_,comdat
	.protected	_Z6kernelI14subtract_rightLj256ELj8ELb1EJPaS1_jEEvDpT3_ ; -- Begin function _Z6kernelI14subtract_rightLj256ELj8ELb1EJPaS1_jEEvDpT3_
	.globl	_Z6kernelI14subtract_rightLj256ELj8ELb1EJPaS1_jEEvDpT3_
	.p2align	8
	.type	_Z6kernelI14subtract_rightLj256ELj8ELb1EJPaS1_jEEvDpT3_,@function
_Z6kernelI14subtract_rightLj256ELj8ELb1EJPaS1_jEEvDpT3_: ; @_Z6kernelI14subtract_rightLj256ELj8ELb1EJPaS1_jEEvDpT3_
; %bb.0:
	s_load_b128 s[4:7], s[0:1], 0x0
	s_bfe_u32 s2, ttmp6, 0x4000c
	s_and_b32 s3, ttmp6, 15
	s_add_co_i32 s2, s2, 1
	s_getreg_b32 s8, hwreg(HW_REG_IB_STS2, 6, 4)
	s_mul_i32 s2, ttmp9, s2
	s_wait_xcnt 0x0
	s_load_b32 s0, s[0:1], 0x10
	s_add_co_i32 s3, s3, s2
	s_cmp_eq_u32 s8, 0
	s_cselect_b32 s2, ttmp9, s3
	s_mov_b32 s3, 0
	s_lshl_b32 s2, s2, 11
	s_wait_kmcnt 0x0
	s_add_nc_u64 s[4:5], s[4:5], s[2:3]
	s_clause 0x7
	global_load_u8 v1, v0, s[4:5] offset:256
	global_load_u8 v2, v0, s[4:5] offset:1536
	;; [unrolled: 1-line block ×4, first 2 shown]
	global_load_u8 v5, v0, s[4:5]
	global_load_u8 v6, v0, s[4:5] offset:768
	global_load_u8 v7, v0, s[4:5] offset:1280
	;; [unrolled: 1-line block ×3, first 2 shown]
	s_cmp_eq_u32 s0, 0
	s_wait_loadcnt 0x3
	v_perm_b32 v5, v5, v1, 0xc0c0004
	s_wait_loadcnt 0x2
	v_perm_b32 v4, v4, v6, 0xc0c0004
	;; [unrolled: 2-line block ×4, first 2 shown]
	v_mov_b32_e32 v1, 0
	v_lshl_or_b32 v2, v4, 16, v5
	s_delay_alu instid0(VALU_DEP_3)
	v_lshl_or_b32 v3, v6, 16, v3
	s_cbranch_scc1 .LBB105_5
; %bb.1:
	v_cmp_ne_u32_e32 vcc_lo, 0xff, v0
	s_branch .LBB105_3
.LBB105_2:                              ;   in Loop: Header=BB105_3 Depth=1
	s_or_b32 exec_lo, exec_lo, s1
	v_dual_lshrrev_b32 v5, 8, v2 :: v_dual_lshrrev_b32 v8, 8, v3
	v_lshrrev_b64 v[6:7], 24, v[2:3]
	v_dual_lshrrev_b32 v9, 16, v2 :: v_dual_lshrrev_b32 v10, 16, v3
	v_lshlrev_b16 v2, 1, v2
	s_delay_alu instid0(VALU_DEP_4) | instskip(SKIP_1) | instid1(VALU_DEP_4)
	v_lshlrev_b16 v7, 1, v5
	v_lshlrev_b16 v13, 1, v8
	;; [unrolled: 1-line block ×3, first 2 shown]
	s_add_co_i32 s0, s0, -1
	v_sub_nc_u16 v2, v2, v5
	v_sub_nc_u16 v5, v7, v9
	v_lshlrev_b16 v7, 1, v6
	v_sub_nc_u16 v6, v12, v6
	v_sub_nc_u16 v12, v13, v10
	v_lshlrev_b16 v10, 1, v10
	v_lshlrev_b16 v5, 8, v5
	v_sub_nc_u16 v7, v7, v3
	s_cmp_lg_u32 s0, 0
	s_wait_dscnt 0x0
	s_barrier_signal -1
	v_bitop3_b16 v2, v2, v5, 0xff bitop3:0xec
	v_lshlrev_b16 v7, 8, v7
	s_barrier_wait -1
	s_delay_alu instid0(VALU_DEP_2) | instskip(NEXT) | instid1(VALU_DEP_2)
	v_and_b32_e32 v2, 0xffff, v2
	v_bitop3_b16 v5, v6, v7, 0xff bitop3:0xec
	v_lshrrev_b32_e32 v11, 24, v3
	v_lshlrev_b16 v3, 1, v3
	s_delay_alu instid0(VALU_DEP_3) | instskip(NEXT) | instid1(VALU_DEP_3)
	v_lshlrev_b32_e32 v5, 16, v5
	v_lshlrev_b16 v9, 1, v11
	s_delay_alu instid0(VALU_DEP_3) | instskip(SKIP_1) | instid1(VALU_DEP_4)
	v_sub_nc_u16 v3, v3, v8
	v_lshlrev_b16 v8, 8, v12
	v_or_b32_e32 v2, v2, v5
	s_delay_alu instid0(VALU_DEP_4) | instskip(SKIP_1) | instid1(VALU_DEP_4)
	v_sub_nc_u16 v4, v9, v4
	v_sub_nc_u16 v9, v10, v11
	v_bitop3_b16 v3, v3, v8, 0xff bitop3:0xec
	s_delay_alu instid0(VALU_DEP_3) | instskip(NEXT) | instid1(VALU_DEP_2)
	v_lshlrev_b16 v4, 8, v4
	v_and_b32_e32 v3, 0xffff, v3
	s_delay_alu instid0(VALU_DEP_2) | instskip(NEXT) | instid1(VALU_DEP_1)
	v_bitop3_b16 v4, v9, v4, 0xff bitop3:0xec
	v_lshlrev_b32_e32 v4, 16, v4
	s_delay_alu instid0(VALU_DEP_1)
	v_or_b32_e32 v3, v3, v4
	s_cbranch_scc0 .LBB105_5
.LBB105_3:                              ; =>This Inner Loop Header: Depth=1
	v_mov_b32_e32 v4, 0x7b
	ds_store_b8 v0, v2 offset:256
	s_wait_dscnt 0x0
	s_barrier_signal -1
	s_barrier_wait -1
	s_and_saveexec_b32 s1, vcc_lo
	s_cbranch_execz .LBB105_2
; %bb.4:                                ;   in Loop: Header=BB105_3 Depth=1
	ds_load_u8 v4, v0 offset:257
	s_branch .LBB105_2
.LBB105_5:
	s_add_nc_u64 s[0:1], s[6:7], s[2:3]
	s_delay_alu instid0(VALU_DEP_2)
	v_dual_lshrrev_b32 v4, 8, v2 :: v_dual_lshrrev_b32 v5, 24, v2
	v_add_nc_u64_e32 v[0:1], s[0:1], v[0:1]
	v_dual_lshrrev_b32 v6, 8, v3 :: v_dual_lshrrev_b32 v7, 24, v3
	s_clause 0x7
	global_store_b8 v[0:1], v2, off
	global_store_b8 v[0:1], v4, off offset:256
	global_store_d16_hi_b8 v[0:1], v2, off offset:512
	global_store_b8 v[0:1], v5, off offset:768
	global_store_b8 v[0:1], v3, off offset:1024
	;; [unrolled: 1-line block ×3, first 2 shown]
	global_store_d16_hi_b8 v[0:1], v3, off offset:1536
	global_store_b8 v[0:1], v7, off offset:1792
	s_endpgm
	.section	.rodata,"a",@progbits
	.p2align	6, 0x0
	.amdhsa_kernel _Z6kernelI14subtract_rightLj256ELj8ELb1EJPaS1_jEEvDpT3_
		.amdhsa_group_segment_fixed_size 512
		.amdhsa_private_segment_fixed_size 0
		.amdhsa_kernarg_size 20
		.amdhsa_user_sgpr_count 2
		.amdhsa_user_sgpr_dispatch_ptr 0
		.amdhsa_user_sgpr_queue_ptr 0
		.amdhsa_user_sgpr_kernarg_segment_ptr 1
		.amdhsa_user_sgpr_dispatch_id 0
		.amdhsa_user_sgpr_kernarg_preload_length 0
		.amdhsa_user_sgpr_kernarg_preload_offset 0
		.amdhsa_user_sgpr_private_segment_size 0
		.amdhsa_wavefront_size32 1
		.amdhsa_uses_dynamic_stack 0
		.amdhsa_enable_private_segment 0
		.amdhsa_system_sgpr_workgroup_id_x 1
		.amdhsa_system_sgpr_workgroup_id_y 0
		.amdhsa_system_sgpr_workgroup_id_z 0
		.amdhsa_system_sgpr_workgroup_info 0
		.amdhsa_system_vgpr_workitem_id 0
		.amdhsa_next_free_vgpr 14
		.amdhsa_next_free_sgpr 9
		.amdhsa_named_barrier_count 0
		.amdhsa_reserve_vcc 1
		.amdhsa_float_round_mode_32 0
		.amdhsa_float_round_mode_16_64 0
		.amdhsa_float_denorm_mode_32 3
		.amdhsa_float_denorm_mode_16_64 3
		.amdhsa_fp16_overflow 0
		.amdhsa_memory_ordered 1
		.amdhsa_forward_progress 1
		.amdhsa_inst_pref_size 7
		.amdhsa_round_robin_scheduling 0
		.amdhsa_exception_fp_ieee_invalid_op 0
		.amdhsa_exception_fp_denorm_src 0
		.amdhsa_exception_fp_ieee_div_zero 0
		.amdhsa_exception_fp_ieee_overflow 0
		.amdhsa_exception_fp_ieee_underflow 0
		.amdhsa_exception_fp_ieee_inexact 0
		.amdhsa_exception_int_div_zero 0
	.end_amdhsa_kernel
	.section	.text._Z6kernelI14subtract_rightLj256ELj8ELb1EJPaS1_jEEvDpT3_,"axG",@progbits,_Z6kernelI14subtract_rightLj256ELj8ELb1EJPaS1_jEEvDpT3_,comdat
.Lfunc_end105:
	.size	_Z6kernelI14subtract_rightLj256ELj8ELb1EJPaS1_jEEvDpT3_, .Lfunc_end105-_Z6kernelI14subtract_rightLj256ELj8ELb1EJPaS1_jEEvDpT3_
                                        ; -- End function
	.set _Z6kernelI14subtract_rightLj256ELj8ELb1EJPaS1_jEEvDpT3_.num_vgpr, 14
	.set _Z6kernelI14subtract_rightLj256ELj8ELb1EJPaS1_jEEvDpT3_.num_agpr, 0
	.set _Z6kernelI14subtract_rightLj256ELj8ELb1EJPaS1_jEEvDpT3_.numbered_sgpr, 9
	.set _Z6kernelI14subtract_rightLj256ELj8ELb1EJPaS1_jEEvDpT3_.num_named_barrier, 0
	.set _Z6kernelI14subtract_rightLj256ELj8ELb1EJPaS1_jEEvDpT3_.private_seg_size, 0
	.set _Z6kernelI14subtract_rightLj256ELj8ELb1EJPaS1_jEEvDpT3_.uses_vcc, 1
	.set _Z6kernelI14subtract_rightLj256ELj8ELb1EJPaS1_jEEvDpT3_.uses_flat_scratch, 0
	.set _Z6kernelI14subtract_rightLj256ELj8ELb1EJPaS1_jEEvDpT3_.has_dyn_sized_stack, 0
	.set _Z6kernelI14subtract_rightLj256ELj8ELb1EJPaS1_jEEvDpT3_.has_recursion, 0
	.set _Z6kernelI14subtract_rightLj256ELj8ELb1EJPaS1_jEEvDpT3_.has_indirect_call, 0
	.section	.AMDGPU.csdata,"",@progbits
; Kernel info:
; codeLenInByte = 804
; TotalNumSgprs: 11
; NumVgprs: 14
; ScratchSize: 0
; MemoryBound: 0
; FloatMode: 240
; IeeeMode: 1
; LDSByteSize: 512 bytes/workgroup (compile time only)
; SGPRBlocks: 0
; VGPRBlocks: 0
; NumSGPRsForWavesPerEU: 11
; NumVGPRsForWavesPerEU: 14
; NamedBarCnt: 0
; Occupancy: 16
; WaveLimiterHint : 1
; COMPUTE_PGM_RSRC2:SCRATCH_EN: 0
; COMPUTE_PGM_RSRC2:USER_SGPR: 2
; COMPUTE_PGM_RSRC2:TRAP_HANDLER: 0
; COMPUTE_PGM_RSRC2:TGID_X_EN: 1
; COMPUTE_PGM_RSRC2:TGID_Y_EN: 0
; COMPUTE_PGM_RSRC2:TGID_Z_EN: 0
; COMPUTE_PGM_RSRC2:TIDIG_COMP_CNT: 0
	.section	.text._Z6kernelI14subtract_rightLj256ELj16ELb1EJPaS1_jEEvDpT3_,"axG",@progbits,_Z6kernelI14subtract_rightLj256ELj16ELb1EJPaS1_jEEvDpT3_,comdat
	.protected	_Z6kernelI14subtract_rightLj256ELj16ELb1EJPaS1_jEEvDpT3_ ; -- Begin function _Z6kernelI14subtract_rightLj256ELj16ELb1EJPaS1_jEEvDpT3_
	.globl	_Z6kernelI14subtract_rightLj256ELj16ELb1EJPaS1_jEEvDpT3_
	.p2align	8
	.type	_Z6kernelI14subtract_rightLj256ELj16ELb1EJPaS1_jEEvDpT3_,@function
_Z6kernelI14subtract_rightLj256ELj16ELb1EJPaS1_jEEvDpT3_: ; @_Z6kernelI14subtract_rightLj256ELj16ELb1EJPaS1_jEEvDpT3_
; %bb.0:
	s_load_b128 s[4:7], s[0:1], 0x0
	s_bfe_u32 s2, ttmp6, 0x4000c
	s_and_b32 s3, ttmp6, 15
	s_add_co_i32 s2, s2, 1
	s_getreg_b32 s8, hwreg(HW_REG_IB_STS2, 6, 4)
	s_mul_i32 s2, ttmp9, s2
	s_wait_xcnt 0x0
	s_load_b32 s0, s[0:1], 0x10
	s_add_co_i32 s3, s3, s2
	s_cmp_eq_u32 s8, 0
	s_cselect_b32 s2, ttmp9, s3
	s_mov_b32 s3, 0
	s_lshl_b32 s2, s2, 12
	s_wait_kmcnt 0x0
	s_add_nc_u64 s[4:5], s[4:5], s[2:3]
	s_clause 0xf
	global_load_u8 v1, v0, s[4:5] offset:256
	global_load_u8 v2, v0, s[4:5] offset:768
	;; [unrolled: 1-line block ×7, first 2 shown]
	global_load_u8 v8, v0, s[4:5]
	global_load_u8 v9, v0, s[4:5] offset:2304
	global_load_u8 v10, v0, s[4:5] offset:3584
	;; [unrolled: 1-line block ×8, first 2 shown]
	s_cmp_eq_u32 s0, 0
	s_wait_loadcnt 0xb
	v_perm_b32 v5, v5, v4, 0xc0c0004
	s_wait_loadcnt 0xa
	v_perm_b32 v3, v6, v3, 0xc0c0004
	;; [unrolled: 2-line block ×4, first 2 shown]
	v_mov_b32_e32 v1, 0
	v_lshl_or_b32 v5, v5, 16, v3
	s_wait_loadcnt 0x3
	v_perm_b32 v6, v13, v9, 0xc0c0004
	s_wait_loadcnt 0x2
	v_perm_b32 v7, v12, v14, 0xc0c0004
	;; [unrolled: 2-line block ×4, first 2 shown]
	v_lshl_or_b32 v4, v2, 16, v8
	v_lshl_or_b32 v2, v7, 16, v6
	s_delay_alu instid0(VALU_DEP_3)
	v_lshl_or_b32 v3, v10, 16, v9
	s_cbranch_scc1 .LBB106_5
; %bb.1:
	v_cmp_ne_u32_e32 vcc_lo, 0xff, v0
	s_branch .LBB106_3
.LBB106_2:                              ;   in Loop: Header=BB106_3 Depth=1
	s_or_b32 exec_lo, exec_lo, s1
	v_dual_lshrrev_b32 v13, 8, v4 :: v_dual_lshrrev_b32 v14, 24, v3
	v_lshrrev_b64 v[8:9], 24, v[4:5]
	v_dual_lshrrev_b32 v9, 16, v2 :: v_dual_lshrrev_b32 v15, 16, v4
	s_delay_alu instid0(VALU_DEP_3) | instskip(SKIP_3) | instid1(VALU_DEP_4)
	v_lshlrev_b16 v16, 1, v13
	v_lshlrev_b16 v4, 1, v4
	v_dual_lshrrev_b32 v11, 8, v5 :: v_dual_lshrrev_b32 v12, 16, v5
	v_lshlrev_b16 v19, 1, v8
	v_sub_nc_u16 v16, v16, v15
	v_lshlrev_b16 v15, 1, v15
	v_sub_nc_u16 v4, v4, v13
	v_dual_lshrrev_b32 v17, 8, v2 :: v_dual_lshrrev_b32 v18, 24, v5
	v_sub_nc_u16 v13, v19, v5
	v_lshlrev_b16 v16, 8, v16
	v_lshlrev_b16 v5, 1, v5
	;; [unrolled: 1-line block ×3, first 2 shown]
	v_sub_nc_u16 v8, v15, v8
	v_lshlrev_b16 v13, 8, v13
	v_bitop3_b16 v15, v4, v16, 0xff bitop3:0xec
	v_sub_nc_u16 v11, v5, v11
	v_lshrrev_b64 v[4:5], 24, v[2:3]
	v_sub_nc_u16 v19, v20, v12
	v_bitop3_b16 v5, v8, v13, 0xff bitop3:0xec
	v_and_b32_e32 v8, 0xffff, v15
	v_lshlrev_b16 v13, 1, v18
	v_lshlrev_b16 v15, 1, v17
	v_dual_lshrrev_b32 v7, 8, v3 :: v_dual_lshrrev_b32 v10, 16, v3
	v_lshlrev_b16 v16, 8, v19
	s_delay_alu instid0(VALU_DEP_4)
	v_sub_nc_u16 v13, v13, v2
	v_lshlrev_b16 v2, 1, v2
	v_sub_nc_u16 v15, v15, v9
	v_lshlrev_b16 v9, 1, v9
	v_bitop3_b16 v11, v11, v16, 0xff bitop3:0xec
	v_lshlrev_b16 v16, 1, v4
	v_sub_nc_u16 v2, v2, v17
	v_lshlrev_b16 v17, 1, v7
	v_sub_nc_u16 v4, v9, v4
	v_lshlrev_b16 v9, 1, v14
	v_lshlrev_b16 v12, 1, v12
	v_sub_nc_u16 v16, v16, v3
	v_lshlrev_b16 v3, 1, v3
	v_sub_nc_u16 v17, v17, v10
	v_lshlrev_b16 v10, 1, v10
	s_wait_dscnt 0x0
	v_sub_nc_u16 v6, v9, v6
	v_sub_nc_u16 v12, v12, v18
	v_lshlrev_b16 v13, 8, v13
	v_lshlrev_b16 v15, 8, v15
	;; [unrolled: 1-line block ×3, first 2 shown]
	v_sub_nc_u16 v3, v3, v7
	v_lshlrev_b16 v7, 8, v17
	v_sub_nc_u16 v10, v10, v14
	v_lshlrev_b16 v6, 8, v6
	v_bitop3_b16 v12, v12, v13, 0xff bitop3:0xec
	v_bitop3_b16 v2, v2, v15, 0xff bitop3:0xec
	;; [unrolled: 1-line block ×5, first 2 shown]
	v_dual_lshlrev_b32 v5, 16, v5 :: v_dual_lshlrev_b32 v7, 16, v12
	v_and_b32_e32 v11, 0xffff, v11
	v_and_b32_e32 v2, 0xffff, v2
	s_delay_alu instid0(VALU_DEP_4) | instskip(SKIP_3) | instid1(VALU_DEP_4)
	v_dual_lshlrev_b32 v9, 16, v4 :: v_dual_lshlrev_b32 v6, 16, v6
	v_and_b32_e32 v3, 0xffff, v3
	v_or_b32_e32 v4, v8, v5
	v_or_b32_e32 v5, v11, v7
	;; [unrolled: 1-line block ×3, first 2 shown]
	s_add_co_i32 s0, s0, -1
	v_or_b32_e32 v3, v3, v6
	s_cmp_lg_u32 s0, 0
	s_barrier_signal -1
	s_barrier_wait -1
	s_cbranch_scc0 .LBB106_5
.LBB106_3:                              ; =>This Inner Loop Header: Depth=1
	v_mov_b32_e32 v6, 0x7b
	ds_store_b8 v0, v4 offset:256
	s_wait_dscnt 0x0
	s_barrier_signal -1
	s_barrier_wait -1
	s_and_saveexec_b32 s1, vcc_lo
	s_cbranch_execz .LBB106_2
; %bb.4:                                ;   in Loop: Header=BB106_3 Depth=1
	ds_load_u8 v6, v0 offset:257
	s_branch .LBB106_2
.LBB106_5:
	s_add_nc_u64 s[0:1], s[6:7], s[2:3]
	v_dual_lshrrev_b32 v6, 8, v4 :: v_dual_lshrrev_b32 v7, 24, v4
	v_add_nc_u64_e32 v[0:1], s[0:1], v[0:1]
	v_dual_lshrrev_b32 v8, 8, v5 :: v_dual_lshrrev_b32 v9, 24, v5
	s_clause 0x7
	global_store_b8 v[0:1], v4, off
	global_store_b8 v[0:1], v6, off offset:256
	global_store_d16_hi_b8 v[0:1], v4, off offset:512
	global_store_b8 v[0:1], v7, off offset:768
	global_store_b8 v[0:1], v5, off offset:1024
	;; [unrolled: 1-line block ×3, first 2 shown]
	global_store_d16_hi_b8 v[0:1], v5, off offset:1536
	global_store_b8 v[0:1], v9, off offset:1792
	s_wait_xcnt 0x1
	v_dual_lshrrev_b32 v4, 8, v2 :: v_dual_lshrrev_b32 v5, 24, v2
	v_dual_lshrrev_b32 v6, 8, v3 :: v_dual_lshrrev_b32 v7, 24, v3
	s_clause 0x7
	global_store_b8 v[0:1], v2, off offset:2048
	global_store_b8 v[0:1], v4, off offset:2304
	global_store_d16_hi_b8 v[0:1], v2, off offset:2560
	global_store_b8 v[0:1], v5, off offset:2816
	global_store_b8 v[0:1], v3, off offset:3072
	;; [unrolled: 1-line block ×3, first 2 shown]
	global_store_d16_hi_b8 v[0:1], v3, off offset:3584
	global_store_b8 v[0:1], v7, off offset:3840
	s_endpgm
	.section	.rodata,"a",@progbits
	.p2align	6, 0x0
	.amdhsa_kernel _Z6kernelI14subtract_rightLj256ELj16ELb1EJPaS1_jEEvDpT3_
		.amdhsa_group_segment_fixed_size 512
		.amdhsa_private_segment_fixed_size 0
		.amdhsa_kernarg_size 20
		.amdhsa_user_sgpr_count 2
		.amdhsa_user_sgpr_dispatch_ptr 0
		.amdhsa_user_sgpr_queue_ptr 0
		.amdhsa_user_sgpr_kernarg_segment_ptr 1
		.amdhsa_user_sgpr_dispatch_id 0
		.amdhsa_user_sgpr_kernarg_preload_length 0
		.amdhsa_user_sgpr_kernarg_preload_offset 0
		.amdhsa_user_sgpr_private_segment_size 0
		.amdhsa_wavefront_size32 1
		.amdhsa_uses_dynamic_stack 0
		.amdhsa_enable_private_segment 0
		.amdhsa_system_sgpr_workgroup_id_x 1
		.amdhsa_system_sgpr_workgroup_id_y 0
		.amdhsa_system_sgpr_workgroup_id_z 0
		.amdhsa_system_sgpr_workgroup_info 0
		.amdhsa_system_vgpr_workitem_id 0
		.amdhsa_next_free_vgpr 21
		.amdhsa_next_free_sgpr 9
		.amdhsa_named_barrier_count 0
		.amdhsa_reserve_vcc 1
		.amdhsa_float_round_mode_32 0
		.amdhsa_float_round_mode_16_64 0
		.amdhsa_float_denorm_mode_32 3
		.amdhsa_float_denorm_mode_16_64 3
		.amdhsa_fp16_overflow 0
		.amdhsa_memory_ordered 1
		.amdhsa_forward_progress 1
		.amdhsa_inst_pref_size 11
		.amdhsa_round_robin_scheduling 0
		.amdhsa_exception_fp_ieee_invalid_op 0
		.amdhsa_exception_fp_denorm_src 0
		.amdhsa_exception_fp_ieee_div_zero 0
		.amdhsa_exception_fp_ieee_overflow 0
		.amdhsa_exception_fp_ieee_underflow 0
		.amdhsa_exception_fp_ieee_inexact 0
		.amdhsa_exception_int_div_zero 0
	.end_amdhsa_kernel
	.section	.text._Z6kernelI14subtract_rightLj256ELj16ELb1EJPaS1_jEEvDpT3_,"axG",@progbits,_Z6kernelI14subtract_rightLj256ELj16ELb1EJPaS1_jEEvDpT3_,comdat
.Lfunc_end106:
	.size	_Z6kernelI14subtract_rightLj256ELj16ELb1EJPaS1_jEEvDpT3_, .Lfunc_end106-_Z6kernelI14subtract_rightLj256ELj16ELb1EJPaS1_jEEvDpT3_
                                        ; -- End function
	.set _Z6kernelI14subtract_rightLj256ELj16ELb1EJPaS1_jEEvDpT3_.num_vgpr, 21
	.set _Z6kernelI14subtract_rightLj256ELj16ELb1EJPaS1_jEEvDpT3_.num_agpr, 0
	.set _Z6kernelI14subtract_rightLj256ELj16ELb1EJPaS1_jEEvDpT3_.numbered_sgpr, 9
	.set _Z6kernelI14subtract_rightLj256ELj16ELb1EJPaS1_jEEvDpT3_.num_named_barrier, 0
	.set _Z6kernelI14subtract_rightLj256ELj16ELb1EJPaS1_jEEvDpT3_.private_seg_size, 0
	.set _Z6kernelI14subtract_rightLj256ELj16ELb1EJPaS1_jEEvDpT3_.uses_vcc, 1
	.set _Z6kernelI14subtract_rightLj256ELj16ELb1EJPaS1_jEEvDpT3_.uses_flat_scratch, 0
	.set _Z6kernelI14subtract_rightLj256ELj16ELb1EJPaS1_jEEvDpT3_.has_dyn_sized_stack, 0
	.set _Z6kernelI14subtract_rightLj256ELj16ELb1EJPaS1_jEEvDpT3_.has_recursion, 0
	.set _Z6kernelI14subtract_rightLj256ELj16ELb1EJPaS1_jEEvDpT3_.has_indirect_call, 0
	.section	.AMDGPU.csdata,"",@progbits
; Kernel info:
; codeLenInByte = 1372
; TotalNumSgprs: 11
; NumVgprs: 21
; ScratchSize: 0
; MemoryBound: 0
; FloatMode: 240
; IeeeMode: 1
; LDSByteSize: 512 bytes/workgroup (compile time only)
; SGPRBlocks: 0
; VGPRBlocks: 1
; NumSGPRsForWavesPerEU: 11
; NumVGPRsForWavesPerEU: 21
; NamedBarCnt: 0
; Occupancy: 16
; WaveLimiterHint : 1
; COMPUTE_PGM_RSRC2:SCRATCH_EN: 0
; COMPUTE_PGM_RSRC2:USER_SGPR: 2
; COMPUTE_PGM_RSRC2:TRAP_HANDLER: 0
; COMPUTE_PGM_RSRC2:TGID_X_EN: 1
; COMPUTE_PGM_RSRC2:TGID_Y_EN: 0
; COMPUTE_PGM_RSRC2:TGID_Z_EN: 0
; COMPUTE_PGM_RSRC2:TIDIG_COMP_CNT: 0
	.section	.text._Z6kernelI14subtract_rightLj256ELj32ELb1EJPaS1_jEEvDpT3_,"axG",@progbits,_Z6kernelI14subtract_rightLj256ELj32ELb1EJPaS1_jEEvDpT3_,comdat
	.protected	_Z6kernelI14subtract_rightLj256ELj32ELb1EJPaS1_jEEvDpT3_ ; -- Begin function _Z6kernelI14subtract_rightLj256ELj32ELb1EJPaS1_jEEvDpT3_
	.globl	_Z6kernelI14subtract_rightLj256ELj32ELb1EJPaS1_jEEvDpT3_
	.p2align	8
	.type	_Z6kernelI14subtract_rightLj256ELj32ELb1EJPaS1_jEEvDpT3_,@function
_Z6kernelI14subtract_rightLj256ELj32ELb1EJPaS1_jEEvDpT3_: ; @_Z6kernelI14subtract_rightLj256ELj32ELb1EJPaS1_jEEvDpT3_
; %bb.0:
	s_load_b128 s[4:7], s[0:1], 0x0
	s_bfe_u32 s2, ttmp6, 0x4000c
	s_and_b32 s3, ttmp6, 15
	s_add_co_i32 s2, s2, 1
	s_getreg_b32 s8, hwreg(HW_REG_IB_STS2, 6, 4)
	s_mul_i32 s2, ttmp9, s2
	s_wait_xcnt 0x0
	s_load_b32 s0, s[0:1], 0x10
	s_add_co_i32 s3, s3, s2
	s_cmp_eq_u32 s8, 0
	v_mov_b32_e32 v1, 0
	s_cselect_b32 s2, ttmp9, s3
	s_mov_b32 s3, 0
	s_lshl_b32 s2, s2, 13
	s_wait_kmcnt 0x0
	s_add_nc_u64 s[4:5], s[4:5], s[2:3]
	s_clause 0x1f
	global_load_u8 v2, v0, s[4:5] offset:256
	global_load_u8 v3, v0, s[4:5] offset:768
	;; [unrolled: 1-line block ×7, first 2 shown]
	global_load_u8 v9, v0, s[4:5]
	global_load_u8 v10, v0, s[4:5] offset:2304
	global_load_u8 v11, v0, s[4:5] offset:2816
	global_load_u8 v12, v0, s[4:5] offset:3328
	global_load_u8 v13, v0, s[4:5] offset:3840
	global_load_u8 v14, v0, s[4:5] offset:3584
	global_load_u8 v15, v0, s[4:5] offset:3072
	global_load_u8 v16, v0, s[4:5] offset:2560
	global_load_u8 v17, v0, s[4:5] offset:2048
	global_load_u8 v18, v0, s[4:5] offset:4352
	global_load_u8 v19, v0, s[4:5] offset:4864
	global_load_u8 v20, v0, s[4:5] offset:5376
	global_load_u8 v21, v0, s[4:5] offset:5888
	global_load_u8 v22, v0, s[4:5] offset:5632
	global_load_u8 v23, v0, s[4:5] offset:5120
	global_load_u8 v24, v0, s[4:5] offset:4608
	global_load_u8 v25, v0, s[4:5] offset:4096
	global_load_u8 v26, v0, s[4:5] offset:6400
	global_load_u8 v27, v0, s[4:5] offset:7680
	global_load_u8 v28, v0, s[4:5] offset:7168
	global_load_u8 v29, v0, s[4:5] offset:6656
	global_load_u8 v30, v0, s[4:5] offset:6144
	global_load_u8 v31, v0, s[4:5] offset:6912
	global_load_u8 v32, v0, s[4:5] offset:7424
	global_load_u8 v33, v0, s[4:5] offset:7936
	s_cmp_eq_u32 s0, 0
	s_wait_loadcnt 0x1b
	v_perm_b32 v5, v6, v5, 0xc0c0004
	s_wait_loadcnt 0x1a
	v_perm_b32 v4, v7, v4, 0xc0c0004
	;; [unrolled: 2-line block ×4, first 2 shown]
	v_lshl_or_b32 v9, v5, 16, v4
	s_delay_alu instid0(VALU_DEP_2)
	v_lshl_or_b32 v8, v3, 16, v2
	s_wait_loadcnt 0x11
	v_perm_b32 v7, v16, v11, 0xc0c0004
	s_wait_loadcnt 0x10
	v_perm_b32 v6, v17, v10, 0xc0c0004
	v_perm_b32 v10, v15, v12, 0xc0c0004
	;; [unrolled: 1-line block ×3, first 2 shown]
	s_wait_loadcnt 0xb
	v_perm_b32 v15, v22, v21, 0xc0c0004
	s_wait_loadcnt 0xa
	v_perm_b32 v14, v23, v20, 0xc0c0004
	;; [unrolled: 2-line block ×4, first 2 shown]
	v_lshl_or_b32 v6, v7, 16, v6
	v_lshl_or_b32 v7, v11, 16, v10
	;; [unrolled: 1-line block ×3, first 2 shown]
	s_wait_loadcnt 0x3
	v_perm_b32 v16, v30, v26, 0xc0c0004
	s_wait_loadcnt 0x2
	v_perm_b32 v17, v29, v31, 0xc0c0004
	;; [unrolled: 2-line block ×4, first 2 shown]
	v_lshl_or_b32 v4, v13, 16, v12
	v_lshl_or_b32 v2, v17, 16, v16
	s_delay_alu instid0(VALU_DEP_3)
	v_lshl_or_b32 v3, v19, 16, v18
	s_cbranch_scc1 .LBB107_5
; %bb.1:
	v_cmp_ne_u32_e32 vcc_lo, 0xff, v0
	s_branch .LBB107_3
.LBB107_2:                              ;   in Loop: Header=BB107_3 Depth=1
	s_or_b32 exec_lo, exec_lo, s1
	v_dual_lshrrev_b32 v23, 24, v3 :: v_dual_lshrrev_b32 v14, 8, v8
	v_lshrrev_b64 v[12:13], 24, v[8:9]
	v_dual_lshrrev_b32 v26, 24, v5 :: v_dual_lshrrev_b32 v15, 16, v8
	v_lshlrev_b16 v8, 1, v8
	s_delay_alu instid0(VALU_DEP_4) | instskip(SKIP_2) | instid1(VALU_DEP_4)
	v_lshlrev_b16 v27, 1, v14
	v_dual_lshrrev_b32 v16, 8, v9 :: v_dual_lshrrev_b32 v17, 16, v9
	v_lshlrev_b16 v31, 1, v12
	v_sub_nc_u16 v8, v8, v14
	s_delay_alu instid0(VALU_DEP_4) | instskip(SKIP_3) | instid1(VALU_DEP_4)
	v_sub_nc_u16 v13, v27, v15
	v_lshlrev_b16 v33, 1, v15
	v_dual_lshrrev_b32 v32, 8, v6 :: v_dual_lshrrev_b32 v34, 24, v9
	v_sub_nc_u16 v31, v31, v9
	v_lshlrev_b16 v13, 8, v13
	v_lshrrev_b64 v[14:15], 24, v[2:3]
	v_sub_nc_u16 v12, v33, v12
	v_lshlrev_b16 v9, 1, v9
	v_lshlrev_b16 v15, 8, v31
	v_bitop3_b16 v8, v8, v13, 0xff bitop3:0xec
	v_lshlrev_b16 v13, 1, v16
	v_lshlrev_b16 v31, 1, v34
	v_sub_nc_u16 v9, v9, v16
	v_bitop3_b16 v12, v12, v15, 0xff bitop3:0xec
	v_lshlrev_b16 v15, 1, v17
	v_sub_nc_u16 v13, v13, v17
	v_sub_nc_u16 v17, v31, v6
	v_dual_lshrrev_b32 v27, 24, v7 :: v_dual_lshrrev_b32 v30, 16, v6
	v_lshlrev_b32_e32 v31, 16, v12
	s_delay_alu instid0(VALU_DEP_4)
	v_lshlrev_b16 v16, 8, v13
	v_lshrrev_b64 v[12:13], 24, v[6:7]
	v_sub_nc_u16 v15, v15, v34
	v_lshlrev_b16 v33, 8, v17
	v_dual_lshrrev_b32 v19, 8, v7 :: v_dual_lshrrev_b32 v20, 16, v7
	v_bitop3_b16 v9, v9, v16, 0xff bitop3:0xec
	v_lshrrev_b64 v[16:17], 24, v[4:5]
	s_delay_alu instid0(VALU_DEP_4)
	v_bitop3_b16 v13, v15, v33, 0xff bitop3:0xec
	v_lshlrev_b16 v15, 1, v32
	v_lshlrev_b16 v17, 1, v12
	v_and_b32_e32 v8, 0xffff, v8
	v_lshlrev_b16 v6, 1, v6
	v_lshlrev_b32_e32 v13, 16, v13
	v_sub_nc_u16 v15, v15, v30
	v_lshlrev_b16 v30, 1, v30
	v_sub_nc_u16 v17, v17, v7
	v_sub_nc_u16 v6, v6, v32
	v_lshlrev_b16 v7, 1, v7
	v_lshlrev_b16 v15, 8, v15
	v_sub_nc_u16 v12, v30, v12
	v_lshlrev_b16 v17, 8, v17
	v_and_b32_e32 v9, 0xffff, v9
	v_sub_nc_u16 v7, v7, v19
	v_bitop3_b16 v6, v6, v15, 0xff bitop3:0xec
	v_lshlrev_b16 v15, 1, v27
	v_bitop3_b16 v12, v12, v17, 0xff bitop3:0xec
	v_or_b32_e32 v8, v8, v31
	v_lshlrev_b16 v31, 1, v19
	v_lshlrev_b16 v19, 1, v20
	v_sub_nc_u16 v15, v15, v4
	v_dual_lshrrev_b32 v28, 16, v4 :: v_dual_lshrrev_b32 v29, 8, v4
	s_delay_alu instid0(VALU_DEP_4) | instskip(SKIP_1) | instid1(VALU_DEP_4)
	v_sub_nc_u16 v30, v31, v20
	v_or_b32_e32 v9, v9, v13
	v_lshlrev_b16 v15, 8, v15
	v_and_b32_e32 v6, 0xffff, v6
	v_lshlrev_b32_e32 v12, 16, v12
	v_lshlrev_b16 v17, 8, v30
	v_dual_lshrrev_b32 v21, 8, v5 :: v_dual_lshrrev_b32 v22, 16, v5
	v_lshlrev_b16 v4, 1, v4
	v_dual_lshrrev_b32 v24, 16, v2 :: v_dual_lshrrev_b32 v25, 8, v2
	s_delay_alu instid0(VALU_DEP_4) | instskip(SKIP_4) | instid1(VALU_DEP_4)
	v_bitop3_b16 v7, v7, v17, 0xff bitop3:0xec
	v_sub_nc_u16 v17, v19, v27
	v_lshlrev_b16 v19, 1, v21
	v_sub_nc_u16 v4, v4, v29
	v_dual_lshrrev_b32 v11, 8, v3 :: v_dual_lshrrev_b32 v18, 16, v3
	v_bitop3_b16 v13, v17, v15, 0xff bitop3:0xec
	v_lshlrev_b16 v15, 1, v16
	v_lshlrev_b16 v17, 1, v28
	v_sub_nc_u16 v19, v19, v22
	v_lshlrev_b16 v20, 1, v14
	v_and_b32_e32 v7, 0xffff, v7
	v_sub_nc_u16 v15, v15, v5
	v_sub_nc_u16 v16, v17, v16
	v_lshlrev_b16 v5, 1, v5
	v_lshlrev_b16 v17, 1, v25
	v_sub_nc_u16 v20, v20, v3
	v_lshlrev_b16 v15, 8, v15
	v_lshlrev_b16 v3, 1, v3
	v_sub_nc_u16 v5, v5, v21
	v_lshlrev_b16 v21, 1, v11
	v_sub_nc_u16 v17, v17, v24
	v_bitop3_b16 v15, v16, v15, 0xff bitop3:0xec
	v_or_b32_e32 v6, v6, v12
	v_lshlrev_b16 v12, 1, v29
	v_lshlrev_b16 v16, 1, v26
	v_sub_nc_u16 v21, v21, v18
	v_lshlrev_b16 v18, 1, v18
	v_lshlrev_b16 v17, 8, v17
	v_sub_nc_u16 v12, v12, v28
	v_sub_nc_u16 v16, v16, v2
	v_lshlrev_b16 v2, 1, v2
	v_sub_nc_u16 v3, v3, v11
	v_lshlrev_b16 v11, 8, v21
	v_lshlrev_b16 v12, 8, v12
	;; [unrolled: 1-line block ×3, first 2 shown]
	v_sub_nc_u16 v2, v2, v25
	v_sub_nc_u16 v18, v18, v23
	v_bitop3_b16 v3, v3, v11, 0xff bitop3:0xec
	v_bitop3_b16 v4, v4, v12, 0xff bitop3:0xec
	v_lshlrev_b16 v12, 8, v19
	v_lshlrev_b16 v19, 1, v24
	v_bitop3_b16 v2, v2, v17, 0xff bitop3:0xec
	v_lshlrev_b32_e32 v13, 16, v13
	v_and_b32_e32 v4, 0xffff, v4
	v_bitop3_b16 v5, v5, v12, 0xff bitop3:0xec
	v_sub_nc_u16 v14, v19, v14
	v_lshlrev_b16 v19, 1, v23
	v_lshlrev_b16 v12, 1, v22
	v_lshlrev_b32_e32 v15, 16, v15
	v_and_b32_e32 v5, 0xffff, v5
	v_and_b32_e32 v2, 0xffff, v2
	s_wait_dscnt 0x0
	v_sub_nc_u16 v10, v19, v10
	v_sub_nc_u16 v12, v12, v26
	v_lshlrev_b16 v19, 8, v20
	v_and_b32_e32 v3, 0xffff, v3
	v_or_b32_e32 v7, v7, v13
	v_lshlrev_b16 v10, 8, v10
	v_bitop3_b16 v12, v12, v16, 0xff bitop3:0xec
	v_bitop3_b16 v14, v14, v19, 0xff bitop3:0xec
	v_or_b32_e32 v4, v4, v15
	s_add_co_i32 s0, s0, -1
	v_bitop3_b16 v10, v18, v10, 0xff bitop3:0xec
	s_delay_alu instid0(VALU_DEP_3) | instskip(SKIP_1) | instid1(VALU_DEP_1)
	v_dual_lshlrev_b32 v11, 16, v12 :: v_dual_lshlrev_b32 v12, 16, v14
	s_cmp_lg_u32 s0, 0
	v_dual_lshlrev_b32 v10, 16, v10 :: v_dual_bitop2_b32 v5, v5, v11 bitop3:0x54
	s_delay_alu instid0(VALU_DEP_2) | instskip(SKIP_2) | instid1(VALU_DEP_2)
	v_or_b32_e32 v2, v2, v12
	s_barrier_signal -1
	s_barrier_wait -1
	v_or_b32_e32 v3, v3, v10
	s_cbranch_scc0 .LBB107_5
.LBB107_3:                              ; =>This Inner Loop Header: Depth=1
	v_mov_b32_e32 v10, 0x7b
	ds_store_b8 v0, v8 offset:256
	s_wait_dscnt 0x0
	s_barrier_signal -1
	s_barrier_wait -1
	s_and_saveexec_b32 s1, vcc_lo
	s_cbranch_execz .LBB107_2
; %bb.4:                                ;   in Loop: Header=BB107_3 Depth=1
	ds_load_u8 v10, v0 offset:257
	s_branch .LBB107_2
.LBB107_5:
	s_add_nc_u64 s[0:1], s[6:7], s[2:3]
	v_dual_lshrrev_b32 v10, 8, v8 :: v_dual_lshrrev_b32 v11, 24, v8
	v_add_nc_u64_e32 v[0:1], s[0:1], v[0:1]
	v_dual_lshrrev_b32 v12, 8, v9 :: v_dual_lshrrev_b32 v13, 24, v9
	s_clause 0x7
	global_store_b8 v[0:1], v8, off
	global_store_b8 v[0:1], v10, off offset:256
	global_store_d16_hi_b8 v[0:1], v8, off offset:512
	global_store_b8 v[0:1], v11, off offset:768
	global_store_b8 v[0:1], v9, off offset:1024
	global_store_b8 v[0:1], v12, off offset:1280
	global_store_d16_hi_b8 v[0:1], v9, off offset:1536
	global_store_b8 v[0:1], v13, off offset:1792
	s_wait_xcnt 0x1
	v_dual_lshrrev_b32 v8, 8, v6 :: v_dual_lshrrev_b32 v9, 24, v6
	v_dual_lshrrev_b32 v10, 8, v7 :: v_dual_lshrrev_b32 v11, 24, v7
	s_clause 0x7
	global_store_b8 v[0:1], v6, off offset:2048
	global_store_b8 v[0:1], v8, off offset:2304
	global_store_d16_hi_b8 v[0:1], v6, off offset:2560
	global_store_b8 v[0:1], v9, off offset:2816
	global_store_b8 v[0:1], v7, off offset:3072
	global_store_b8 v[0:1], v10, off offset:3328
	global_store_d16_hi_b8 v[0:1], v7, off offset:3584
	global_store_b8 v[0:1], v11, off offset:3840
	s_wait_xcnt 0x1
	v_dual_lshrrev_b32 v6, 8, v4 :: v_dual_lshrrev_b32 v7, 24, v4
	v_dual_lshrrev_b32 v8, 8, v5 :: v_dual_lshrrev_b32 v9, 24, v5
	s_clause 0x7
	global_store_b8 v[0:1], v4, off offset:4096
	;; [unrolled: 12-line block ×3, first 2 shown]
	global_store_b8 v[0:1], v4, off offset:6400
	global_store_d16_hi_b8 v[0:1], v2, off offset:6656
	global_store_b8 v[0:1], v5, off offset:6912
	global_store_b8 v[0:1], v3, off offset:7168
	;; [unrolled: 1-line block ×3, first 2 shown]
	global_store_d16_hi_b8 v[0:1], v3, off offset:7680
	global_store_b8 v[0:1], v7, off offset:7936
	s_endpgm
	.section	.rodata,"a",@progbits
	.p2align	6, 0x0
	.amdhsa_kernel _Z6kernelI14subtract_rightLj256ELj32ELb1EJPaS1_jEEvDpT3_
		.amdhsa_group_segment_fixed_size 512
		.amdhsa_private_segment_fixed_size 0
		.amdhsa_kernarg_size 20
		.amdhsa_user_sgpr_count 2
		.amdhsa_user_sgpr_dispatch_ptr 0
		.amdhsa_user_sgpr_queue_ptr 0
		.amdhsa_user_sgpr_kernarg_segment_ptr 1
		.amdhsa_user_sgpr_dispatch_id 0
		.amdhsa_user_sgpr_kernarg_preload_length 0
		.amdhsa_user_sgpr_kernarg_preload_offset 0
		.amdhsa_user_sgpr_private_segment_size 0
		.amdhsa_wavefront_size32 1
		.amdhsa_uses_dynamic_stack 0
		.amdhsa_enable_private_segment 0
		.amdhsa_system_sgpr_workgroup_id_x 1
		.amdhsa_system_sgpr_workgroup_id_y 0
		.amdhsa_system_sgpr_workgroup_id_z 0
		.amdhsa_system_sgpr_workgroup_info 0
		.amdhsa_system_vgpr_workitem_id 0
		.amdhsa_next_free_vgpr 35
		.amdhsa_next_free_sgpr 9
		.amdhsa_named_barrier_count 0
		.amdhsa_reserve_vcc 1
		.amdhsa_float_round_mode_32 0
		.amdhsa_float_round_mode_16_64 0
		.amdhsa_float_denorm_mode_32 3
		.amdhsa_float_denorm_mode_16_64 3
		.amdhsa_fp16_overflow 0
		.amdhsa_memory_ordered 1
		.amdhsa_forward_progress 1
		.amdhsa_inst_pref_size 20
		.amdhsa_round_robin_scheduling 0
		.amdhsa_exception_fp_ieee_invalid_op 0
		.amdhsa_exception_fp_denorm_src 0
		.amdhsa_exception_fp_ieee_div_zero 0
		.amdhsa_exception_fp_ieee_overflow 0
		.amdhsa_exception_fp_ieee_underflow 0
		.amdhsa_exception_fp_ieee_inexact 0
		.amdhsa_exception_int_div_zero 0
	.end_amdhsa_kernel
	.section	.text._Z6kernelI14subtract_rightLj256ELj32ELb1EJPaS1_jEEvDpT3_,"axG",@progbits,_Z6kernelI14subtract_rightLj256ELj32ELb1EJPaS1_jEEvDpT3_,comdat
.Lfunc_end107:
	.size	_Z6kernelI14subtract_rightLj256ELj32ELb1EJPaS1_jEEvDpT3_, .Lfunc_end107-_Z6kernelI14subtract_rightLj256ELj32ELb1EJPaS1_jEEvDpT3_
                                        ; -- End function
	.set _Z6kernelI14subtract_rightLj256ELj32ELb1EJPaS1_jEEvDpT3_.num_vgpr, 35
	.set _Z6kernelI14subtract_rightLj256ELj32ELb1EJPaS1_jEEvDpT3_.num_agpr, 0
	.set _Z6kernelI14subtract_rightLj256ELj32ELb1EJPaS1_jEEvDpT3_.numbered_sgpr, 9
	.set _Z6kernelI14subtract_rightLj256ELj32ELb1EJPaS1_jEEvDpT3_.num_named_barrier, 0
	.set _Z6kernelI14subtract_rightLj256ELj32ELb1EJPaS1_jEEvDpT3_.private_seg_size, 0
	.set _Z6kernelI14subtract_rightLj256ELj32ELb1EJPaS1_jEEvDpT3_.uses_vcc, 1
	.set _Z6kernelI14subtract_rightLj256ELj32ELb1EJPaS1_jEEvDpT3_.uses_flat_scratch, 0
	.set _Z6kernelI14subtract_rightLj256ELj32ELb1EJPaS1_jEEvDpT3_.has_dyn_sized_stack, 0
	.set _Z6kernelI14subtract_rightLj256ELj32ELb1EJPaS1_jEEvDpT3_.has_recursion, 0
	.set _Z6kernelI14subtract_rightLj256ELj32ELb1EJPaS1_jEEvDpT3_.has_indirect_call, 0
	.section	.AMDGPU.csdata,"",@progbits
; Kernel info:
; codeLenInByte = 2552
; TotalNumSgprs: 11
; NumVgprs: 35
; ScratchSize: 0
; MemoryBound: 0
; FloatMode: 240
; IeeeMode: 1
; LDSByteSize: 512 bytes/workgroup (compile time only)
; SGPRBlocks: 0
; VGPRBlocks: 2
; NumSGPRsForWavesPerEU: 11
; NumVGPRsForWavesPerEU: 35
; NamedBarCnt: 0
; Occupancy: 16
; WaveLimiterHint : 1
; COMPUTE_PGM_RSRC2:SCRATCH_EN: 0
; COMPUTE_PGM_RSRC2:USER_SGPR: 2
; COMPUTE_PGM_RSRC2:TRAP_HANDLER: 0
; COMPUTE_PGM_RSRC2:TGID_X_EN: 1
; COMPUTE_PGM_RSRC2:TGID_Y_EN: 0
; COMPUTE_PGM_RSRC2:TGID_Z_EN: 0
; COMPUTE_PGM_RSRC2:TIDIG_COMP_CNT: 0
	.section	.text._Z6kernelI14subtract_rightLj256ELj1ELb1EJPxS1_jEEvDpT3_,"axG",@progbits,_Z6kernelI14subtract_rightLj256ELj1ELb1EJPxS1_jEEvDpT3_,comdat
	.protected	_Z6kernelI14subtract_rightLj256ELj1ELb1EJPxS1_jEEvDpT3_ ; -- Begin function _Z6kernelI14subtract_rightLj256ELj1ELb1EJPxS1_jEEvDpT3_
	.globl	_Z6kernelI14subtract_rightLj256ELj1ELb1EJPxS1_jEEvDpT3_
	.p2align	8
	.type	_Z6kernelI14subtract_rightLj256ELj1ELb1EJPxS1_jEEvDpT3_,@function
_Z6kernelI14subtract_rightLj256ELj1ELb1EJPxS1_jEEvDpT3_: ; @_Z6kernelI14subtract_rightLj256ELj1ELb1EJPxS1_jEEvDpT3_
; %bb.0:
	s_load_b128 s[4:7], s[0:1], 0x0
	s_bfe_u32 s2, ttmp6, 0x4000c
	s_and_b32 s3, ttmp6, 15
	s_add_co_i32 s2, s2, 1
	s_getreg_b32 s8, hwreg(HW_REG_IB_STS2, 6, 4)
	s_mul_i32 s2, ttmp9, s2
	s_wait_xcnt 0x0
	s_load_b32 s0, s[0:1], 0x10
	s_add_co_i32 s3, s3, s2
	s_cmp_eq_u32 s8, 0
	s_cselect_b32 s2, ttmp9, s3
	s_mov_b32 s3, 0
	s_lshl_b32 s2, s2, 8
	s_delay_alu instid0(SALU_CYCLE_1)
	s_lshl_b64 s[2:3], s[2:3], 3
	s_wait_kmcnt 0x0
	s_add_nc_u64 s[4:5], s[4:5], s[2:3]
	global_load_b64 v[2:3], v0, s[4:5] scale_offset
	s_cmp_eq_u32 s0, 0
	s_cbranch_scc1 .LBB108_5
; %bb.1:
	v_lshlrev_b32_e32 v1, 3, v0
	v_cmp_ne_u32_e32 vcc_lo, 0xff, v0
	s_branch .LBB108_3
.LBB108_2:                              ;   in Loop: Header=BB108_3 Depth=1
	s_or_b32 exec_lo, exec_lo, s1
	v_lshlrev_b64_e32 v[2:3], 1, v[2:3]
	s_add_co_i32 s0, s0, -1
	s_wait_dscnt 0x0
	s_cmp_lg_u32 s0, 0
	s_barrier_signal -1
	s_barrier_wait -1
	s_delay_alu instid0(VALU_DEP_1)
	v_sub_nc_u64_e32 v[2:3], v[2:3], v[4:5]
	s_cbranch_scc0 .LBB108_5
.LBB108_3:                              ; =>This Inner Loop Header: Depth=1
	v_mov_b64_e32 v[4:5], 0x7b
	s_wait_loadcnt 0x0
	ds_store_b64 v1, v[2:3] offset:2048
	s_wait_dscnt 0x0
	s_barrier_signal -1
	s_barrier_wait -1
	s_and_saveexec_b32 s1, vcc_lo
	s_cbranch_execz .LBB108_2
; %bb.4:                                ;   in Loop: Header=BB108_3 Depth=1
	ds_load_b64 v[4:5], v1 offset:2056
	s_branch .LBB108_2
.LBB108_5:
	s_add_nc_u64 s[0:1], s[6:7], s[2:3]
	s_wait_loadcnt 0x0
	global_store_b64 v0, v[2:3], s[0:1] scale_offset
	s_endpgm
	.section	.rodata,"a",@progbits
	.p2align	6, 0x0
	.amdhsa_kernel _Z6kernelI14subtract_rightLj256ELj1ELb1EJPxS1_jEEvDpT3_
		.amdhsa_group_segment_fixed_size 4096
		.amdhsa_private_segment_fixed_size 0
		.amdhsa_kernarg_size 20
		.amdhsa_user_sgpr_count 2
		.amdhsa_user_sgpr_dispatch_ptr 0
		.amdhsa_user_sgpr_queue_ptr 0
		.amdhsa_user_sgpr_kernarg_segment_ptr 1
		.amdhsa_user_sgpr_dispatch_id 0
		.amdhsa_user_sgpr_kernarg_preload_length 0
		.amdhsa_user_sgpr_kernarg_preload_offset 0
		.amdhsa_user_sgpr_private_segment_size 0
		.amdhsa_wavefront_size32 1
		.amdhsa_uses_dynamic_stack 0
		.amdhsa_enable_private_segment 0
		.amdhsa_system_sgpr_workgroup_id_x 1
		.amdhsa_system_sgpr_workgroup_id_y 0
		.amdhsa_system_sgpr_workgroup_id_z 0
		.amdhsa_system_sgpr_workgroup_info 0
		.amdhsa_system_vgpr_workitem_id 0
		.amdhsa_next_free_vgpr 6
		.amdhsa_next_free_sgpr 9
		.amdhsa_named_barrier_count 0
		.amdhsa_reserve_vcc 1
		.amdhsa_float_round_mode_32 0
		.amdhsa_float_round_mode_16_64 0
		.amdhsa_float_denorm_mode_32 3
		.amdhsa_float_denorm_mode_16_64 3
		.amdhsa_fp16_overflow 0
		.amdhsa_memory_ordered 1
		.amdhsa_forward_progress 1
		.amdhsa_inst_pref_size 2
		.amdhsa_round_robin_scheduling 0
		.amdhsa_exception_fp_ieee_invalid_op 0
		.amdhsa_exception_fp_denorm_src 0
		.amdhsa_exception_fp_ieee_div_zero 0
		.amdhsa_exception_fp_ieee_overflow 0
		.amdhsa_exception_fp_ieee_underflow 0
		.amdhsa_exception_fp_ieee_inexact 0
		.amdhsa_exception_int_div_zero 0
	.end_amdhsa_kernel
	.section	.text._Z6kernelI14subtract_rightLj256ELj1ELb1EJPxS1_jEEvDpT3_,"axG",@progbits,_Z6kernelI14subtract_rightLj256ELj1ELb1EJPxS1_jEEvDpT3_,comdat
.Lfunc_end108:
	.size	_Z6kernelI14subtract_rightLj256ELj1ELb1EJPxS1_jEEvDpT3_, .Lfunc_end108-_Z6kernelI14subtract_rightLj256ELj1ELb1EJPxS1_jEEvDpT3_
                                        ; -- End function
	.set _Z6kernelI14subtract_rightLj256ELj1ELb1EJPxS1_jEEvDpT3_.num_vgpr, 6
	.set _Z6kernelI14subtract_rightLj256ELj1ELb1EJPxS1_jEEvDpT3_.num_agpr, 0
	.set _Z6kernelI14subtract_rightLj256ELj1ELb1EJPxS1_jEEvDpT3_.numbered_sgpr, 9
	.set _Z6kernelI14subtract_rightLj256ELj1ELb1EJPxS1_jEEvDpT3_.num_named_barrier, 0
	.set _Z6kernelI14subtract_rightLj256ELj1ELb1EJPxS1_jEEvDpT3_.private_seg_size, 0
	.set _Z6kernelI14subtract_rightLj256ELj1ELb1EJPxS1_jEEvDpT3_.uses_vcc, 1
	.set _Z6kernelI14subtract_rightLj256ELj1ELb1EJPxS1_jEEvDpT3_.uses_flat_scratch, 0
	.set _Z6kernelI14subtract_rightLj256ELj1ELb1EJPxS1_jEEvDpT3_.has_dyn_sized_stack, 0
	.set _Z6kernelI14subtract_rightLj256ELj1ELb1EJPxS1_jEEvDpT3_.has_recursion, 0
	.set _Z6kernelI14subtract_rightLj256ELj1ELb1EJPxS1_jEEvDpT3_.has_indirect_call, 0
	.section	.AMDGPU.csdata,"",@progbits
; Kernel info:
; codeLenInByte = 232
; TotalNumSgprs: 11
; NumVgprs: 6
; ScratchSize: 0
; MemoryBound: 0
; FloatMode: 240
; IeeeMode: 1
; LDSByteSize: 4096 bytes/workgroup (compile time only)
; SGPRBlocks: 0
; VGPRBlocks: 0
; NumSGPRsForWavesPerEU: 11
; NumVGPRsForWavesPerEU: 6
; NamedBarCnt: 0
; Occupancy: 16
; WaveLimiterHint : 0
; COMPUTE_PGM_RSRC2:SCRATCH_EN: 0
; COMPUTE_PGM_RSRC2:USER_SGPR: 2
; COMPUTE_PGM_RSRC2:TRAP_HANDLER: 0
; COMPUTE_PGM_RSRC2:TGID_X_EN: 1
; COMPUTE_PGM_RSRC2:TGID_Y_EN: 0
; COMPUTE_PGM_RSRC2:TGID_Z_EN: 0
; COMPUTE_PGM_RSRC2:TIDIG_COMP_CNT: 0
	.section	.text._Z6kernelI14subtract_rightLj256ELj3ELb1EJPxS1_jEEvDpT3_,"axG",@progbits,_Z6kernelI14subtract_rightLj256ELj3ELb1EJPxS1_jEEvDpT3_,comdat
	.protected	_Z6kernelI14subtract_rightLj256ELj3ELb1EJPxS1_jEEvDpT3_ ; -- Begin function _Z6kernelI14subtract_rightLj256ELj3ELb1EJPxS1_jEEvDpT3_
	.globl	_Z6kernelI14subtract_rightLj256ELj3ELb1EJPxS1_jEEvDpT3_
	.p2align	8
	.type	_Z6kernelI14subtract_rightLj256ELj3ELb1EJPxS1_jEEvDpT3_,@function
_Z6kernelI14subtract_rightLj256ELj3ELb1EJPxS1_jEEvDpT3_: ; @_Z6kernelI14subtract_rightLj256ELj3ELb1EJPxS1_jEEvDpT3_
; %bb.0:
	s_load_b128 s[4:7], s[0:1], 0x0
	s_bfe_u32 s2, ttmp6, 0x4000c
	s_and_b32 s3, ttmp6, 15
	s_add_co_i32 s2, s2, 1
	s_getreg_b32 s8, hwreg(HW_REG_IB_STS2, 6, 4)
	s_mul_i32 s2, ttmp9, s2
	s_wait_xcnt 0x0
	s_load_b32 s0, s[0:1], 0x10
	s_add_co_i32 s3, s3, s2
	s_cmp_eq_u32 s8, 0
	s_cselect_b32 s2, ttmp9, s3
	s_mov_b32 s3, 0
	s_mulk_i32 s2, 0x300
	s_delay_alu instid0(SALU_CYCLE_1)
	s_lshl_b64 s[2:3], s[2:3], 3
	s_wait_kmcnt 0x0
	s_add_nc_u64 s[4:5], s[4:5], s[2:3]
	s_clause 0x2
	global_load_b64 v[6:7], v0, s[4:5] scale_offset
	global_load_b64 v[4:5], v0, s[4:5] offset:2048 scale_offset
	global_load_b64 v[2:3], v0, s[4:5] offset:4096 scale_offset
	s_cmp_eq_u32 s0, 0
	s_cbranch_scc1 .LBB109_5
; %bb.1:
	v_lshlrev_b32_e32 v1, 3, v0
	v_cmp_ne_u32_e32 vcc_lo, 0xff, v0
	s_branch .LBB109_3
.LBB109_2:                              ;   in Loop: Header=BB109_3 Depth=1
	s_or_b32 exec_lo, exec_lo, s1
	v_lshlrev_b64_e32 v[6:7], 1, v[6:7]
	v_lshlrev_b64_e32 v[10:11], 1, v[4:5]
	;; [unrolled: 1-line block ×3, first 2 shown]
	s_add_co_i32 s0, s0, -1
	s_wait_dscnt 0x0
	s_cmp_lg_u32 s0, 0
	s_barrier_signal -1
	v_sub_nc_u64_e32 v[6:7], v[6:7], v[4:5]
	v_sub_nc_u64_e32 v[4:5], v[10:11], v[2:3]
	;; [unrolled: 1-line block ×3, first 2 shown]
	s_barrier_wait -1
	s_cbranch_scc0 .LBB109_5
.LBB109_3:                              ; =>This Inner Loop Header: Depth=1
	v_mov_b64_e32 v[8:9], 0x7b
	s_wait_loadcnt 0x2
	ds_store_b64 v1, v[6:7] offset:2048
	s_wait_loadcnt_dscnt 0x0
	s_barrier_signal -1
	s_barrier_wait -1
	s_and_saveexec_b32 s1, vcc_lo
	s_cbranch_execz .LBB109_2
; %bb.4:                                ;   in Loop: Header=BB109_3 Depth=1
	ds_load_b64 v[8:9], v1 offset:2056
	s_branch .LBB109_2
.LBB109_5:
	s_add_nc_u64 s[0:1], s[6:7], s[2:3]
	s_wait_loadcnt 0x2
	global_store_b64 v0, v[6:7], s[0:1] scale_offset
	s_wait_loadcnt 0x1
	global_store_b64 v0, v[4:5], s[0:1] offset:2048 scale_offset
	s_wait_loadcnt 0x0
	global_store_b64 v0, v[2:3], s[0:1] offset:4096 scale_offset
	s_endpgm
	.section	.rodata,"a",@progbits
	.p2align	6, 0x0
	.amdhsa_kernel _Z6kernelI14subtract_rightLj256ELj3ELb1EJPxS1_jEEvDpT3_
		.amdhsa_group_segment_fixed_size 4096
		.amdhsa_private_segment_fixed_size 0
		.amdhsa_kernarg_size 20
		.amdhsa_user_sgpr_count 2
		.amdhsa_user_sgpr_dispatch_ptr 0
		.amdhsa_user_sgpr_queue_ptr 0
		.amdhsa_user_sgpr_kernarg_segment_ptr 1
		.amdhsa_user_sgpr_dispatch_id 0
		.amdhsa_user_sgpr_kernarg_preload_length 0
		.amdhsa_user_sgpr_kernarg_preload_offset 0
		.amdhsa_user_sgpr_private_segment_size 0
		.amdhsa_wavefront_size32 1
		.amdhsa_uses_dynamic_stack 0
		.amdhsa_enable_private_segment 0
		.amdhsa_system_sgpr_workgroup_id_x 1
		.amdhsa_system_sgpr_workgroup_id_y 0
		.amdhsa_system_sgpr_workgroup_id_z 0
		.amdhsa_system_sgpr_workgroup_info 0
		.amdhsa_system_vgpr_workitem_id 0
		.amdhsa_next_free_vgpr 14
		.amdhsa_next_free_sgpr 9
		.amdhsa_named_barrier_count 0
		.amdhsa_reserve_vcc 1
		.amdhsa_float_round_mode_32 0
		.amdhsa_float_round_mode_16_64 0
		.amdhsa_float_denorm_mode_32 3
		.amdhsa_float_denorm_mode_16_64 3
		.amdhsa_fp16_overflow 0
		.amdhsa_memory_ordered 1
		.amdhsa_forward_progress 1
		.amdhsa_inst_pref_size 3
		.amdhsa_round_robin_scheduling 0
		.amdhsa_exception_fp_ieee_invalid_op 0
		.amdhsa_exception_fp_denorm_src 0
		.amdhsa_exception_fp_ieee_div_zero 0
		.amdhsa_exception_fp_ieee_overflow 0
		.amdhsa_exception_fp_ieee_underflow 0
		.amdhsa_exception_fp_ieee_inexact 0
		.amdhsa_exception_int_div_zero 0
	.end_amdhsa_kernel
	.section	.text._Z6kernelI14subtract_rightLj256ELj3ELb1EJPxS1_jEEvDpT3_,"axG",@progbits,_Z6kernelI14subtract_rightLj256ELj3ELb1EJPxS1_jEEvDpT3_,comdat
.Lfunc_end109:
	.size	_Z6kernelI14subtract_rightLj256ELj3ELb1EJPxS1_jEEvDpT3_, .Lfunc_end109-_Z6kernelI14subtract_rightLj256ELj3ELb1EJPxS1_jEEvDpT3_
                                        ; -- End function
	.set _Z6kernelI14subtract_rightLj256ELj3ELb1EJPxS1_jEEvDpT3_.num_vgpr, 14
	.set _Z6kernelI14subtract_rightLj256ELj3ELb1EJPxS1_jEEvDpT3_.num_agpr, 0
	.set _Z6kernelI14subtract_rightLj256ELj3ELb1EJPxS1_jEEvDpT3_.numbered_sgpr, 9
	.set _Z6kernelI14subtract_rightLj256ELj3ELb1EJPxS1_jEEvDpT3_.num_named_barrier, 0
	.set _Z6kernelI14subtract_rightLj256ELj3ELb1EJPxS1_jEEvDpT3_.private_seg_size, 0
	.set _Z6kernelI14subtract_rightLj256ELj3ELb1EJPxS1_jEEvDpT3_.uses_vcc, 1
	.set _Z6kernelI14subtract_rightLj256ELj3ELb1EJPxS1_jEEvDpT3_.uses_flat_scratch, 0
	.set _Z6kernelI14subtract_rightLj256ELj3ELb1EJPxS1_jEEvDpT3_.has_dyn_sized_stack, 0
	.set _Z6kernelI14subtract_rightLj256ELj3ELb1EJPxS1_jEEvDpT3_.has_recursion, 0
	.set _Z6kernelI14subtract_rightLj256ELj3ELb1EJPxS1_jEEvDpT3_.has_indirect_call, 0
	.section	.AMDGPU.csdata,"",@progbits
; Kernel info:
; codeLenInByte = 304
; TotalNumSgprs: 11
; NumVgprs: 14
; ScratchSize: 0
; MemoryBound: 0
; FloatMode: 240
; IeeeMode: 1
; LDSByteSize: 4096 bytes/workgroup (compile time only)
; SGPRBlocks: 0
; VGPRBlocks: 0
; NumSGPRsForWavesPerEU: 11
; NumVGPRsForWavesPerEU: 14
; NamedBarCnt: 0
; Occupancy: 16
; WaveLimiterHint : 1
; COMPUTE_PGM_RSRC2:SCRATCH_EN: 0
; COMPUTE_PGM_RSRC2:USER_SGPR: 2
; COMPUTE_PGM_RSRC2:TRAP_HANDLER: 0
; COMPUTE_PGM_RSRC2:TGID_X_EN: 1
; COMPUTE_PGM_RSRC2:TGID_Y_EN: 0
; COMPUTE_PGM_RSRC2:TGID_Z_EN: 0
; COMPUTE_PGM_RSRC2:TIDIG_COMP_CNT: 0
	.section	.text._Z6kernelI14subtract_rightLj256ELj4ELb1EJPxS1_jEEvDpT3_,"axG",@progbits,_Z6kernelI14subtract_rightLj256ELj4ELb1EJPxS1_jEEvDpT3_,comdat
	.protected	_Z6kernelI14subtract_rightLj256ELj4ELb1EJPxS1_jEEvDpT3_ ; -- Begin function _Z6kernelI14subtract_rightLj256ELj4ELb1EJPxS1_jEEvDpT3_
	.globl	_Z6kernelI14subtract_rightLj256ELj4ELb1EJPxS1_jEEvDpT3_
	.p2align	8
	.type	_Z6kernelI14subtract_rightLj256ELj4ELb1EJPxS1_jEEvDpT3_,@function
_Z6kernelI14subtract_rightLj256ELj4ELb1EJPxS1_jEEvDpT3_: ; @_Z6kernelI14subtract_rightLj256ELj4ELb1EJPxS1_jEEvDpT3_
; %bb.0:
	s_load_b128 s[4:7], s[0:1], 0x0
	s_bfe_u32 s2, ttmp6, 0x4000c
	s_and_b32 s3, ttmp6, 15
	s_add_co_i32 s2, s2, 1
	s_getreg_b32 s8, hwreg(HW_REG_IB_STS2, 6, 4)
	s_mul_i32 s2, ttmp9, s2
	s_wait_xcnt 0x0
	s_load_b32 s0, s[0:1], 0x10
	s_add_co_i32 s3, s3, s2
	s_cmp_eq_u32 s8, 0
	s_cselect_b32 s2, ttmp9, s3
	s_mov_b32 s3, 0
	s_lshl_b32 s2, s2, 10
	s_delay_alu instid0(SALU_CYCLE_1)
	s_lshl_b64 s[2:3], s[2:3], 3
	s_wait_kmcnt 0x0
	s_add_nc_u64 s[4:5], s[4:5], s[2:3]
	s_clause 0x3
	global_load_b64 v[8:9], v0, s[4:5] scale_offset
	global_load_b64 v[6:7], v0, s[4:5] offset:2048 scale_offset
	global_load_b64 v[4:5], v0, s[4:5] offset:4096 scale_offset
	;; [unrolled: 1-line block ×3, first 2 shown]
	s_cmp_eq_u32 s0, 0
	s_cbranch_scc1 .LBB110_5
; %bb.1:
	v_lshlrev_b32_e32 v1, 3, v0
	v_cmp_ne_u32_e32 vcc_lo, 0xff, v0
	s_branch .LBB110_3
.LBB110_2:                              ;   in Loop: Header=BB110_3 Depth=1
	s_or_b32 exec_lo, exec_lo, s1
	v_lshlrev_b64_e32 v[8:9], 1, v[8:9]
	v_lshlrev_b64_e32 v[12:13], 1, v[6:7]
	;; [unrolled: 1-line block ×4, first 2 shown]
	s_add_co_i32 s0, s0, -1
	s_wait_dscnt 0x0
	s_cmp_lg_u32 s0, 0
	v_sub_nc_u64_e32 v[8:9], v[8:9], v[6:7]
	v_sub_nc_u64_e32 v[6:7], v[12:13], v[4:5]
	;; [unrolled: 1-line block ×4, first 2 shown]
	s_barrier_signal -1
	s_barrier_wait -1
	s_cbranch_scc0 .LBB110_5
.LBB110_3:                              ; =>This Inner Loop Header: Depth=1
	v_mov_b64_e32 v[10:11], 0x7b
	s_wait_loadcnt 0x3
	ds_store_b64 v1, v[8:9] offset:2048
	s_wait_loadcnt_dscnt 0x0
	s_barrier_signal -1
	s_barrier_wait -1
	s_and_saveexec_b32 s1, vcc_lo
	s_cbranch_execz .LBB110_2
; %bb.4:                                ;   in Loop: Header=BB110_3 Depth=1
	ds_load_b64 v[10:11], v1 offset:2056
	s_branch .LBB110_2
.LBB110_5:
	s_add_nc_u64 s[0:1], s[6:7], s[2:3]
	s_wait_loadcnt 0x3
	global_store_b64 v0, v[8:9], s[0:1] scale_offset
	s_wait_loadcnt 0x2
	global_store_b64 v0, v[6:7], s[0:1] offset:2048 scale_offset
	s_wait_loadcnt 0x1
	global_store_b64 v0, v[4:5], s[0:1] offset:4096 scale_offset
	;; [unrolled: 2-line block ×3, first 2 shown]
	s_endpgm
	.section	.rodata,"a",@progbits
	.p2align	6, 0x0
	.amdhsa_kernel _Z6kernelI14subtract_rightLj256ELj4ELb1EJPxS1_jEEvDpT3_
		.amdhsa_group_segment_fixed_size 4096
		.amdhsa_private_segment_fixed_size 0
		.amdhsa_kernarg_size 20
		.amdhsa_user_sgpr_count 2
		.amdhsa_user_sgpr_dispatch_ptr 0
		.amdhsa_user_sgpr_queue_ptr 0
		.amdhsa_user_sgpr_kernarg_segment_ptr 1
		.amdhsa_user_sgpr_dispatch_id 0
		.amdhsa_user_sgpr_kernarg_preload_length 0
		.amdhsa_user_sgpr_kernarg_preload_offset 0
		.amdhsa_user_sgpr_private_segment_size 0
		.amdhsa_wavefront_size32 1
		.amdhsa_uses_dynamic_stack 0
		.amdhsa_enable_private_segment 0
		.amdhsa_system_sgpr_workgroup_id_x 1
		.amdhsa_system_sgpr_workgroup_id_y 0
		.amdhsa_system_sgpr_workgroup_id_z 0
		.amdhsa_system_sgpr_workgroup_info 0
		.amdhsa_system_vgpr_workitem_id 0
		.amdhsa_next_free_vgpr 18
		.amdhsa_next_free_sgpr 9
		.amdhsa_named_barrier_count 0
		.amdhsa_reserve_vcc 1
		.amdhsa_float_round_mode_32 0
		.amdhsa_float_round_mode_16_64 0
		.amdhsa_float_denorm_mode_32 3
		.amdhsa_float_denorm_mode_16_64 3
		.amdhsa_fp16_overflow 0
		.amdhsa_memory_ordered 1
		.amdhsa_forward_progress 1
		.amdhsa_inst_pref_size 3
		.amdhsa_round_robin_scheduling 0
		.amdhsa_exception_fp_ieee_invalid_op 0
		.amdhsa_exception_fp_denorm_src 0
		.amdhsa_exception_fp_ieee_div_zero 0
		.amdhsa_exception_fp_ieee_overflow 0
		.amdhsa_exception_fp_ieee_underflow 0
		.amdhsa_exception_fp_ieee_inexact 0
		.amdhsa_exception_int_div_zero 0
	.end_amdhsa_kernel
	.section	.text._Z6kernelI14subtract_rightLj256ELj4ELb1EJPxS1_jEEvDpT3_,"axG",@progbits,_Z6kernelI14subtract_rightLj256ELj4ELb1EJPxS1_jEEvDpT3_,comdat
.Lfunc_end110:
	.size	_Z6kernelI14subtract_rightLj256ELj4ELb1EJPxS1_jEEvDpT3_, .Lfunc_end110-_Z6kernelI14subtract_rightLj256ELj4ELb1EJPxS1_jEEvDpT3_
                                        ; -- End function
	.set _Z6kernelI14subtract_rightLj256ELj4ELb1EJPxS1_jEEvDpT3_.num_vgpr, 18
	.set _Z6kernelI14subtract_rightLj256ELj4ELb1EJPxS1_jEEvDpT3_.num_agpr, 0
	.set _Z6kernelI14subtract_rightLj256ELj4ELb1EJPxS1_jEEvDpT3_.numbered_sgpr, 9
	.set _Z6kernelI14subtract_rightLj256ELj4ELb1EJPxS1_jEEvDpT3_.num_named_barrier, 0
	.set _Z6kernelI14subtract_rightLj256ELj4ELb1EJPxS1_jEEvDpT3_.private_seg_size, 0
	.set _Z6kernelI14subtract_rightLj256ELj4ELb1EJPxS1_jEEvDpT3_.uses_vcc, 1
	.set _Z6kernelI14subtract_rightLj256ELj4ELb1EJPxS1_jEEvDpT3_.uses_flat_scratch, 0
	.set _Z6kernelI14subtract_rightLj256ELj4ELb1EJPxS1_jEEvDpT3_.has_dyn_sized_stack, 0
	.set _Z6kernelI14subtract_rightLj256ELj4ELb1EJPxS1_jEEvDpT3_.has_recursion, 0
	.set _Z6kernelI14subtract_rightLj256ELj4ELb1EJPxS1_jEEvDpT3_.has_indirect_call, 0
	.section	.AMDGPU.csdata,"",@progbits
; Kernel info:
; codeLenInByte = 340
; TotalNumSgprs: 11
; NumVgprs: 18
; ScratchSize: 0
; MemoryBound: 0
; FloatMode: 240
; IeeeMode: 1
; LDSByteSize: 4096 bytes/workgroup (compile time only)
; SGPRBlocks: 0
; VGPRBlocks: 1
; NumSGPRsForWavesPerEU: 11
; NumVGPRsForWavesPerEU: 18
; NamedBarCnt: 0
; Occupancy: 16
; WaveLimiterHint : 1
; COMPUTE_PGM_RSRC2:SCRATCH_EN: 0
; COMPUTE_PGM_RSRC2:USER_SGPR: 2
; COMPUTE_PGM_RSRC2:TRAP_HANDLER: 0
; COMPUTE_PGM_RSRC2:TGID_X_EN: 1
; COMPUTE_PGM_RSRC2:TGID_Y_EN: 0
; COMPUTE_PGM_RSRC2:TGID_Z_EN: 0
; COMPUTE_PGM_RSRC2:TIDIG_COMP_CNT: 0
	.section	.text._Z6kernelI14subtract_rightLj256ELj8ELb1EJPxS1_jEEvDpT3_,"axG",@progbits,_Z6kernelI14subtract_rightLj256ELj8ELb1EJPxS1_jEEvDpT3_,comdat
	.protected	_Z6kernelI14subtract_rightLj256ELj8ELb1EJPxS1_jEEvDpT3_ ; -- Begin function _Z6kernelI14subtract_rightLj256ELj8ELb1EJPxS1_jEEvDpT3_
	.globl	_Z6kernelI14subtract_rightLj256ELj8ELb1EJPxS1_jEEvDpT3_
	.p2align	8
	.type	_Z6kernelI14subtract_rightLj256ELj8ELb1EJPxS1_jEEvDpT3_,@function
_Z6kernelI14subtract_rightLj256ELj8ELb1EJPxS1_jEEvDpT3_: ; @_Z6kernelI14subtract_rightLj256ELj8ELb1EJPxS1_jEEvDpT3_
; %bb.0:
	s_load_b128 s[4:7], s[0:1], 0x0
	s_bfe_u32 s2, ttmp6, 0x4000c
	s_and_b32 s3, ttmp6, 15
	s_add_co_i32 s2, s2, 1
	s_getreg_b32 s8, hwreg(HW_REG_IB_STS2, 6, 4)
	s_mul_i32 s2, ttmp9, s2
	s_wait_xcnt 0x0
	s_load_b32 s0, s[0:1], 0x10
	s_add_co_i32 s3, s3, s2
	s_cmp_eq_u32 s8, 0
	s_cselect_b32 s2, ttmp9, s3
	s_mov_b32 s3, 0
	s_lshl_b32 s2, s2, 11
	s_delay_alu instid0(SALU_CYCLE_1)
	s_lshl_b64 s[2:3], s[2:3], 3
	s_wait_kmcnt 0x0
	s_add_nc_u64 s[4:5], s[4:5], s[2:3]
	s_clause 0x7
	global_load_b64 v[16:17], v0, s[4:5] scale_offset
	global_load_b64 v[14:15], v0, s[4:5] offset:2048 scale_offset
	global_load_b64 v[12:13], v0, s[4:5] offset:4096 scale_offset
	;; [unrolled: 1-line block ×7, first 2 shown]
	s_cmp_eq_u32 s0, 0
	s_cbranch_scc1 .LBB111_5
; %bb.1:
	v_lshlrev_b32_e32 v1, 3, v0
	v_cmp_ne_u32_e32 vcc_lo, 0xff, v0
	s_branch .LBB111_3
.LBB111_2:                              ;   in Loop: Header=BB111_3 Depth=1
	s_or_b32 exec_lo, exec_lo, s1
	v_sub_nc_u64_e32 v[20:21], v[16:17], v[14:15]
	v_sub_nc_u64_e32 v[22:23], v[14:15], v[12:13]
	;; [unrolled: 1-line block ×7, first 2 shown]
	s_wait_dscnt 0x0
	v_sub_nc_u64_e32 v[18:19], v[2:3], v[18:19]
	v_add_nc_u64_e32 v[16:17], v[20:21], v[16:17]
	v_add_nc_u64_e32 v[14:15], v[22:23], v[14:15]
	;; [unrolled: 1-line block ×8, first 2 shown]
	s_add_co_i32 s0, s0, -1
	s_delay_alu instid0(SALU_CYCLE_1)
	s_cmp_lg_u32 s0, 0
	s_barrier_signal -1
	s_barrier_wait -1
	s_cbranch_scc0 .LBB111_5
.LBB111_3:                              ; =>This Inner Loop Header: Depth=1
	v_mov_b64_e32 v[18:19], 0x7b
	s_wait_loadcnt 0x7
	ds_store_b64 v1, v[16:17] offset:2048
	s_wait_loadcnt_dscnt 0x0
	s_barrier_signal -1
	s_barrier_wait -1
	s_and_saveexec_b32 s1, vcc_lo
	s_cbranch_execz .LBB111_2
; %bb.4:                                ;   in Loop: Header=BB111_3 Depth=1
	ds_load_b64 v[18:19], v1 offset:2056
	s_branch .LBB111_2
.LBB111_5:
	s_add_nc_u64 s[0:1], s[6:7], s[2:3]
	s_wait_loadcnt 0x7
	global_store_b64 v0, v[16:17], s[0:1] scale_offset
	s_wait_loadcnt 0x6
	global_store_b64 v0, v[14:15], s[0:1] offset:2048 scale_offset
	s_wait_loadcnt 0x5
	global_store_b64 v0, v[12:13], s[0:1] offset:4096 scale_offset
	;; [unrolled: 2-line block ×7, first 2 shown]
	s_endpgm
	.section	.rodata,"a",@progbits
	.p2align	6, 0x0
	.amdhsa_kernel _Z6kernelI14subtract_rightLj256ELj8ELb1EJPxS1_jEEvDpT3_
		.amdhsa_group_segment_fixed_size 4096
		.amdhsa_private_segment_fixed_size 0
		.amdhsa_kernarg_size 20
		.amdhsa_user_sgpr_count 2
		.amdhsa_user_sgpr_dispatch_ptr 0
		.amdhsa_user_sgpr_queue_ptr 0
		.amdhsa_user_sgpr_kernarg_segment_ptr 1
		.amdhsa_user_sgpr_dispatch_id 0
		.amdhsa_user_sgpr_kernarg_preload_length 0
		.amdhsa_user_sgpr_kernarg_preload_offset 0
		.amdhsa_user_sgpr_private_segment_size 0
		.amdhsa_wavefront_size32 1
		.amdhsa_uses_dynamic_stack 0
		.amdhsa_enable_private_segment 0
		.amdhsa_system_sgpr_workgroup_id_x 1
		.amdhsa_system_sgpr_workgroup_id_y 0
		.amdhsa_system_sgpr_workgroup_id_z 0
		.amdhsa_system_sgpr_workgroup_info 0
		.amdhsa_system_vgpr_workitem_id 0
		.amdhsa_next_free_vgpr 34
		.amdhsa_next_free_sgpr 9
		.amdhsa_named_barrier_count 0
		.amdhsa_reserve_vcc 1
		.amdhsa_float_round_mode_32 0
		.amdhsa_float_round_mode_16_64 0
		.amdhsa_float_denorm_mode_32 3
		.amdhsa_float_denorm_mode_16_64 3
		.amdhsa_fp16_overflow 0
		.amdhsa_memory_ordered 1
		.amdhsa_forward_progress 1
		.amdhsa_inst_pref_size 4
		.amdhsa_round_robin_scheduling 0
		.amdhsa_exception_fp_ieee_invalid_op 0
		.amdhsa_exception_fp_denorm_src 0
		.amdhsa_exception_fp_ieee_div_zero 0
		.amdhsa_exception_fp_ieee_overflow 0
		.amdhsa_exception_fp_ieee_underflow 0
		.amdhsa_exception_fp_ieee_inexact 0
		.amdhsa_exception_int_div_zero 0
	.end_amdhsa_kernel
	.section	.text._Z6kernelI14subtract_rightLj256ELj8ELb1EJPxS1_jEEvDpT3_,"axG",@progbits,_Z6kernelI14subtract_rightLj256ELj8ELb1EJPxS1_jEEvDpT3_,comdat
.Lfunc_end111:
	.size	_Z6kernelI14subtract_rightLj256ELj8ELb1EJPxS1_jEEvDpT3_, .Lfunc_end111-_Z6kernelI14subtract_rightLj256ELj8ELb1EJPxS1_jEEvDpT3_
                                        ; -- End function
	.set _Z6kernelI14subtract_rightLj256ELj8ELb1EJPxS1_jEEvDpT3_.num_vgpr, 34
	.set _Z6kernelI14subtract_rightLj256ELj8ELb1EJPxS1_jEEvDpT3_.num_agpr, 0
	.set _Z6kernelI14subtract_rightLj256ELj8ELb1EJPxS1_jEEvDpT3_.numbered_sgpr, 9
	.set _Z6kernelI14subtract_rightLj256ELj8ELb1EJPxS1_jEEvDpT3_.num_named_barrier, 0
	.set _Z6kernelI14subtract_rightLj256ELj8ELb1EJPxS1_jEEvDpT3_.private_seg_size, 0
	.set _Z6kernelI14subtract_rightLj256ELj8ELb1EJPxS1_jEEvDpT3_.uses_vcc, 1
	.set _Z6kernelI14subtract_rightLj256ELj8ELb1EJPxS1_jEEvDpT3_.uses_flat_scratch, 0
	.set _Z6kernelI14subtract_rightLj256ELj8ELb1EJPxS1_jEEvDpT3_.has_dyn_sized_stack, 0
	.set _Z6kernelI14subtract_rightLj256ELj8ELb1EJPxS1_jEEvDpT3_.has_recursion, 0
	.set _Z6kernelI14subtract_rightLj256ELj8ELb1EJPxS1_jEEvDpT3_.has_indirect_call, 0
	.section	.AMDGPU.csdata,"",@progbits
; Kernel info:
; codeLenInByte = 488
; TotalNumSgprs: 11
; NumVgprs: 34
; ScratchSize: 0
; MemoryBound: 0
; FloatMode: 240
; IeeeMode: 1
; LDSByteSize: 4096 bytes/workgroup (compile time only)
; SGPRBlocks: 0
; VGPRBlocks: 2
; NumSGPRsForWavesPerEU: 11
; NumVGPRsForWavesPerEU: 34
; NamedBarCnt: 0
; Occupancy: 16
; WaveLimiterHint : 1
; COMPUTE_PGM_RSRC2:SCRATCH_EN: 0
; COMPUTE_PGM_RSRC2:USER_SGPR: 2
; COMPUTE_PGM_RSRC2:TRAP_HANDLER: 0
; COMPUTE_PGM_RSRC2:TGID_X_EN: 1
; COMPUTE_PGM_RSRC2:TGID_Y_EN: 0
; COMPUTE_PGM_RSRC2:TGID_Z_EN: 0
; COMPUTE_PGM_RSRC2:TIDIG_COMP_CNT: 0
	.section	.text._Z6kernelI14subtract_rightLj256ELj16ELb1EJPxS1_jEEvDpT3_,"axG",@progbits,_Z6kernelI14subtract_rightLj256ELj16ELb1EJPxS1_jEEvDpT3_,comdat
	.protected	_Z6kernelI14subtract_rightLj256ELj16ELb1EJPxS1_jEEvDpT3_ ; -- Begin function _Z6kernelI14subtract_rightLj256ELj16ELb1EJPxS1_jEEvDpT3_
	.globl	_Z6kernelI14subtract_rightLj256ELj16ELb1EJPxS1_jEEvDpT3_
	.p2align	8
	.type	_Z6kernelI14subtract_rightLj256ELj16ELb1EJPxS1_jEEvDpT3_,@function
_Z6kernelI14subtract_rightLj256ELj16ELb1EJPxS1_jEEvDpT3_: ; @_Z6kernelI14subtract_rightLj256ELj16ELb1EJPxS1_jEEvDpT3_
; %bb.0:
	s_load_b128 s[4:7], s[0:1], 0x0
	s_bfe_u32 s2, ttmp6, 0x4000c
	s_and_b32 s3, ttmp6, 15
	s_add_co_i32 s2, s2, 1
	s_getreg_b32 s8, hwreg(HW_REG_IB_STS2, 6, 4)
	s_mul_i32 s2, ttmp9, s2
	s_wait_xcnt 0x0
	s_load_b32 s0, s[0:1], 0x10
	s_add_co_i32 s3, s3, s2
	s_cmp_eq_u32 s8, 0
	s_cselect_b32 s2, ttmp9, s3
	s_mov_b32 s3, 0
	s_lshl_b32 s2, s2, 12
	s_delay_alu instid0(SALU_CYCLE_1)
	s_lshl_b64 s[2:3], s[2:3], 3
	s_wait_kmcnt 0x0
	s_add_nc_u64 s[4:5], s[4:5], s[2:3]
	s_clause 0xf
	global_load_b64 v[32:33], v0, s[4:5] scale_offset
	global_load_b64 v[30:31], v0, s[4:5] offset:2048 scale_offset
	global_load_b64 v[28:29], v0, s[4:5] offset:4096 scale_offset
	;; [unrolled: 1-line block ×15, first 2 shown]
	s_cmp_eq_u32 s0, 0
	s_cbranch_scc1 .LBB112_5
; %bb.1:
	v_lshlrev_b32_e32 v1, 3, v0
	v_cmp_ne_u32_e32 vcc_lo, 0xff, v0
	s_branch .LBB112_3
.LBB112_2:                              ;   in Loop: Header=BB112_3 Depth=1
	s_or_b32 exec_lo, exec_lo, s1
	v_sub_nc_u64_e32 v[36:37], v[32:33], v[30:31]
	v_sub_nc_u64_e32 v[38:39], v[30:31], v[28:29]
	;; [unrolled: 1-line block ×13, first 2 shown]
	v_add_nc_u64_e32 v[32:33], v[36:37], v[32:33]
	v_sub_nc_u64_e32 v[36:37], v[6:7], v[4:5]
	v_add_nc_u64_e32 v[30:31], v[38:39], v[30:31]
	v_sub_nc_u64_e32 v[38:39], v[4:5], v[2:3]
	s_wait_dscnt 0x0
	v_sub_nc_u64_e32 v[34:35], v[2:3], v[34:35]
	v_add_nc_u64_e32 v[28:29], v[40:41], v[28:29]
	v_add_nc_u64_e32 v[26:27], v[42:43], v[26:27]
	;; [unrolled: 1-line block ×14, first 2 shown]
	s_add_co_i32 s0, s0, -1
	s_delay_alu instid0(SALU_CYCLE_1)
	s_cmp_lg_u32 s0, 0
	s_barrier_signal -1
	s_barrier_wait -1
	s_cbranch_scc0 .LBB112_5
.LBB112_3:                              ; =>This Inner Loop Header: Depth=1
	v_mov_b64_e32 v[34:35], 0x7b
	s_wait_loadcnt 0xf
	ds_store_b64 v1, v[32:33] offset:2048
	s_wait_loadcnt_dscnt 0x0
	s_barrier_signal -1
	s_barrier_wait -1
	s_and_saveexec_b32 s1, vcc_lo
	s_cbranch_execz .LBB112_2
; %bb.4:                                ;   in Loop: Header=BB112_3 Depth=1
	ds_load_b64 v[34:35], v1 offset:2056
	s_branch .LBB112_2
.LBB112_5:
	s_add_nc_u64 s[0:1], s[6:7], s[2:3]
	s_wait_loadcnt 0xf
	global_store_b64 v0, v[32:33], s[0:1] scale_offset
	s_wait_loadcnt 0xe
	global_store_b64 v0, v[30:31], s[0:1] offset:2048 scale_offset
	s_wait_loadcnt 0xd
	global_store_b64 v0, v[28:29], s[0:1] offset:4096 scale_offset
	;; [unrolled: 2-line block ×15, first 2 shown]
	s_endpgm
	.section	.rodata,"a",@progbits
	.p2align	6, 0x0
	.amdhsa_kernel _Z6kernelI14subtract_rightLj256ELj16ELb1EJPxS1_jEEvDpT3_
		.amdhsa_group_segment_fixed_size 4096
		.amdhsa_private_segment_fixed_size 0
		.amdhsa_kernarg_size 20
		.amdhsa_user_sgpr_count 2
		.amdhsa_user_sgpr_dispatch_ptr 0
		.amdhsa_user_sgpr_queue_ptr 0
		.amdhsa_user_sgpr_kernarg_segment_ptr 1
		.amdhsa_user_sgpr_dispatch_id 0
		.amdhsa_user_sgpr_kernarg_preload_length 0
		.amdhsa_user_sgpr_kernarg_preload_offset 0
		.amdhsa_user_sgpr_private_segment_size 0
		.amdhsa_wavefront_size32 1
		.amdhsa_uses_dynamic_stack 0
		.amdhsa_enable_private_segment 0
		.amdhsa_system_sgpr_workgroup_id_x 1
		.amdhsa_system_sgpr_workgroup_id_y 0
		.amdhsa_system_sgpr_workgroup_id_z 0
		.amdhsa_system_sgpr_workgroup_info 0
		.amdhsa_system_vgpr_workitem_id 0
		.amdhsa_next_free_vgpr 62
		.amdhsa_next_free_sgpr 9
		.amdhsa_named_barrier_count 0
		.amdhsa_reserve_vcc 1
		.amdhsa_float_round_mode_32 0
		.amdhsa_float_round_mode_16_64 0
		.amdhsa_float_denorm_mode_32 3
		.amdhsa_float_denorm_mode_16_64 3
		.amdhsa_fp16_overflow 0
		.amdhsa_memory_ordered 1
		.amdhsa_forward_progress 1
		.amdhsa_inst_pref_size 7
		.amdhsa_round_robin_scheduling 0
		.amdhsa_exception_fp_ieee_invalid_op 0
		.amdhsa_exception_fp_denorm_src 0
		.amdhsa_exception_fp_ieee_div_zero 0
		.amdhsa_exception_fp_ieee_overflow 0
		.amdhsa_exception_fp_ieee_underflow 0
		.amdhsa_exception_fp_ieee_inexact 0
		.amdhsa_exception_int_div_zero 0
	.end_amdhsa_kernel
	.section	.text._Z6kernelI14subtract_rightLj256ELj16ELb1EJPxS1_jEEvDpT3_,"axG",@progbits,_Z6kernelI14subtract_rightLj256ELj16ELb1EJPxS1_jEEvDpT3_,comdat
.Lfunc_end112:
	.size	_Z6kernelI14subtract_rightLj256ELj16ELb1EJPxS1_jEEvDpT3_, .Lfunc_end112-_Z6kernelI14subtract_rightLj256ELj16ELb1EJPxS1_jEEvDpT3_
                                        ; -- End function
	.set _Z6kernelI14subtract_rightLj256ELj16ELb1EJPxS1_jEEvDpT3_.num_vgpr, 62
	.set _Z6kernelI14subtract_rightLj256ELj16ELb1EJPxS1_jEEvDpT3_.num_agpr, 0
	.set _Z6kernelI14subtract_rightLj256ELj16ELb1EJPxS1_jEEvDpT3_.numbered_sgpr, 9
	.set _Z6kernelI14subtract_rightLj256ELj16ELb1EJPxS1_jEEvDpT3_.num_named_barrier, 0
	.set _Z6kernelI14subtract_rightLj256ELj16ELb1EJPxS1_jEEvDpT3_.private_seg_size, 0
	.set _Z6kernelI14subtract_rightLj256ELj16ELb1EJPxS1_jEEvDpT3_.uses_vcc, 1
	.set _Z6kernelI14subtract_rightLj256ELj16ELb1EJPxS1_jEEvDpT3_.uses_flat_scratch, 0
	.set _Z6kernelI14subtract_rightLj256ELj16ELb1EJPxS1_jEEvDpT3_.has_dyn_sized_stack, 0
	.set _Z6kernelI14subtract_rightLj256ELj16ELb1EJPxS1_jEEvDpT3_.has_recursion, 0
	.set _Z6kernelI14subtract_rightLj256ELj16ELb1EJPxS1_jEEvDpT3_.has_indirect_call, 0
	.section	.AMDGPU.csdata,"",@progbits
; Kernel info:
; codeLenInByte = 776
; TotalNumSgprs: 11
; NumVgprs: 62
; ScratchSize: 0
; MemoryBound: 0
; FloatMode: 240
; IeeeMode: 1
; LDSByteSize: 4096 bytes/workgroup (compile time only)
; SGPRBlocks: 0
; VGPRBlocks: 3
; NumSGPRsForWavesPerEU: 11
; NumVGPRsForWavesPerEU: 62
; NamedBarCnt: 0
; Occupancy: 16
; WaveLimiterHint : 1
; COMPUTE_PGM_RSRC2:SCRATCH_EN: 0
; COMPUTE_PGM_RSRC2:USER_SGPR: 2
; COMPUTE_PGM_RSRC2:TRAP_HANDLER: 0
; COMPUTE_PGM_RSRC2:TGID_X_EN: 1
; COMPUTE_PGM_RSRC2:TGID_Y_EN: 0
; COMPUTE_PGM_RSRC2:TGID_Z_EN: 0
; COMPUTE_PGM_RSRC2:TIDIG_COMP_CNT: 0
	.section	.text._Z6kernelI14subtract_rightLj256ELj32ELb1EJPxS1_jEEvDpT3_,"axG",@progbits,_Z6kernelI14subtract_rightLj256ELj32ELb1EJPxS1_jEEvDpT3_,comdat
	.protected	_Z6kernelI14subtract_rightLj256ELj32ELb1EJPxS1_jEEvDpT3_ ; -- Begin function _Z6kernelI14subtract_rightLj256ELj32ELb1EJPxS1_jEEvDpT3_
	.globl	_Z6kernelI14subtract_rightLj256ELj32ELb1EJPxS1_jEEvDpT3_
	.p2align	8
	.type	_Z6kernelI14subtract_rightLj256ELj32ELb1EJPxS1_jEEvDpT3_,@function
_Z6kernelI14subtract_rightLj256ELj32ELb1EJPxS1_jEEvDpT3_: ; @_Z6kernelI14subtract_rightLj256ELj32ELb1EJPxS1_jEEvDpT3_
; %bb.0:
	s_load_b128 s[4:7], s[0:1], 0x0
	s_bfe_u32 s2, ttmp6, 0x4000c
	s_and_b32 s3, ttmp6, 15
	s_add_co_i32 s2, s2, 1
	s_getreg_b32 s8, hwreg(HW_REG_IB_STS2, 6, 4)
	s_mul_i32 s2, ttmp9, s2
	s_wait_xcnt 0x0
	s_load_b32 s0, s[0:1], 0x10
	s_add_co_i32 s3, s3, s2
	s_cmp_eq_u32 s8, 0
	s_cselect_b32 s2, ttmp9, s3
	s_mov_b32 s3, 0
	s_lshl_b32 s2, s2, 13
	s_delay_alu instid0(SALU_CYCLE_1)
	s_lshl_b64 s[2:3], s[2:3], 3
	s_wait_kmcnt 0x0
	s_add_nc_u64 s[4:5], s[4:5], s[2:3]
	s_clause 0x1f
	global_load_b64 v[52:53], v0, s[4:5] scale_offset
	global_load_b64 v[50:51], v0, s[4:5] offset:2048 scale_offset
	global_load_b64 v[48:49], v0, s[4:5] offset:4096 scale_offset
	;; [unrolled: 1-line block ×31, first 2 shown]
	s_cmp_eq_u32 s0, 0
	s_cbranch_scc1 .LBB113_5
; %bb.1:
	v_lshlrev_b32_e32 v1, 3, v0
	v_cmp_ne_u32_e32 vcc_lo, 0xff, v0
	s_branch .LBB113_3
.LBB113_2:                              ;   in Loop: Header=BB113_3 Depth=1
	s_or_b32 exec_lo, exec_lo, s1
	v_sub_nc_u64_e32 v[68:69], v[52:53], v[50:51]
	v_sub_nc_u64_e32 v[70:71], v[50:51], v[48:49]
	;; [unrolled: 1-line block ×5, first 2 shown]
	s_wait_dscnt 0x0
	v_sub_nc_u64_e32 v[66:67], v[54:55], v[66:67]
	s_add_co_i32 s0, s0, -1
	v_add_nc_u64_e32 v[52:53], v[68:69], v[52:53]
	v_sub_nc_u64_e32 v[68:69], v[42:43], v[40:41]
	v_add_nc_u64_e32 v[50:51], v[70:71], v[50:51]
	v_sub_nc_u64_e32 v[70:71], v[40:41], v[38:39]
	v_add_nc_u64_e32 v[48:49], v[72:73], v[48:49]
	v_sub_nc_u64_e32 v[72:73], v[38:39], v[36:37]
	v_add_nc_u64_e32 v[46:47], v[74:75], v[46:47]
	v_sub_nc_u64_e32 v[74:75], v[36:37], v[34:35]
	v_add_nc_u64_e32 v[44:45], v[76:77], v[44:45]
	v_sub_nc_u64_e32 v[76:77], v[34:35], v[32:33]
	v_add_nc_u64_e32 v[42:43], v[68:69], v[42:43]
	v_sub_nc_u64_e32 v[68:69], v[32:33], v[30:31]
	v_add_nc_u64_e32 v[40:41], v[70:71], v[40:41]
	v_sub_nc_u64_e32 v[70:71], v[30:31], v[28:29]
	v_add_nc_u64_e32 v[38:39], v[72:73], v[38:39]
	v_sub_nc_u64_e32 v[72:73], v[28:29], v[26:27]
	v_add_nc_u64_e32 v[36:37], v[74:75], v[36:37]
	v_sub_nc_u64_e32 v[74:75], v[26:27], v[24:25]
	v_add_nc_u64_e32 v[34:35], v[76:77], v[34:35]
	v_sub_nc_u64_e32 v[76:77], v[24:25], v[22:23]
	v_add_nc_u64_e32 v[32:33], v[68:69], v[32:33]
	v_sub_nc_u64_e32 v[68:69], v[22:23], v[20:21]
	v_add_nc_u64_e32 v[30:31], v[70:71], v[30:31]
	v_sub_nc_u64_e32 v[70:71], v[20:21], v[18:19]
	v_add_nc_u64_e32 v[28:29], v[72:73], v[28:29]
	v_sub_nc_u64_e32 v[72:73], v[18:19], v[16:17]
	v_add_nc_u64_e32 v[26:27], v[74:75], v[26:27]
	v_sub_nc_u64_e32 v[74:75], v[16:17], v[14:15]
	v_add_nc_u64_e32 v[24:25], v[76:77], v[24:25]
	v_sub_nc_u64_e32 v[76:77], v[14:15], v[12:13]
	v_add_nc_u64_e32 v[22:23], v[68:69], v[22:23]
	v_sub_nc_u64_e32 v[68:69], v[12:13], v[10:11]
	v_add_nc_u64_e32 v[20:21], v[70:71], v[20:21]
	v_sub_nc_u64_e32 v[70:71], v[10:11], v[8:9]
	v_add_nc_u64_e32 v[18:19], v[72:73], v[18:19]
	v_sub_nc_u64_e32 v[72:73], v[8:9], v[6:7]
	v_add_nc_u64_e32 v[16:17], v[74:75], v[16:17]
	v_sub_nc_u64_e32 v[74:75], v[6:7], v[4:5]
	v_add_nc_u64_e32 v[14:15], v[76:77], v[14:15]
	v_sub_nc_u64_e32 v[76:77], v[4:5], v[2:3]
	v_add_nc_u64_e32 v[12:13], v[68:69], v[12:13]
	v_sub_nc_u64_e32 v[68:69], v[2:3], v[64:65]
	v_add_nc_u64_e32 v[10:11], v[70:71], v[10:11]
	v_sub_nc_u64_e32 v[70:71], v[64:65], v[62:63]
	v_add_nc_u64_e32 v[8:9], v[72:73], v[8:9]
	v_sub_nc_u64_e32 v[72:73], v[62:63], v[60:61]
	v_add_nc_u64_e32 v[6:7], v[74:75], v[6:7]
	v_sub_nc_u64_e32 v[74:75], v[60:61], v[58:59]
	v_add_nc_u64_e32 v[4:5], v[76:77], v[4:5]
	v_sub_nc_u64_e32 v[76:77], v[58:59], v[56:57]
	v_add_nc_u64_e32 v[2:3], v[68:69], v[2:3]
	v_sub_nc_u64_e32 v[68:69], v[56:57], v[54:55]
	v_add_nc_u64_e32 v[64:65], v[70:71], v[64:65]
	v_add_nc_u64_e32 v[62:63], v[72:73], v[62:63]
	;; [unrolled: 1-line block ×5, first 2 shown]
	s_cmp_lg_u32 s0, 0
	v_add_nc_u64_e32 v[56:57], v[68:69], v[56:57]
	s_barrier_signal -1
	s_barrier_wait -1
	s_cbranch_scc0 .LBB113_5
.LBB113_3:                              ; =>This Inner Loop Header: Depth=1
	v_mov_b64_e32 v[66:67], 0x7b
	s_wait_loadcnt 0x1f
	ds_store_b64 v1, v[52:53] offset:2048
	s_wait_loadcnt_dscnt 0x0
	s_barrier_signal -1
	s_barrier_wait -1
	s_and_saveexec_b32 s1, vcc_lo
	s_cbranch_execz .LBB113_2
; %bb.4:                                ;   in Loop: Header=BB113_3 Depth=1
	ds_load_b64 v[66:67], v1 offset:2056
	s_branch .LBB113_2
.LBB113_5:
	s_add_nc_u64 s[0:1], s[6:7], s[2:3]
	s_wait_loadcnt 0x1f
	global_store_b64 v0, v[52:53], s[0:1] scale_offset
	s_wait_loadcnt 0x1e
	global_store_b64 v0, v[50:51], s[0:1] offset:2048 scale_offset
	s_wait_loadcnt 0x1d
	global_store_b64 v0, v[48:49], s[0:1] offset:4096 scale_offset
	;; [unrolled: 2-line block ×31, first 2 shown]
	s_sendmsg sendmsg(MSG_DEALLOC_VGPRS)
	s_endpgm
	.section	.rodata,"a",@progbits
	.p2align	6, 0x0
	.amdhsa_kernel _Z6kernelI14subtract_rightLj256ELj32ELb1EJPxS1_jEEvDpT3_
		.amdhsa_group_segment_fixed_size 4096
		.amdhsa_private_segment_fixed_size 0
		.amdhsa_kernarg_size 20
		.amdhsa_user_sgpr_count 2
		.amdhsa_user_sgpr_dispatch_ptr 0
		.amdhsa_user_sgpr_queue_ptr 0
		.amdhsa_user_sgpr_kernarg_segment_ptr 1
		.amdhsa_user_sgpr_dispatch_id 0
		.amdhsa_user_sgpr_kernarg_preload_length 0
		.amdhsa_user_sgpr_kernarg_preload_offset 0
		.amdhsa_user_sgpr_private_segment_size 0
		.amdhsa_wavefront_size32 1
		.amdhsa_uses_dynamic_stack 0
		.amdhsa_enable_private_segment 0
		.amdhsa_system_sgpr_workgroup_id_x 1
		.amdhsa_system_sgpr_workgroup_id_y 0
		.amdhsa_system_sgpr_workgroup_id_z 0
		.amdhsa_system_sgpr_workgroup_info 0
		.amdhsa_system_vgpr_workitem_id 0
		.amdhsa_next_free_vgpr 78
		.amdhsa_next_free_sgpr 9
		.amdhsa_named_barrier_count 0
		.amdhsa_reserve_vcc 1
		.amdhsa_float_round_mode_32 0
		.amdhsa_float_round_mode_16_64 0
		.amdhsa_float_denorm_mode_32 3
		.amdhsa_float_denorm_mode_16_64 3
		.amdhsa_fp16_overflow 0
		.amdhsa_memory_ordered 1
		.amdhsa_forward_progress 1
		.amdhsa_inst_pref_size 11
		.amdhsa_round_robin_scheduling 0
		.amdhsa_exception_fp_ieee_invalid_op 0
		.amdhsa_exception_fp_denorm_src 0
		.amdhsa_exception_fp_ieee_div_zero 0
		.amdhsa_exception_fp_ieee_overflow 0
		.amdhsa_exception_fp_ieee_underflow 0
		.amdhsa_exception_fp_ieee_inexact 0
		.amdhsa_exception_int_div_zero 0
	.end_amdhsa_kernel
	.section	.text._Z6kernelI14subtract_rightLj256ELj32ELb1EJPxS1_jEEvDpT3_,"axG",@progbits,_Z6kernelI14subtract_rightLj256ELj32ELb1EJPxS1_jEEvDpT3_,comdat
.Lfunc_end113:
	.size	_Z6kernelI14subtract_rightLj256ELj32ELb1EJPxS1_jEEvDpT3_, .Lfunc_end113-_Z6kernelI14subtract_rightLj256ELj32ELb1EJPxS1_jEEvDpT3_
                                        ; -- End function
	.set _Z6kernelI14subtract_rightLj256ELj32ELb1EJPxS1_jEEvDpT3_.num_vgpr, 78
	.set _Z6kernelI14subtract_rightLj256ELj32ELb1EJPxS1_jEEvDpT3_.num_agpr, 0
	.set _Z6kernelI14subtract_rightLj256ELj32ELb1EJPxS1_jEEvDpT3_.numbered_sgpr, 9
	.set _Z6kernelI14subtract_rightLj256ELj32ELb1EJPxS1_jEEvDpT3_.num_named_barrier, 0
	.set _Z6kernelI14subtract_rightLj256ELj32ELb1EJPxS1_jEEvDpT3_.private_seg_size, 0
	.set _Z6kernelI14subtract_rightLj256ELj32ELb1EJPxS1_jEEvDpT3_.uses_vcc, 1
	.set _Z6kernelI14subtract_rightLj256ELj32ELb1EJPxS1_jEEvDpT3_.uses_flat_scratch, 0
	.set _Z6kernelI14subtract_rightLj256ELj32ELb1EJPxS1_jEEvDpT3_.has_dyn_sized_stack, 0
	.set _Z6kernelI14subtract_rightLj256ELj32ELb1EJPxS1_jEEvDpT3_.has_recursion, 0
	.set _Z6kernelI14subtract_rightLj256ELj32ELb1EJPxS1_jEEvDpT3_.has_indirect_call, 0
	.section	.AMDGPU.csdata,"",@progbits
; Kernel info:
; codeLenInByte = 1352
; TotalNumSgprs: 11
; NumVgprs: 78
; ScratchSize: 0
; MemoryBound: 0
; FloatMode: 240
; IeeeMode: 1
; LDSByteSize: 4096 bytes/workgroup (compile time only)
; SGPRBlocks: 0
; VGPRBlocks: 4
; NumSGPRsForWavesPerEU: 11
; NumVGPRsForWavesPerEU: 78
; NamedBarCnt: 0
; Occupancy: 12
; WaveLimiterHint : 1
; COMPUTE_PGM_RSRC2:SCRATCH_EN: 0
; COMPUTE_PGM_RSRC2:USER_SGPR: 2
; COMPUTE_PGM_RSRC2:TRAP_HANDLER: 0
; COMPUTE_PGM_RSRC2:TGID_X_EN: 1
; COMPUTE_PGM_RSRC2:TGID_Y_EN: 0
; COMPUTE_PGM_RSRC2:TGID_Z_EN: 0
; COMPUTE_PGM_RSRC2:TIDIG_COMP_CNT: 0
	.section	.text._Z6kernelI14subtract_rightLj256ELj1ELb1EJPdS1_jEEvDpT3_,"axG",@progbits,_Z6kernelI14subtract_rightLj256ELj1ELb1EJPdS1_jEEvDpT3_,comdat
	.protected	_Z6kernelI14subtract_rightLj256ELj1ELb1EJPdS1_jEEvDpT3_ ; -- Begin function _Z6kernelI14subtract_rightLj256ELj1ELb1EJPdS1_jEEvDpT3_
	.globl	_Z6kernelI14subtract_rightLj256ELj1ELb1EJPdS1_jEEvDpT3_
	.p2align	8
	.type	_Z6kernelI14subtract_rightLj256ELj1ELb1EJPdS1_jEEvDpT3_,@function
_Z6kernelI14subtract_rightLj256ELj1ELb1EJPdS1_jEEvDpT3_: ; @_Z6kernelI14subtract_rightLj256ELj1ELb1EJPdS1_jEEvDpT3_
; %bb.0:
	s_load_b128 s[4:7], s[0:1], 0x0
	s_bfe_u32 s2, ttmp6, 0x4000c
	s_and_b32 s3, ttmp6, 15
	s_add_co_i32 s2, s2, 1
	s_getreg_b32 s8, hwreg(HW_REG_IB_STS2, 6, 4)
	s_mul_i32 s2, ttmp9, s2
	s_wait_xcnt 0x0
	s_load_b32 s0, s[0:1], 0x10
	s_add_co_i32 s3, s3, s2
	s_cmp_eq_u32 s8, 0
	s_cselect_b32 s2, ttmp9, s3
	s_mov_b32 s3, 0
	s_lshl_b32 s2, s2, 8
	s_delay_alu instid0(SALU_CYCLE_1)
	s_lshl_b64 s[2:3], s[2:3], 3
	s_wait_kmcnt 0x0
	s_add_nc_u64 s[4:5], s[4:5], s[2:3]
	global_load_b64 v[2:3], v0, s[4:5] scale_offset
	s_cmp_eq_u32 s0, 0
	s_cbranch_scc1 .LBB114_5
; %bb.1:
	v_lshlrev_b32_e32 v1, 3, v0
	v_cmp_ne_u32_e32 vcc_lo, 0xff, v0
	s_branch .LBB114_3
.LBB114_2:                              ;   in Loop: Header=BB114_3 Depth=1
	s_or_b32 exec_lo, exec_lo, s1
	s_wait_dscnt 0x0
	v_add_f64_e64 v[4:5], v[2:3], -v[4:5]
	s_add_co_i32 s0, s0, -1
	s_delay_alu instid0(SALU_CYCLE_1) | instskip(SKIP_2) | instid1(VALU_DEP_1)
	s_cmp_lg_u32 s0, 0
	s_barrier_signal -1
	s_barrier_wait -1
	v_add_f64_e32 v[2:3], v[2:3], v[4:5]
	s_cbranch_scc0 .LBB114_5
.LBB114_3:                              ; =>This Inner Loop Header: Depth=1
	v_mov_b64_e32 v[4:5], 0x405ec00000000000
	s_wait_loadcnt 0x0
	ds_store_b64 v1, v[2:3] offset:2048
	s_wait_dscnt 0x0
	s_barrier_signal -1
	s_barrier_wait -1
	s_and_saveexec_b32 s1, vcc_lo
	s_cbranch_execz .LBB114_2
; %bb.4:                                ;   in Loop: Header=BB114_3 Depth=1
	ds_load_b64 v[4:5], v1 offset:2056
	s_branch .LBB114_2
.LBB114_5:
	s_add_nc_u64 s[0:1], s[6:7], s[2:3]
	s_wait_loadcnt 0x0
	global_store_b64 v0, v[2:3], s[0:1] scale_offset
	s_endpgm
	.section	.rodata,"a",@progbits
	.p2align	6, 0x0
	.amdhsa_kernel _Z6kernelI14subtract_rightLj256ELj1ELb1EJPdS1_jEEvDpT3_
		.amdhsa_group_segment_fixed_size 4096
		.amdhsa_private_segment_fixed_size 0
		.amdhsa_kernarg_size 20
		.amdhsa_user_sgpr_count 2
		.amdhsa_user_sgpr_dispatch_ptr 0
		.amdhsa_user_sgpr_queue_ptr 0
		.amdhsa_user_sgpr_kernarg_segment_ptr 1
		.amdhsa_user_sgpr_dispatch_id 0
		.amdhsa_user_sgpr_kernarg_preload_length 0
		.amdhsa_user_sgpr_kernarg_preload_offset 0
		.amdhsa_user_sgpr_private_segment_size 0
		.amdhsa_wavefront_size32 1
		.amdhsa_uses_dynamic_stack 0
		.amdhsa_enable_private_segment 0
		.amdhsa_system_sgpr_workgroup_id_x 1
		.amdhsa_system_sgpr_workgroup_id_y 0
		.amdhsa_system_sgpr_workgroup_id_z 0
		.amdhsa_system_sgpr_workgroup_info 0
		.amdhsa_system_vgpr_workitem_id 0
		.amdhsa_next_free_vgpr 6
		.amdhsa_next_free_sgpr 9
		.amdhsa_named_barrier_count 0
		.amdhsa_reserve_vcc 1
		.amdhsa_float_round_mode_32 0
		.amdhsa_float_round_mode_16_64 0
		.amdhsa_float_denorm_mode_32 3
		.amdhsa_float_denorm_mode_16_64 3
		.amdhsa_fp16_overflow 0
		.amdhsa_memory_ordered 1
		.amdhsa_forward_progress 1
		.amdhsa_inst_pref_size 2
		.amdhsa_round_robin_scheduling 0
		.amdhsa_exception_fp_ieee_invalid_op 0
		.amdhsa_exception_fp_denorm_src 0
		.amdhsa_exception_fp_ieee_div_zero 0
		.amdhsa_exception_fp_ieee_overflow 0
		.amdhsa_exception_fp_ieee_underflow 0
		.amdhsa_exception_fp_ieee_inexact 0
		.amdhsa_exception_int_div_zero 0
	.end_amdhsa_kernel
	.section	.text._Z6kernelI14subtract_rightLj256ELj1ELb1EJPdS1_jEEvDpT3_,"axG",@progbits,_Z6kernelI14subtract_rightLj256ELj1ELb1EJPdS1_jEEvDpT3_,comdat
.Lfunc_end114:
	.size	_Z6kernelI14subtract_rightLj256ELj1ELb1EJPdS1_jEEvDpT3_, .Lfunc_end114-_Z6kernelI14subtract_rightLj256ELj1ELb1EJPdS1_jEEvDpT3_
                                        ; -- End function
	.set _Z6kernelI14subtract_rightLj256ELj1ELb1EJPdS1_jEEvDpT3_.num_vgpr, 6
	.set _Z6kernelI14subtract_rightLj256ELj1ELb1EJPdS1_jEEvDpT3_.num_agpr, 0
	.set _Z6kernelI14subtract_rightLj256ELj1ELb1EJPdS1_jEEvDpT3_.numbered_sgpr, 9
	.set _Z6kernelI14subtract_rightLj256ELj1ELb1EJPdS1_jEEvDpT3_.num_named_barrier, 0
	.set _Z6kernelI14subtract_rightLj256ELj1ELb1EJPdS1_jEEvDpT3_.private_seg_size, 0
	.set _Z6kernelI14subtract_rightLj256ELj1ELb1EJPdS1_jEEvDpT3_.uses_vcc, 1
	.set _Z6kernelI14subtract_rightLj256ELj1ELb1EJPdS1_jEEvDpT3_.uses_flat_scratch, 0
	.set _Z6kernelI14subtract_rightLj256ELj1ELb1EJPdS1_jEEvDpT3_.has_dyn_sized_stack, 0
	.set _Z6kernelI14subtract_rightLj256ELj1ELb1EJPdS1_jEEvDpT3_.has_recursion, 0
	.set _Z6kernelI14subtract_rightLj256ELj1ELb1EJPdS1_jEEvDpT3_.has_indirect_call, 0
	.section	.AMDGPU.csdata,"",@progbits
; Kernel info:
; codeLenInByte = 240
; TotalNumSgprs: 11
; NumVgprs: 6
; ScratchSize: 0
; MemoryBound: 0
; FloatMode: 240
; IeeeMode: 1
; LDSByteSize: 4096 bytes/workgroup (compile time only)
; SGPRBlocks: 0
; VGPRBlocks: 0
; NumSGPRsForWavesPerEU: 11
; NumVGPRsForWavesPerEU: 6
; NamedBarCnt: 0
; Occupancy: 16
; WaveLimiterHint : 0
; COMPUTE_PGM_RSRC2:SCRATCH_EN: 0
; COMPUTE_PGM_RSRC2:USER_SGPR: 2
; COMPUTE_PGM_RSRC2:TRAP_HANDLER: 0
; COMPUTE_PGM_RSRC2:TGID_X_EN: 1
; COMPUTE_PGM_RSRC2:TGID_Y_EN: 0
; COMPUTE_PGM_RSRC2:TGID_Z_EN: 0
; COMPUTE_PGM_RSRC2:TIDIG_COMP_CNT: 0
	.section	.text._Z6kernelI14subtract_rightLj256ELj3ELb1EJPdS1_jEEvDpT3_,"axG",@progbits,_Z6kernelI14subtract_rightLj256ELj3ELb1EJPdS1_jEEvDpT3_,comdat
	.protected	_Z6kernelI14subtract_rightLj256ELj3ELb1EJPdS1_jEEvDpT3_ ; -- Begin function _Z6kernelI14subtract_rightLj256ELj3ELb1EJPdS1_jEEvDpT3_
	.globl	_Z6kernelI14subtract_rightLj256ELj3ELb1EJPdS1_jEEvDpT3_
	.p2align	8
	.type	_Z6kernelI14subtract_rightLj256ELj3ELb1EJPdS1_jEEvDpT3_,@function
_Z6kernelI14subtract_rightLj256ELj3ELb1EJPdS1_jEEvDpT3_: ; @_Z6kernelI14subtract_rightLj256ELj3ELb1EJPdS1_jEEvDpT3_
; %bb.0:
	s_load_b128 s[4:7], s[0:1], 0x0
	s_bfe_u32 s2, ttmp6, 0x4000c
	s_and_b32 s3, ttmp6, 15
	s_add_co_i32 s2, s2, 1
	s_getreg_b32 s8, hwreg(HW_REG_IB_STS2, 6, 4)
	s_mul_i32 s2, ttmp9, s2
	s_wait_xcnt 0x0
	s_load_b32 s0, s[0:1], 0x10
	s_add_co_i32 s3, s3, s2
	s_cmp_eq_u32 s8, 0
	s_cselect_b32 s2, ttmp9, s3
	s_mov_b32 s3, 0
	s_mulk_i32 s2, 0x300
	s_delay_alu instid0(SALU_CYCLE_1)
	s_lshl_b64 s[2:3], s[2:3], 3
	s_wait_kmcnt 0x0
	s_add_nc_u64 s[4:5], s[4:5], s[2:3]
	s_clause 0x2
	global_load_b64 v[6:7], v0, s[4:5] scale_offset
	global_load_b64 v[4:5], v0, s[4:5] offset:2048 scale_offset
	global_load_b64 v[2:3], v0, s[4:5] offset:4096 scale_offset
	s_cmp_eq_u32 s0, 0
	s_cbranch_scc1 .LBB115_5
; %bb.1:
	v_lshlrev_b32_e32 v1, 3, v0
	v_cmp_ne_u32_e32 vcc_lo, 0xff, v0
	s_branch .LBB115_3
.LBB115_2:                              ;   in Loop: Header=BB115_3 Depth=1
	s_or_b32 exec_lo, exec_lo, s1
	v_add_f64_e64 v[10:11], v[6:7], -v[4:5]
	v_add_f64_e64 v[12:13], v[4:5], -v[2:3]
	s_wait_dscnt 0x0
	v_add_f64_e64 v[8:9], v[2:3], -v[8:9]
	s_add_co_i32 s0, s0, -1
	s_delay_alu instid0(SALU_CYCLE_1) | instskip(SKIP_2) | instid1(VALU_DEP_3)
	s_cmp_lg_u32 s0, 0
	s_barrier_signal -1
	s_barrier_wait -1
	v_add_f64_e32 v[6:7], v[6:7], v[10:11]
	s_delay_alu instid0(VALU_DEP_3) | instskip(NEXT) | instid1(VALU_DEP_3)
	v_add_f64_e32 v[4:5], v[4:5], v[12:13]
	v_add_f64_e32 v[2:3], v[2:3], v[8:9]
	s_cbranch_scc0 .LBB115_5
.LBB115_3:                              ; =>This Inner Loop Header: Depth=1
	v_mov_b64_e32 v[8:9], 0x405ec00000000000
	s_wait_loadcnt 0x2
	ds_store_b64 v1, v[6:7] offset:2048
	s_wait_loadcnt_dscnt 0x0
	s_barrier_signal -1
	s_barrier_wait -1
	s_and_saveexec_b32 s1, vcc_lo
	s_cbranch_execz .LBB115_2
; %bb.4:                                ;   in Loop: Header=BB115_3 Depth=1
	ds_load_b64 v[8:9], v1 offset:2056
	s_branch .LBB115_2
.LBB115_5:
	s_add_nc_u64 s[0:1], s[6:7], s[2:3]
	s_wait_loadcnt 0x2
	global_store_b64 v0, v[6:7], s[0:1] scale_offset
	s_wait_loadcnt 0x1
	global_store_b64 v0, v[4:5], s[0:1] offset:2048 scale_offset
	s_wait_loadcnt 0x0
	global_store_b64 v0, v[2:3], s[0:1] offset:4096 scale_offset
	s_endpgm
	.section	.rodata,"a",@progbits
	.p2align	6, 0x0
	.amdhsa_kernel _Z6kernelI14subtract_rightLj256ELj3ELb1EJPdS1_jEEvDpT3_
		.amdhsa_group_segment_fixed_size 4096
		.amdhsa_private_segment_fixed_size 0
		.amdhsa_kernarg_size 20
		.amdhsa_user_sgpr_count 2
		.amdhsa_user_sgpr_dispatch_ptr 0
		.amdhsa_user_sgpr_queue_ptr 0
		.amdhsa_user_sgpr_kernarg_segment_ptr 1
		.amdhsa_user_sgpr_dispatch_id 0
		.amdhsa_user_sgpr_kernarg_preload_length 0
		.amdhsa_user_sgpr_kernarg_preload_offset 0
		.amdhsa_user_sgpr_private_segment_size 0
		.amdhsa_wavefront_size32 1
		.amdhsa_uses_dynamic_stack 0
		.amdhsa_enable_private_segment 0
		.amdhsa_system_sgpr_workgroup_id_x 1
		.amdhsa_system_sgpr_workgroup_id_y 0
		.amdhsa_system_sgpr_workgroup_id_z 0
		.amdhsa_system_sgpr_workgroup_info 0
		.amdhsa_system_vgpr_workitem_id 0
		.amdhsa_next_free_vgpr 14
		.amdhsa_next_free_sgpr 9
		.amdhsa_named_barrier_count 0
		.amdhsa_reserve_vcc 1
		.amdhsa_float_round_mode_32 0
		.amdhsa_float_round_mode_16_64 0
		.amdhsa_float_denorm_mode_32 3
		.amdhsa_float_denorm_mode_16_64 3
		.amdhsa_fp16_overflow 0
		.amdhsa_memory_ordered 1
		.amdhsa_forward_progress 1
		.amdhsa_inst_pref_size 3
		.amdhsa_round_robin_scheduling 0
		.amdhsa_exception_fp_ieee_invalid_op 0
		.amdhsa_exception_fp_denorm_src 0
		.amdhsa_exception_fp_ieee_div_zero 0
		.amdhsa_exception_fp_ieee_overflow 0
		.amdhsa_exception_fp_ieee_underflow 0
		.amdhsa_exception_fp_ieee_inexact 0
		.amdhsa_exception_int_div_zero 0
	.end_amdhsa_kernel
	.section	.text._Z6kernelI14subtract_rightLj256ELj3ELb1EJPdS1_jEEvDpT3_,"axG",@progbits,_Z6kernelI14subtract_rightLj256ELj3ELb1EJPdS1_jEEvDpT3_,comdat
.Lfunc_end115:
	.size	_Z6kernelI14subtract_rightLj256ELj3ELb1EJPdS1_jEEvDpT3_, .Lfunc_end115-_Z6kernelI14subtract_rightLj256ELj3ELb1EJPdS1_jEEvDpT3_
                                        ; -- End function
	.set _Z6kernelI14subtract_rightLj256ELj3ELb1EJPdS1_jEEvDpT3_.num_vgpr, 14
	.set _Z6kernelI14subtract_rightLj256ELj3ELb1EJPdS1_jEEvDpT3_.num_agpr, 0
	.set _Z6kernelI14subtract_rightLj256ELj3ELb1EJPdS1_jEEvDpT3_.numbered_sgpr, 9
	.set _Z6kernelI14subtract_rightLj256ELj3ELb1EJPdS1_jEEvDpT3_.num_named_barrier, 0
	.set _Z6kernelI14subtract_rightLj256ELj3ELb1EJPdS1_jEEvDpT3_.private_seg_size, 0
	.set _Z6kernelI14subtract_rightLj256ELj3ELb1EJPdS1_jEEvDpT3_.uses_vcc, 1
	.set _Z6kernelI14subtract_rightLj256ELj3ELb1EJPdS1_jEEvDpT3_.uses_flat_scratch, 0
	.set _Z6kernelI14subtract_rightLj256ELj3ELb1EJPdS1_jEEvDpT3_.has_dyn_sized_stack, 0
	.set _Z6kernelI14subtract_rightLj256ELj3ELb1EJPdS1_jEEvDpT3_.has_recursion, 0
	.set _Z6kernelI14subtract_rightLj256ELj3ELb1EJPdS1_jEEvDpT3_.has_indirect_call, 0
	.section	.AMDGPU.csdata,"",@progbits
; Kernel info:
; codeLenInByte = 328
; TotalNumSgprs: 11
; NumVgprs: 14
; ScratchSize: 0
; MemoryBound: 0
; FloatMode: 240
; IeeeMode: 1
; LDSByteSize: 4096 bytes/workgroup (compile time only)
; SGPRBlocks: 0
; VGPRBlocks: 0
; NumSGPRsForWavesPerEU: 11
; NumVGPRsForWavesPerEU: 14
; NamedBarCnt: 0
; Occupancy: 16
; WaveLimiterHint : 1
; COMPUTE_PGM_RSRC2:SCRATCH_EN: 0
; COMPUTE_PGM_RSRC2:USER_SGPR: 2
; COMPUTE_PGM_RSRC2:TRAP_HANDLER: 0
; COMPUTE_PGM_RSRC2:TGID_X_EN: 1
; COMPUTE_PGM_RSRC2:TGID_Y_EN: 0
; COMPUTE_PGM_RSRC2:TGID_Z_EN: 0
; COMPUTE_PGM_RSRC2:TIDIG_COMP_CNT: 0
	.section	.text._Z6kernelI14subtract_rightLj256ELj4ELb1EJPdS1_jEEvDpT3_,"axG",@progbits,_Z6kernelI14subtract_rightLj256ELj4ELb1EJPdS1_jEEvDpT3_,comdat
	.protected	_Z6kernelI14subtract_rightLj256ELj4ELb1EJPdS1_jEEvDpT3_ ; -- Begin function _Z6kernelI14subtract_rightLj256ELj4ELb1EJPdS1_jEEvDpT3_
	.globl	_Z6kernelI14subtract_rightLj256ELj4ELb1EJPdS1_jEEvDpT3_
	.p2align	8
	.type	_Z6kernelI14subtract_rightLj256ELj4ELb1EJPdS1_jEEvDpT3_,@function
_Z6kernelI14subtract_rightLj256ELj4ELb1EJPdS1_jEEvDpT3_: ; @_Z6kernelI14subtract_rightLj256ELj4ELb1EJPdS1_jEEvDpT3_
; %bb.0:
	s_load_b128 s[4:7], s[0:1], 0x0
	s_bfe_u32 s2, ttmp6, 0x4000c
	s_and_b32 s3, ttmp6, 15
	s_add_co_i32 s2, s2, 1
	s_getreg_b32 s8, hwreg(HW_REG_IB_STS2, 6, 4)
	s_mul_i32 s2, ttmp9, s2
	s_wait_xcnt 0x0
	s_load_b32 s0, s[0:1], 0x10
	s_add_co_i32 s3, s3, s2
	s_cmp_eq_u32 s8, 0
	s_cselect_b32 s2, ttmp9, s3
	s_mov_b32 s3, 0
	s_lshl_b32 s2, s2, 10
	s_delay_alu instid0(SALU_CYCLE_1)
	s_lshl_b64 s[2:3], s[2:3], 3
	s_wait_kmcnt 0x0
	s_add_nc_u64 s[4:5], s[4:5], s[2:3]
	s_clause 0x3
	global_load_b64 v[8:9], v0, s[4:5] scale_offset
	global_load_b64 v[6:7], v0, s[4:5] offset:2048 scale_offset
	global_load_b64 v[4:5], v0, s[4:5] offset:4096 scale_offset
	;; [unrolled: 1-line block ×3, first 2 shown]
	s_cmp_eq_u32 s0, 0
	s_cbranch_scc1 .LBB116_5
; %bb.1:
	v_lshlrev_b32_e32 v1, 3, v0
	v_cmp_ne_u32_e32 vcc_lo, 0xff, v0
	s_branch .LBB116_3
.LBB116_2:                              ;   in Loop: Header=BB116_3 Depth=1
	s_or_b32 exec_lo, exec_lo, s1
	v_add_f64_e64 v[12:13], v[8:9], -v[6:7]
	v_add_f64_e64 v[14:15], v[6:7], -v[4:5]
	;; [unrolled: 1-line block ×3, first 2 shown]
	s_wait_dscnt 0x0
	v_add_f64_e64 v[10:11], v[2:3], -v[10:11]
	s_add_co_i32 s0, s0, -1
	s_delay_alu instid0(SALU_CYCLE_1) | instskip(SKIP_2) | instid1(VALU_DEP_4)
	s_cmp_lg_u32 s0, 0
	s_barrier_signal -1
	s_barrier_wait -1
	v_add_f64_e32 v[8:9], v[8:9], v[12:13]
	s_delay_alu instid0(VALU_DEP_4) | instskip(NEXT) | instid1(VALU_DEP_4)
	v_add_f64_e32 v[6:7], v[6:7], v[14:15]
	v_add_f64_e32 v[4:5], v[4:5], v[16:17]
	s_delay_alu instid0(VALU_DEP_4)
	v_add_f64_e32 v[2:3], v[2:3], v[10:11]
	s_cbranch_scc0 .LBB116_5
.LBB116_3:                              ; =>This Inner Loop Header: Depth=1
	v_mov_b64_e32 v[10:11], 0x405ec00000000000
	s_wait_loadcnt 0x3
	ds_store_b64 v1, v[8:9] offset:2048
	s_wait_loadcnt_dscnt 0x0
	s_barrier_signal -1
	s_barrier_wait -1
	s_and_saveexec_b32 s1, vcc_lo
	s_cbranch_execz .LBB116_2
; %bb.4:                                ;   in Loop: Header=BB116_3 Depth=1
	ds_load_b64 v[10:11], v1 offset:2056
	s_branch .LBB116_2
.LBB116_5:
	s_add_nc_u64 s[0:1], s[6:7], s[2:3]
	s_wait_loadcnt 0x3
	global_store_b64 v0, v[8:9], s[0:1] scale_offset
	s_wait_loadcnt 0x2
	global_store_b64 v0, v[6:7], s[0:1] offset:2048 scale_offset
	s_wait_loadcnt 0x1
	global_store_b64 v0, v[4:5], s[0:1] offset:4096 scale_offset
	;; [unrolled: 2-line block ×3, first 2 shown]
	s_endpgm
	.section	.rodata,"a",@progbits
	.p2align	6, 0x0
	.amdhsa_kernel _Z6kernelI14subtract_rightLj256ELj4ELb1EJPdS1_jEEvDpT3_
		.amdhsa_group_segment_fixed_size 4096
		.amdhsa_private_segment_fixed_size 0
		.amdhsa_kernarg_size 20
		.amdhsa_user_sgpr_count 2
		.amdhsa_user_sgpr_dispatch_ptr 0
		.amdhsa_user_sgpr_queue_ptr 0
		.amdhsa_user_sgpr_kernarg_segment_ptr 1
		.amdhsa_user_sgpr_dispatch_id 0
		.amdhsa_user_sgpr_kernarg_preload_length 0
		.amdhsa_user_sgpr_kernarg_preload_offset 0
		.amdhsa_user_sgpr_private_segment_size 0
		.amdhsa_wavefront_size32 1
		.amdhsa_uses_dynamic_stack 0
		.amdhsa_enable_private_segment 0
		.amdhsa_system_sgpr_workgroup_id_x 1
		.amdhsa_system_sgpr_workgroup_id_y 0
		.amdhsa_system_sgpr_workgroup_id_z 0
		.amdhsa_system_sgpr_workgroup_info 0
		.amdhsa_system_vgpr_workitem_id 0
		.amdhsa_next_free_vgpr 18
		.amdhsa_next_free_sgpr 9
		.amdhsa_named_barrier_count 0
		.amdhsa_reserve_vcc 1
		.amdhsa_float_round_mode_32 0
		.amdhsa_float_round_mode_16_64 0
		.amdhsa_float_denorm_mode_32 3
		.amdhsa_float_denorm_mode_16_64 3
		.amdhsa_fp16_overflow 0
		.amdhsa_memory_ordered 1
		.amdhsa_forward_progress 1
		.amdhsa_inst_pref_size 3
		.amdhsa_round_robin_scheduling 0
		.amdhsa_exception_fp_ieee_invalid_op 0
		.amdhsa_exception_fp_denorm_src 0
		.amdhsa_exception_fp_ieee_div_zero 0
		.amdhsa_exception_fp_ieee_overflow 0
		.amdhsa_exception_fp_ieee_underflow 0
		.amdhsa_exception_fp_ieee_inexact 0
		.amdhsa_exception_int_div_zero 0
	.end_amdhsa_kernel
	.section	.text._Z6kernelI14subtract_rightLj256ELj4ELb1EJPdS1_jEEvDpT3_,"axG",@progbits,_Z6kernelI14subtract_rightLj256ELj4ELb1EJPdS1_jEEvDpT3_,comdat
.Lfunc_end116:
	.size	_Z6kernelI14subtract_rightLj256ELj4ELb1EJPdS1_jEEvDpT3_, .Lfunc_end116-_Z6kernelI14subtract_rightLj256ELj4ELb1EJPdS1_jEEvDpT3_
                                        ; -- End function
	.set _Z6kernelI14subtract_rightLj256ELj4ELb1EJPdS1_jEEvDpT3_.num_vgpr, 18
	.set _Z6kernelI14subtract_rightLj256ELj4ELb1EJPdS1_jEEvDpT3_.num_agpr, 0
	.set _Z6kernelI14subtract_rightLj256ELj4ELb1EJPdS1_jEEvDpT3_.numbered_sgpr, 9
	.set _Z6kernelI14subtract_rightLj256ELj4ELb1EJPdS1_jEEvDpT3_.num_named_barrier, 0
	.set _Z6kernelI14subtract_rightLj256ELj4ELb1EJPdS1_jEEvDpT3_.private_seg_size, 0
	.set _Z6kernelI14subtract_rightLj256ELj4ELb1EJPdS1_jEEvDpT3_.uses_vcc, 1
	.set _Z6kernelI14subtract_rightLj256ELj4ELb1EJPdS1_jEEvDpT3_.uses_flat_scratch, 0
	.set _Z6kernelI14subtract_rightLj256ELj4ELb1EJPdS1_jEEvDpT3_.has_dyn_sized_stack, 0
	.set _Z6kernelI14subtract_rightLj256ELj4ELb1EJPdS1_jEEvDpT3_.has_recursion, 0
	.set _Z6kernelI14subtract_rightLj256ELj4ELb1EJPdS1_jEEvDpT3_.has_indirect_call, 0
	.section	.AMDGPU.csdata,"",@progbits
; Kernel info:
; codeLenInByte = 372
; TotalNumSgprs: 11
; NumVgprs: 18
; ScratchSize: 0
; MemoryBound: 0
; FloatMode: 240
; IeeeMode: 1
; LDSByteSize: 4096 bytes/workgroup (compile time only)
; SGPRBlocks: 0
; VGPRBlocks: 1
; NumSGPRsForWavesPerEU: 11
; NumVGPRsForWavesPerEU: 18
; NamedBarCnt: 0
; Occupancy: 16
; WaveLimiterHint : 1
; COMPUTE_PGM_RSRC2:SCRATCH_EN: 0
; COMPUTE_PGM_RSRC2:USER_SGPR: 2
; COMPUTE_PGM_RSRC2:TRAP_HANDLER: 0
; COMPUTE_PGM_RSRC2:TGID_X_EN: 1
; COMPUTE_PGM_RSRC2:TGID_Y_EN: 0
; COMPUTE_PGM_RSRC2:TGID_Z_EN: 0
; COMPUTE_PGM_RSRC2:TIDIG_COMP_CNT: 0
	.section	.text._Z6kernelI14subtract_rightLj256ELj8ELb1EJPdS1_jEEvDpT3_,"axG",@progbits,_Z6kernelI14subtract_rightLj256ELj8ELb1EJPdS1_jEEvDpT3_,comdat
	.protected	_Z6kernelI14subtract_rightLj256ELj8ELb1EJPdS1_jEEvDpT3_ ; -- Begin function _Z6kernelI14subtract_rightLj256ELj8ELb1EJPdS1_jEEvDpT3_
	.globl	_Z6kernelI14subtract_rightLj256ELj8ELb1EJPdS1_jEEvDpT3_
	.p2align	8
	.type	_Z6kernelI14subtract_rightLj256ELj8ELb1EJPdS1_jEEvDpT3_,@function
_Z6kernelI14subtract_rightLj256ELj8ELb1EJPdS1_jEEvDpT3_: ; @_Z6kernelI14subtract_rightLj256ELj8ELb1EJPdS1_jEEvDpT3_
; %bb.0:
	s_load_b128 s[4:7], s[0:1], 0x0
	s_bfe_u32 s2, ttmp6, 0x4000c
	s_and_b32 s3, ttmp6, 15
	s_add_co_i32 s2, s2, 1
	s_getreg_b32 s8, hwreg(HW_REG_IB_STS2, 6, 4)
	s_mul_i32 s2, ttmp9, s2
	s_wait_xcnt 0x0
	s_load_b32 s0, s[0:1], 0x10
	s_add_co_i32 s3, s3, s2
	s_cmp_eq_u32 s8, 0
	s_cselect_b32 s2, ttmp9, s3
	s_mov_b32 s3, 0
	s_lshl_b32 s2, s2, 11
	s_delay_alu instid0(SALU_CYCLE_1)
	s_lshl_b64 s[2:3], s[2:3], 3
	s_wait_kmcnt 0x0
	s_add_nc_u64 s[4:5], s[4:5], s[2:3]
	s_clause 0x7
	global_load_b64 v[16:17], v0, s[4:5] scale_offset
	global_load_b64 v[14:15], v0, s[4:5] offset:2048 scale_offset
	global_load_b64 v[12:13], v0, s[4:5] offset:4096 scale_offset
	;; [unrolled: 1-line block ×7, first 2 shown]
	s_cmp_eq_u32 s0, 0
	s_cbranch_scc1 .LBB117_5
; %bb.1:
	v_lshlrev_b32_e32 v1, 3, v0
	v_cmp_ne_u32_e32 vcc_lo, 0xff, v0
	s_branch .LBB117_3
.LBB117_2:                              ;   in Loop: Header=BB117_3 Depth=1
	s_or_b32 exec_lo, exec_lo, s1
	v_add_f64_e64 v[20:21], v[16:17], -v[14:15]
	v_add_f64_e64 v[22:23], v[14:15], -v[12:13]
	;; [unrolled: 1-line block ×7, first 2 shown]
	s_wait_dscnt 0x0
	v_add_f64_e64 v[18:19], v[2:3], -v[18:19]
	s_add_co_i32 s0, s0, -1
	s_delay_alu instid0(SALU_CYCLE_1)
	s_cmp_lg_u32 s0, 0
	s_barrier_signal -1
	s_barrier_wait -1
	v_add_f64_e32 v[16:17], v[16:17], v[20:21]
	v_add_f64_e32 v[14:15], v[14:15], v[22:23]
	;; [unrolled: 1-line block ×8, first 2 shown]
	s_cbranch_scc0 .LBB117_5
.LBB117_3:                              ; =>This Inner Loop Header: Depth=1
	v_mov_b64_e32 v[18:19], 0x405ec00000000000
	s_wait_loadcnt 0x7
	ds_store_b64 v1, v[16:17] offset:2048
	s_wait_loadcnt_dscnt 0x0
	s_barrier_signal -1
	s_barrier_wait -1
	s_and_saveexec_b32 s1, vcc_lo
	s_cbranch_execz .LBB117_2
; %bb.4:                                ;   in Loop: Header=BB117_3 Depth=1
	ds_load_b64 v[18:19], v1 offset:2056
	s_branch .LBB117_2
.LBB117_5:
	s_add_nc_u64 s[0:1], s[6:7], s[2:3]
	s_wait_loadcnt 0x7
	global_store_b64 v0, v[16:17], s[0:1] scale_offset
	s_wait_loadcnt 0x6
	global_store_b64 v0, v[14:15], s[0:1] offset:2048 scale_offset
	s_wait_loadcnt 0x5
	global_store_b64 v0, v[12:13], s[0:1] offset:4096 scale_offset
	;; [unrolled: 2-line block ×7, first 2 shown]
	s_endpgm
	.section	.rodata,"a",@progbits
	.p2align	6, 0x0
	.amdhsa_kernel _Z6kernelI14subtract_rightLj256ELj8ELb1EJPdS1_jEEvDpT3_
		.amdhsa_group_segment_fixed_size 4096
		.amdhsa_private_segment_fixed_size 0
		.amdhsa_kernarg_size 20
		.amdhsa_user_sgpr_count 2
		.amdhsa_user_sgpr_dispatch_ptr 0
		.amdhsa_user_sgpr_queue_ptr 0
		.amdhsa_user_sgpr_kernarg_segment_ptr 1
		.amdhsa_user_sgpr_dispatch_id 0
		.amdhsa_user_sgpr_kernarg_preload_length 0
		.amdhsa_user_sgpr_kernarg_preload_offset 0
		.amdhsa_user_sgpr_private_segment_size 0
		.amdhsa_wavefront_size32 1
		.amdhsa_uses_dynamic_stack 0
		.amdhsa_enable_private_segment 0
		.amdhsa_system_sgpr_workgroup_id_x 1
		.amdhsa_system_sgpr_workgroup_id_y 0
		.amdhsa_system_sgpr_workgroup_id_z 0
		.amdhsa_system_sgpr_workgroup_info 0
		.amdhsa_system_vgpr_workitem_id 0
		.amdhsa_next_free_vgpr 34
		.amdhsa_next_free_sgpr 9
		.amdhsa_named_barrier_count 0
		.amdhsa_reserve_vcc 1
		.amdhsa_float_round_mode_32 0
		.amdhsa_float_round_mode_16_64 0
		.amdhsa_float_denorm_mode_32 3
		.amdhsa_float_denorm_mode_16_64 3
		.amdhsa_fp16_overflow 0
		.amdhsa_memory_ordered 1
		.amdhsa_forward_progress 1
		.amdhsa_inst_pref_size 5
		.amdhsa_round_robin_scheduling 0
		.amdhsa_exception_fp_ieee_invalid_op 0
		.amdhsa_exception_fp_denorm_src 0
		.amdhsa_exception_fp_ieee_div_zero 0
		.amdhsa_exception_fp_ieee_overflow 0
		.amdhsa_exception_fp_ieee_underflow 0
		.amdhsa_exception_fp_ieee_inexact 0
		.amdhsa_exception_int_div_zero 0
	.end_amdhsa_kernel
	.section	.text._Z6kernelI14subtract_rightLj256ELj8ELb1EJPdS1_jEEvDpT3_,"axG",@progbits,_Z6kernelI14subtract_rightLj256ELj8ELb1EJPdS1_jEEvDpT3_,comdat
.Lfunc_end117:
	.size	_Z6kernelI14subtract_rightLj256ELj8ELb1EJPdS1_jEEvDpT3_, .Lfunc_end117-_Z6kernelI14subtract_rightLj256ELj8ELb1EJPdS1_jEEvDpT3_
                                        ; -- End function
	.set _Z6kernelI14subtract_rightLj256ELj8ELb1EJPdS1_jEEvDpT3_.num_vgpr, 34
	.set _Z6kernelI14subtract_rightLj256ELj8ELb1EJPdS1_jEEvDpT3_.num_agpr, 0
	.set _Z6kernelI14subtract_rightLj256ELj8ELb1EJPdS1_jEEvDpT3_.numbered_sgpr, 9
	.set _Z6kernelI14subtract_rightLj256ELj8ELb1EJPdS1_jEEvDpT3_.num_named_barrier, 0
	.set _Z6kernelI14subtract_rightLj256ELj8ELb1EJPdS1_jEEvDpT3_.private_seg_size, 0
	.set _Z6kernelI14subtract_rightLj256ELj8ELb1EJPdS1_jEEvDpT3_.uses_vcc, 1
	.set _Z6kernelI14subtract_rightLj256ELj8ELb1EJPdS1_jEEvDpT3_.uses_flat_scratch, 0
	.set _Z6kernelI14subtract_rightLj256ELj8ELb1EJPdS1_jEEvDpT3_.has_dyn_sized_stack, 0
	.set _Z6kernelI14subtract_rightLj256ELj8ELb1EJPdS1_jEEvDpT3_.has_recursion, 0
	.set _Z6kernelI14subtract_rightLj256ELj8ELb1EJPdS1_jEEvDpT3_.has_indirect_call, 0
	.section	.AMDGPU.csdata,"",@progbits
; Kernel info:
; codeLenInByte = 524
; TotalNumSgprs: 11
; NumVgprs: 34
; ScratchSize: 0
; MemoryBound: 0
; FloatMode: 240
; IeeeMode: 1
; LDSByteSize: 4096 bytes/workgroup (compile time only)
; SGPRBlocks: 0
; VGPRBlocks: 2
; NumSGPRsForWavesPerEU: 11
; NumVGPRsForWavesPerEU: 34
; NamedBarCnt: 0
; Occupancy: 16
; WaveLimiterHint : 1
; COMPUTE_PGM_RSRC2:SCRATCH_EN: 0
; COMPUTE_PGM_RSRC2:USER_SGPR: 2
; COMPUTE_PGM_RSRC2:TRAP_HANDLER: 0
; COMPUTE_PGM_RSRC2:TGID_X_EN: 1
; COMPUTE_PGM_RSRC2:TGID_Y_EN: 0
; COMPUTE_PGM_RSRC2:TGID_Z_EN: 0
; COMPUTE_PGM_RSRC2:TIDIG_COMP_CNT: 0
	.section	.text._Z6kernelI14subtract_rightLj256ELj16ELb1EJPdS1_jEEvDpT3_,"axG",@progbits,_Z6kernelI14subtract_rightLj256ELj16ELb1EJPdS1_jEEvDpT3_,comdat
	.protected	_Z6kernelI14subtract_rightLj256ELj16ELb1EJPdS1_jEEvDpT3_ ; -- Begin function _Z6kernelI14subtract_rightLj256ELj16ELb1EJPdS1_jEEvDpT3_
	.globl	_Z6kernelI14subtract_rightLj256ELj16ELb1EJPdS1_jEEvDpT3_
	.p2align	8
	.type	_Z6kernelI14subtract_rightLj256ELj16ELb1EJPdS1_jEEvDpT3_,@function
_Z6kernelI14subtract_rightLj256ELj16ELb1EJPdS1_jEEvDpT3_: ; @_Z6kernelI14subtract_rightLj256ELj16ELb1EJPdS1_jEEvDpT3_
; %bb.0:
	s_load_b128 s[4:7], s[0:1], 0x0
	s_bfe_u32 s2, ttmp6, 0x4000c
	s_and_b32 s3, ttmp6, 15
	s_add_co_i32 s2, s2, 1
	s_getreg_b32 s8, hwreg(HW_REG_IB_STS2, 6, 4)
	s_mul_i32 s2, ttmp9, s2
	s_wait_xcnt 0x0
	s_load_b32 s0, s[0:1], 0x10
	s_add_co_i32 s3, s3, s2
	s_cmp_eq_u32 s8, 0
	s_cselect_b32 s2, ttmp9, s3
	s_mov_b32 s3, 0
	s_lshl_b32 s2, s2, 12
	s_delay_alu instid0(SALU_CYCLE_1)
	s_lshl_b64 s[2:3], s[2:3], 3
	s_wait_kmcnt 0x0
	s_add_nc_u64 s[4:5], s[4:5], s[2:3]
	s_clause 0xf
	global_load_b64 v[32:33], v0, s[4:5] scale_offset
	global_load_b64 v[30:31], v0, s[4:5] offset:2048 scale_offset
	global_load_b64 v[28:29], v0, s[4:5] offset:4096 scale_offset
	;; [unrolled: 1-line block ×15, first 2 shown]
	s_cmp_eq_u32 s0, 0
	s_cbranch_scc1 .LBB118_5
; %bb.1:
	v_lshlrev_b32_e32 v1, 3, v0
	v_cmp_ne_u32_e32 vcc_lo, 0xff, v0
	s_branch .LBB118_3
.LBB118_2:                              ;   in Loop: Header=BB118_3 Depth=1
	s_or_b32 exec_lo, exec_lo, s1
	v_add_f64_e64 v[36:37], v[32:33], -v[30:31]
	v_add_f64_e64 v[38:39], v[30:31], -v[28:29]
	;; [unrolled: 1-line block ×13, first 2 shown]
	s_wait_dscnt 0x0
	v_add_f64_e64 v[34:35], v[2:3], -v[34:35]
	s_add_co_i32 s0, s0, -1
	s_delay_alu instid0(SALU_CYCLE_1)
	s_cmp_lg_u32 s0, 0
	s_barrier_signal -1
	s_barrier_wait -1
	v_add_f64_e32 v[32:33], v[32:33], v[36:37]
	v_add_f64_e64 v[36:37], v[6:7], -v[4:5]
	v_add_f64_e32 v[30:31], v[30:31], v[38:39]
	v_add_f64_e64 v[38:39], v[4:5], -v[2:3]
	v_add_f64_e32 v[28:29], v[28:29], v[40:41]
	v_add_f64_e32 v[26:27], v[26:27], v[42:43]
	;; [unrolled: 1-line block ×14, first 2 shown]
	s_cbranch_scc0 .LBB118_5
.LBB118_3:                              ; =>This Inner Loop Header: Depth=1
	v_mov_b64_e32 v[34:35], 0x405ec00000000000
	s_wait_loadcnt 0xf
	ds_store_b64 v1, v[32:33] offset:2048
	s_wait_loadcnt_dscnt 0x0
	s_barrier_signal -1
	s_barrier_wait -1
	s_and_saveexec_b32 s1, vcc_lo
	s_cbranch_execz .LBB118_2
; %bb.4:                                ;   in Loop: Header=BB118_3 Depth=1
	ds_load_b64 v[34:35], v1 offset:2056
	s_branch .LBB118_2
.LBB118_5:
	s_add_nc_u64 s[0:1], s[6:7], s[2:3]
	s_wait_loadcnt 0xf
	global_store_b64 v0, v[32:33], s[0:1] scale_offset
	s_wait_loadcnt 0xe
	global_store_b64 v0, v[30:31], s[0:1] offset:2048 scale_offset
	s_wait_loadcnt 0xd
	global_store_b64 v0, v[28:29], s[0:1] offset:4096 scale_offset
	s_wait_loadcnt 0xc
	global_store_b64 v0, v[26:27], s[0:1] offset:6144 scale_offset
	s_wait_loadcnt 0xb
	global_store_b64 v0, v[24:25], s[0:1] offset:8192 scale_offset
	s_wait_loadcnt 0xa
	global_store_b64 v0, v[22:23], s[0:1] offset:10240 scale_offset
	s_wait_loadcnt 0x9
	global_store_b64 v0, v[20:21], s[0:1] offset:12288 scale_offset
	s_wait_loadcnt 0x8
	global_store_b64 v0, v[18:19], s[0:1] offset:14336 scale_offset
	s_wait_loadcnt 0x7
	global_store_b64 v0, v[16:17], s[0:1] offset:16384 scale_offset
	s_wait_loadcnt 0x6
	global_store_b64 v0, v[14:15], s[0:1] offset:18432 scale_offset
	s_wait_loadcnt 0x5
	global_store_b64 v0, v[12:13], s[0:1] offset:20480 scale_offset
	s_wait_loadcnt 0x4
	global_store_b64 v0, v[10:11], s[0:1] offset:22528 scale_offset
	s_wait_loadcnt 0x3
	global_store_b64 v0, v[8:9], s[0:1] offset:24576 scale_offset
	s_wait_loadcnt 0x2
	global_store_b64 v0, v[6:7], s[0:1] offset:26624 scale_offset
	s_wait_loadcnt 0x1
	global_store_b64 v0, v[4:5], s[0:1] offset:28672 scale_offset
	s_wait_loadcnt 0x0
	global_store_b64 v0, v[2:3], s[0:1] offset:30720 scale_offset
	s_endpgm
	.section	.rodata,"a",@progbits
	.p2align	6, 0x0
	.amdhsa_kernel _Z6kernelI14subtract_rightLj256ELj16ELb1EJPdS1_jEEvDpT3_
		.amdhsa_group_segment_fixed_size 4096
		.amdhsa_private_segment_fixed_size 0
		.amdhsa_kernarg_size 20
		.amdhsa_user_sgpr_count 2
		.amdhsa_user_sgpr_dispatch_ptr 0
		.amdhsa_user_sgpr_queue_ptr 0
		.amdhsa_user_sgpr_kernarg_segment_ptr 1
		.amdhsa_user_sgpr_dispatch_id 0
		.amdhsa_user_sgpr_kernarg_preload_length 0
		.amdhsa_user_sgpr_kernarg_preload_offset 0
		.amdhsa_user_sgpr_private_segment_size 0
		.amdhsa_wavefront_size32 1
		.amdhsa_uses_dynamic_stack 0
		.amdhsa_enable_private_segment 0
		.amdhsa_system_sgpr_workgroup_id_x 1
		.amdhsa_system_sgpr_workgroup_id_y 0
		.amdhsa_system_sgpr_workgroup_id_z 0
		.amdhsa_system_sgpr_workgroup_info 0
		.amdhsa_system_vgpr_workitem_id 0
		.amdhsa_next_free_vgpr 62
		.amdhsa_next_free_sgpr 9
		.amdhsa_named_barrier_count 0
		.amdhsa_reserve_vcc 1
		.amdhsa_float_round_mode_32 0
		.amdhsa_float_round_mode_16_64 0
		.amdhsa_float_denorm_mode_32 3
		.amdhsa_float_denorm_mode_16_64 3
		.amdhsa_fp16_overflow 0
		.amdhsa_memory_ordered 1
		.amdhsa_forward_progress 1
		.amdhsa_inst_pref_size 7
		.amdhsa_round_robin_scheduling 0
		.amdhsa_exception_fp_ieee_invalid_op 0
		.amdhsa_exception_fp_denorm_src 0
		.amdhsa_exception_fp_ieee_div_zero 0
		.amdhsa_exception_fp_ieee_overflow 0
		.amdhsa_exception_fp_ieee_underflow 0
		.amdhsa_exception_fp_ieee_inexact 0
		.amdhsa_exception_int_div_zero 0
	.end_amdhsa_kernel
	.section	.text._Z6kernelI14subtract_rightLj256ELj16ELb1EJPdS1_jEEvDpT3_,"axG",@progbits,_Z6kernelI14subtract_rightLj256ELj16ELb1EJPdS1_jEEvDpT3_,comdat
.Lfunc_end118:
	.size	_Z6kernelI14subtract_rightLj256ELj16ELb1EJPdS1_jEEvDpT3_, .Lfunc_end118-_Z6kernelI14subtract_rightLj256ELj16ELb1EJPdS1_jEEvDpT3_
                                        ; -- End function
	.set _Z6kernelI14subtract_rightLj256ELj16ELb1EJPdS1_jEEvDpT3_.num_vgpr, 62
	.set _Z6kernelI14subtract_rightLj256ELj16ELb1EJPdS1_jEEvDpT3_.num_agpr, 0
	.set _Z6kernelI14subtract_rightLj256ELj16ELb1EJPdS1_jEEvDpT3_.numbered_sgpr, 9
	.set _Z6kernelI14subtract_rightLj256ELj16ELb1EJPdS1_jEEvDpT3_.num_named_barrier, 0
	.set _Z6kernelI14subtract_rightLj256ELj16ELb1EJPdS1_jEEvDpT3_.private_seg_size, 0
	.set _Z6kernelI14subtract_rightLj256ELj16ELb1EJPdS1_jEEvDpT3_.uses_vcc, 1
	.set _Z6kernelI14subtract_rightLj256ELj16ELb1EJPdS1_jEEvDpT3_.uses_flat_scratch, 0
	.set _Z6kernelI14subtract_rightLj256ELj16ELb1EJPdS1_jEEvDpT3_.has_dyn_sized_stack, 0
	.set _Z6kernelI14subtract_rightLj256ELj16ELb1EJPdS1_jEEvDpT3_.has_recursion, 0
	.set _Z6kernelI14subtract_rightLj256ELj16ELb1EJPdS1_jEEvDpT3_.has_indirect_call, 0
	.section	.AMDGPU.csdata,"",@progbits
; Kernel info:
; codeLenInByte = 844
; TotalNumSgprs: 11
; NumVgprs: 62
; ScratchSize: 0
; MemoryBound: 0
; FloatMode: 240
; IeeeMode: 1
; LDSByteSize: 4096 bytes/workgroup (compile time only)
; SGPRBlocks: 0
; VGPRBlocks: 3
; NumSGPRsForWavesPerEU: 11
; NumVGPRsForWavesPerEU: 62
; NamedBarCnt: 0
; Occupancy: 16
; WaveLimiterHint : 1
; COMPUTE_PGM_RSRC2:SCRATCH_EN: 0
; COMPUTE_PGM_RSRC2:USER_SGPR: 2
; COMPUTE_PGM_RSRC2:TRAP_HANDLER: 0
; COMPUTE_PGM_RSRC2:TGID_X_EN: 1
; COMPUTE_PGM_RSRC2:TGID_Y_EN: 0
; COMPUTE_PGM_RSRC2:TGID_Z_EN: 0
; COMPUTE_PGM_RSRC2:TIDIG_COMP_CNT: 0
	.section	.text._Z6kernelI14subtract_rightLj256ELj32ELb1EJPdS1_jEEvDpT3_,"axG",@progbits,_Z6kernelI14subtract_rightLj256ELj32ELb1EJPdS1_jEEvDpT3_,comdat
	.protected	_Z6kernelI14subtract_rightLj256ELj32ELb1EJPdS1_jEEvDpT3_ ; -- Begin function _Z6kernelI14subtract_rightLj256ELj32ELb1EJPdS1_jEEvDpT3_
	.globl	_Z6kernelI14subtract_rightLj256ELj32ELb1EJPdS1_jEEvDpT3_
	.p2align	8
	.type	_Z6kernelI14subtract_rightLj256ELj32ELb1EJPdS1_jEEvDpT3_,@function
_Z6kernelI14subtract_rightLj256ELj32ELb1EJPdS1_jEEvDpT3_: ; @_Z6kernelI14subtract_rightLj256ELj32ELb1EJPdS1_jEEvDpT3_
; %bb.0:
	s_load_b128 s[4:7], s[0:1], 0x0
	s_bfe_u32 s2, ttmp6, 0x4000c
	s_and_b32 s3, ttmp6, 15
	s_add_co_i32 s2, s2, 1
	s_getreg_b32 s8, hwreg(HW_REG_IB_STS2, 6, 4)
	s_mul_i32 s2, ttmp9, s2
	s_wait_xcnt 0x0
	s_load_b32 s0, s[0:1], 0x10
	s_add_co_i32 s3, s3, s2
	s_cmp_eq_u32 s8, 0
	s_cselect_b32 s2, ttmp9, s3
	s_mov_b32 s3, 0
	s_lshl_b32 s2, s2, 13
	s_delay_alu instid0(SALU_CYCLE_1)
	s_lshl_b64 s[2:3], s[2:3], 3
	s_wait_kmcnt 0x0
	s_add_nc_u64 s[4:5], s[4:5], s[2:3]
	s_clause 0x1f
	global_load_b64 v[52:53], v0, s[4:5] scale_offset
	global_load_b64 v[50:51], v0, s[4:5] offset:2048 scale_offset
	global_load_b64 v[48:49], v0, s[4:5] offset:4096 scale_offset
	;; [unrolled: 1-line block ×31, first 2 shown]
	s_cmp_eq_u32 s0, 0
	s_cbranch_scc1 .LBB119_5
; %bb.1:
	v_lshlrev_b32_e32 v1, 3, v0
	v_cmp_ne_u32_e32 vcc_lo, 0xff, v0
	s_branch .LBB119_3
.LBB119_2:                              ;   in Loop: Header=BB119_3 Depth=1
	s_or_b32 exec_lo, exec_lo, s1
	v_add_f64_e64 v[68:69], v[52:53], -v[50:51]
	v_add_f64_e64 v[70:71], v[50:51], -v[48:49]
	;; [unrolled: 1-line block ×5, first 2 shown]
	s_wait_dscnt 0x0
	v_add_f64_e64 v[66:67], v[54:55], -v[66:67]
	s_add_co_i32 s0, s0, -1
	s_delay_alu instid0(SALU_CYCLE_1)
	s_cmp_lg_u32 s0, 0
	s_barrier_signal -1
	s_barrier_wait -1
	v_add_f64_e32 v[52:53], v[52:53], v[68:69]
	v_add_f64_e64 v[68:69], v[42:43], -v[40:41]
	v_add_f64_e32 v[50:51], v[50:51], v[70:71]
	v_add_f64_e64 v[70:71], v[40:41], -v[38:39]
	;; [unrolled: 2-line block ×26, first 2 shown]
	v_add_f64_e32 v[64:65], v[64:65], v[70:71]
	v_add_f64_e32 v[54:55], v[54:55], v[66:67]
	;; [unrolled: 1-line block ×6, first 2 shown]
	s_cbranch_scc0 .LBB119_5
.LBB119_3:                              ; =>This Inner Loop Header: Depth=1
	v_mov_b64_e32 v[66:67], 0x405ec00000000000
	s_wait_loadcnt 0x1f
	ds_store_b64 v1, v[52:53] offset:2048
	s_wait_loadcnt_dscnt 0x0
	s_barrier_signal -1
	s_barrier_wait -1
	s_and_saveexec_b32 s1, vcc_lo
	s_cbranch_execz .LBB119_2
; %bb.4:                                ;   in Loop: Header=BB119_3 Depth=1
	ds_load_b64 v[66:67], v1 offset:2056
	s_branch .LBB119_2
.LBB119_5:
	s_add_nc_u64 s[0:1], s[6:7], s[2:3]
	s_wait_loadcnt 0x1f
	global_store_b64 v0, v[52:53], s[0:1] scale_offset
	s_wait_loadcnt 0x1e
	global_store_b64 v0, v[50:51], s[0:1] offset:2048 scale_offset
	s_wait_loadcnt 0x1d
	global_store_b64 v0, v[48:49], s[0:1] offset:4096 scale_offset
	;; [unrolled: 2-line block ×31, first 2 shown]
	s_sendmsg sendmsg(MSG_DEALLOC_VGPRS)
	s_endpgm
	.section	.rodata,"a",@progbits
	.p2align	6, 0x0
	.amdhsa_kernel _Z6kernelI14subtract_rightLj256ELj32ELb1EJPdS1_jEEvDpT3_
		.amdhsa_group_segment_fixed_size 4096
		.amdhsa_private_segment_fixed_size 0
		.amdhsa_kernarg_size 20
		.amdhsa_user_sgpr_count 2
		.amdhsa_user_sgpr_dispatch_ptr 0
		.amdhsa_user_sgpr_queue_ptr 0
		.amdhsa_user_sgpr_kernarg_segment_ptr 1
		.amdhsa_user_sgpr_dispatch_id 0
		.amdhsa_user_sgpr_kernarg_preload_length 0
		.amdhsa_user_sgpr_kernarg_preload_offset 0
		.amdhsa_user_sgpr_private_segment_size 0
		.amdhsa_wavefront_size32 1
		.amdhsa_uses_dynamic_stack 0
		.amdhsa_enable_private_segment 0
		.amdhsa_system_sgpr_workgroup_id_x 1
		.amdhsa_system_sgpr_workgroup_id_y 0
		.amdhsa_system_sgpr_workgroup_id_z 0
		.amdhsa_system_sgpr_workgroup_info 0
		.amdhsa_system_vgpr_workitem_id 0
		.amdhsa_next_free_vgpr 78
		.amdhsa_next_free_sgpr 9
		.amdhsa_named_barrier_count 0
		.amdhsa_reserve_vcc 1
		.amdhsa_float_round_mode_32 0
		.amdhsa_float_round_mode_16_64 0
		.amdhsa_float_denorm_mode_32 3
		.amdhsa_float_denorm_mode_16_64 3
		.amdhsa_fp16_overflow 0
		.amdhsa_memory_ordered 1
		.amdhsa_forward_progress 1
		.amdhsa_inst_pref_size 12
		.amdhsa_round_robin_scheduling 0
		.amdhsa_exception_fp_ieee_invalid_op 0
		.amdhsa_exception_fp_denorm_src 0
		.amdhsa_exception_fp_ieee_div_zero 0
		.amdhsa_exception_fp_ieee_overflow 0
		.amdhsa_exception_fp_ieee_underflow 0
		.amdhsa_exception_fp_ieee_inexact 0
		.amdhsa_exception_int_div_zero 0
	.end_amdhsa_kernel
	.section	.text._Z6kernelI14subtract_rightLj256ELj32ELb1EJPdS1_jEEvDpT3_,"axG",@progbits,_Z6kernelI14subtract_rightLj256ELj32ELb1EJPdS1_jEEvDpT3_,comdat
.Lfunc_end119:
	.size	_Z6kernelI14subtract_rightLj256ELj32ELb1EJPdS1_jEEvDpT3_, .Lfunc_end119-_Z6kernelI14subtract_rightLj256ELj32ELb1EJPdS1_jEEvDpT3_
                                        ; -- End function
	.set _Z6kernelI14subtract_rightLj256ELj32ELb1EJPdS1_jEEvDpT3_.num_vgpr, 78
	.set _Z6kernelI14subtract_rightLj256ELj32ELb1EJPdS1_jEEvDpT3_.num_agpr, 0
	.set _Z6kernelI14subtract_rightLj256ELj32ELb1EJPdS1_jEEvDpT3_.numbered_sgpr, 9
	.set _Z6kernelI14subtract_rightLj256ELj32ELb1EJPdS1_jEEvDpT3_.num_named_barrier, 0
	.set _Z6kernelI14subtract_rightLj256ELj32ELb1EJPdS1_jEEvDpT3_.private_seg_size, 0
	.set _Z6kernelI14subtract_rightLj256ELj32ELb1EJPdS1_jEEvDpT3_.uses_vcc, 1
	.set _Z6kernelI14subtract_rightLj256ELj32ELb1EJPdS1_jEEvDpT3_.uses_flat_scratch, 0
	.set _Z6kernelI14subtract_rightLj256ELj32ELb1EJPdS1_jEEvDpT3_.has_dyn_sized_stack, 0
	.set _Z6kernelI14subtract_rightLj256ELj32ELb1EJPdS1_jEEvDpT3_.has_recursion, 0
	.set _Z6kernelI14subtract_rightLj256ELj32ELb1EJPdS1_jEEvDpT3_.has_indirect_call, 0
	.section	.AMDGPU.csdata,"",@progbits
; Kernel info:
; codeLenInByte = 1488
; TotalNumSgprs: 11
; NumVgprs: 78
; ScratchSize: 0
; MemoryBound: 0
; FloatMode: 240
; IeeeMode: 1
; LDSByteSize: 4096 bytes/workgroup (compile time only)
; SGPRBlocks: 0
; VGPRBlocks: 4
; NumSGPRsForWavesPerEU: 11
; NumVGPRsForWavesPerEU: 78
; NamedBarCnt: 0
; Occupancy: 12
; WaveLimiterHint : 1
; COMPUTE_PGM_RSRC2:SCRATCH_EN: 0
; COMPUTE_PGM_RSRC2:USER_SGPR: 2
; COMPUTE_PGM_RSRC2:TRAP_HANDLER: 0
; COMPUTE_PGM_RSRC2:TGID_X_EN: 1
; COMPUTE_PGM_RSRC2:TGID_Y_EN: 0
; COMPUTE_PGM_RSRC2:TGID_Z_EN: 0
; COMPUTE_PGM_RSRC2:TIDIG_COMP_CNT: 0
	.section	.text._Z6kernelI26subtract_left_partial_tileLj256ELj1ELb0EJPiS1_S1_jEEvDpT3_,"axG",@progbits,_Z6kernelI26subtract_left_partial_tileLj256ELj1ELb0EJPiS1_S1_jEEvDpT3_,comdat
	.protected	_Z6kernelI26subtract_left_partial_tileLj256ELj1ELb0EJPiS1_S1_jEEvDpT3_ ; -- Begin function _Z6kernelI26subtract_left_partial_tileLj256ELj1ELb0EJPiS1_S1_jEEvDpT3_
	.globl	_Z6kernelI26subtract_left_partial_tileLj256ELj1ELb0EJPiS1_S1_jEEvDpT3_
	.p2align	8
	.type	_Z6kernelI26subtract_left_partial_tileLj256ELj1ELb0EJPiS1_S1_jEEvDpT3_,@function
_Z6kernelI26subtract_left_partial_tileLj256ELj1ELb0EJPiS1_S1_jEEvDpT3_: ; @_Z6kernelI26subtract_left_partial_tileLj256ELj1ELb0EJPiS1_S1_jEEvDpT3_
; %bb.0:
	s_load_b128 s[8:11], s[0:1], 0x0
	s_bfe_u32 s2, ttmp6, 0x4000c
	s_and_b32 s3, ttmp6, 15
	s_add_co_i32 s2, s2, 1
	s_getreg_b32 s4, hwreg(HW_REG_IB_STS2, 6, 4)
	s_mul_i32 s2, ttmp9, s2
	v_cmp_ne_u32_e32 vcc_lo, 0, v0
	s_add_co_i32 s3, s3, s2
	s_cmp_eq_u32 s4, 0
	s_cselect_b32 s12, ttmp9, s3
	s_mov_b32 s3, 0
	s_lshl_b32 s2, s12, 8
	s_delay_alu instid0(SALU_CYCLE_1)
	s_lshl_b64 s[4:5], s[2:3], 2
	s_wait_xcnt 0x0
	s_load_b96 s[0:2], s[0:1], 0x10
	s_wait_kmcnt 0x0
	s_add_nc_u64 s[6:7], s[8:9], s[4:5]
	global_load_b32 v1, v0, s[6:7] scale_offset
	s_cvt_f32_u32 s3, s2
	s_wait_xcnt 0x0
	s_sub_co_i32 s6, 0, s2
	s_delay_alu instid0(SALU_CYCLE_1) | instskip(SKIP_1) | instid1(TRANS32_DEP_1)
	v_rcp_iflag_f32_e32 v2, s3
	v_nop
	v_readfirstlane_b32 s3, v2
	v_lshlrev_b32_e32 v2, 2, v0
	s_mul_f32 s3, s3, 0x4f7ffffe
	s_delay_alu instid0(VALU_DEP_1) | instskip(NEXT) | instid1(SALU_CYCLE_2)
	v_add_nc_u32_e32 v3, -4, v2
	s_cvt_u32_f32 s3, s3
	s_delay_alu instid0(SALU_CYCLE_3) | instskip(NEXT) | instid1(SALU_CYCLE_1)
	s_mul_i32 s6, s6, s3
	s_mul_hi_u32 s6, s3, s6
	s_delay_alu instid0(SALU_CYCLE_1) | instskip(SKIP_2) | instid1(SALU_CYCLE_1)
	s_add_co_i32 s6, s3, s6
	s_load_b32 s3, s[10:11], s12 offset:0x0 scale_offset
	s_lshr_b32 s7, s6, 24
	s_mul_i32 s6, s7, s2
	s_add_co_i32 s9, s7, 1
	s_sub_co_i32 s8, 0x100, s6
	s_mov_b32 s6, s0
	s_wait_xcnt 0x0
	s_sub_co_i32 s10, s8, s2
	s_cmp_ge_u32 s8, s2
	s_cselect_b32 s0, s9, s7
	s_cselect_b32 s7, s10, s8
	s_add_co_i32 s8, s0, 1
	s_cmp_ge_u32 s7, s2
	s_mov_b32 s7, s1
	s_cselect_b32 s0, s8, s0
	s_delay_alu instid0(SALU_CYCLE_1)
	s_add_co_i32 s1, s0, 1
	s_branch .LBB120_2
.LBB120_1:                              ;   in Loop: Header=BB120_2 Depth=1
	s_or_b32 exec_lo, exec_lo, s0
	s_add_co_i32 s0, s1, s3
	s_delay_alu instid0(VALU_DEP_1)
	v_add_nc_u32_e32 v1, v4, v1
	s_add_co_i32 s2, s2, -1
	s_and_b32 s3, s0, 0xff
	s_cmp_lg_u32 s2, 0
	s_barrier_signal -1
	s_barrier_wait -1
	s_cbranch_scc0 .LBB120_4
.LBB120_2:                              ; =>This Inner Loop Header: Depth=1
	s_wait_kmcnt 0x0
	v_cmp_gt_u32_e64 s0, s3, v0
	s_wait_loadcnt 0x0
	v_mov_b32_e32 v4, v1
	ds_store_b32 v2, v1
	s_wait_dscnt 0x0
	s_barrier_signal -1
	s_and_b32 s8, vcc_lo, s0
	s_barrier_wait -1
	s_and_saveexec_b32 s0, s8
	s_cbranch_execz .LBB120_1
; %bb.3:                                ;   in Loop: Header=BB120_2 Depth=1
	ds_load_b32 v4, v3
	s_wait_dscnt 0x0
	v_sub_nc_u32_e32 v4, v1, v4
	s_branch .LBB120_1
.LBB120_4:
	s_add_nc_u64 s[0:1], s[6:7], s[4:5]
	global_store_b32 v0, v1, s[0:1] scale_offset
	s_endpgm
	.section	.rodata,"a",@progbits
	.p2align	6, 0x0
	.amdhsa_kernel _Z6kernelI26subtract_left_partial_tileLj256ELj1ELb0EJPiS1_S1_jEEvDpT3_
		.amdhsa_group_segment_fixed_size 2048
		.amdhsa_private_segment_fixed_size 0
		.amdhsa_kernarg_size 28
		.amdhsa_user_sgpr_count 2
		.amdhsa_user_sgpr_dispatch_ptr 0
		.amdhsa_user_sgpr_queue_ptr 0
		.amdhsa_user_sgpr_kernarg_segment_ptr 1
		.amdhsa_user_sgpr_dispatch_id 0
		.amdhsa_user_sgpr_kernarg_preload_length 0
		.amdhsa_user_sgpr_kernarg_preload_offset 0
		.amdhsa_user_sgpr_private_segment_size 0
		.amdhsa_wavefront_size32 1
		.amdhsa_uses_dynamic_stack 0
		.amdhsa_enable_private_segment 0
		.amdhsa_system_sgpr_workgroup_id_x 1
		.amdhsa_system_sgpr_workgroup_id_y 0
		.amdhsa_system_sgpr_workgroup_id_z 0
		.amdhsa_system_sgpr_workgroup_info 0
		.amdhsa_system_vgpr_workitem_id 0
		.amdhsa_next_free_vgpr 5
		.amdhsa_next_free_sgpr 13
		.amdhsa_named_barrier_count 0
		.amdhsa_reserve_vcc 1
		.amdhsa_float_round_mode_32 0
		.amdhsa_float_round_mode_16_64 0
		.amdhsa_float_denorm_mode_32 3
		.amdhsa_float_denorm_mode_16_64 3
		.amdhsa_fp16_overflow 0
		.amdhsa_memory_ordered 1
		.amdhsa_forward_progress 1
		.amdhsa_inst_pref_size 3
		.amdhsa_round_robin_scheduling 0
		.amdhsa_exception_fp_ieee_invalid_op 0
		.amdhsa_exception_fp_denorm_src 0
		.amdhsa_exception_fp_ieee_div_zero 0
		.amdhsa_exception_fp_ieee_overflow 0
		.amdhsa_exception_fp_ieee_underflow 0
		.amdhsa_exception_fp_ieee_inexact 0
		.amdhsa_exception_int_div_zero 0
	.end_amdhsa_kernel
	.section	.text._Z6kernelI26subtract_left_partial_tileLj256ELj1ELb0EJPiS1_S1_jEEvDpT3_,"axG",@progbits,_Z6kernelI26subtract_left_partial_tileLj256ELj1ELb0EJPiS1_S1_jEEvDpT3_,comdat
.Lfunc_end120:
	.size	_Z6kernelI26subtract_left_partial_tileLj256ELj1ELb0EJPiS1_S1_jEEvDpT3_, .Lfunc_end120-_Z6kernelI26subtract_left_partial_tileLj256ELj1ELb0EJPiS1_S1_jEEvDpT3_
                                        ; -- End function
	.set _Z6kernelI26subtract_left_partial_tileLj256ELj1ELb0EJPiS1_S1_jEEvDpT3_.num_vgpr, 5
	.set _Z6kernelI26subtract_left_partial_tileLj256ELj1ELb0EJPiS1_S1_jEEvDpT3_.num_agpr, 0
	.set _Z6kernelI26subtract_left_partial_tileLj256ELj1ELb0EJPiS1_S1_jEEvDpT3_.numbered_sgpr, 13
	.set _Z6kernelI26subtract_left_partial_tileLj256ELj1ELb0EJPiS1_S1_jEEvDpT3_.num_named_barrier, 0
	.set _Z6kernelI26subtract_left_partial_tileLj256ELj1ELb0EJPiS1_S1_jEEvDpT3_.private_seg_size, 0
	.set _Z6kernelI26subtract_left_partial_tileLj256ELj1ELb0EJPiS1_S1_jEEvDpT3_.uses_vcc, 1
	.set _Z6kernelI26subtract_left_partial_tileLj256ELj1ELb0EJPiS1_S1_jEEvDpT3_.uses_flat_scratch, 0
	.set _Z6kernelI26subtract_left_partial_tileLj256ELj1ELb0EJPiS1_S1_jEEvDpT3_.has_dyn_sized_stack, 0
	.set _Z6kernelI26subtract_left_partial_tileLj256ELj1ELb0EJPiS1_S1_jEEvDpT3_.has_recursion, 0
	.set _Z6kernelI26subtract_left_partial_tileLj256ELj1ELb0EJPiS1_S1_jEEvDpT3_.has_indirect_call, 0
	.section	.AMDGPU.csdata,"",@progbits
; Kernel info:
; codeLenInByte = 384
; TotalNumSgprs: 15
; NumVgprs: 5
; ScratchSize: 0
; MemoryBound: 0
; FloatMode: 240
; IeeeMode: 1
; LDSByteSize: 2048 bytes/workgroup (compile time only)
; SGPRBlocks: 0
; VGPRBlocks: 0
; NumSGPRsForWavesPerEU: 15
; NumVGPRsForWavesPerEU: 5
; NamedBarCnt: 0
; Occupancy: 16
; WaveLimiterHint : 0
; COMPUTE_PGM_RSRC2:SCRATCH_EN: 0
; COMPUTE_PGM_RSRC2:USER_SGPR: 2
; COMPUTE_PGM_RSRC2:TRAP_HANDLER: 0
; COMPUTE_PGM_RSRC2:TGID_X_EN: 1
; COMPUTE_PGM_RSRC2:TGID_Y_EN: 0
; COMPUTE_PGM_RSRC2:TGID_Z_EN: 0
; COMPUTE_PGM_RSRC2:TIDIG_COMP_CNT: 0
	.section	.text._Z6kernelI26subtract_left_partial_tileLj256ELj3ELb0EJPiS1_S1_jEEvDpT3_,"axG",@progbits,_Z6kernelI26subtract_left_partial_tileLj256ELj3ELb0EJPiS1_S1_jEEvDpT3_,comdat
	.protected	_Z6kernelI26subtract_left_partial_tileLj256ELj3ELb0EJPiS1_S1_jEEvDpT3_ ; -- Begin function _Z6kernelI26subtract_left_partial_tileLj256ELj3ELb0EJPiS1_S1_jEEvDpT3_
	.globl	_Z6kernelI26subtract_left_partial_tileLj256ELj3ELb0EJPiS1_S1_jEEvDpT3_
	.p2align	8
	.type	_Z6kernelI26subtract_left_partial_tileLj256ELj3ELb0EJPiS1_S1_jEEvDpT3_,@function
_Z6kernelI26subtract_left_partial_tileLj256ELj3ELb0EJPiS1_S1_jEEvDpT3_: ; @_Z6kernelI26subtract_left_partial_tileLj256ELj3ELb0EJPiS1_S1_jEEvDpT3_
; %bb.0:
	s_load_b128 s[8:11], s[0:1], 0x0
	s_bfe_u32 s2, ttmp6, 0x4000c
	s_and_b32 s3, ttmp6, 15
	s_add_co_i32 s2, s2, 1
	s_getreg_b32 s4, hwreg(HW_REG_IB_STS2, 6, 4)
	s_mul_i32 s2, ttmp9, s2
	v_mul_u32_u24_e32 v5, 3, v0
	s_add_co_i32 s3, s3, s2
	s_cmp_eq_u32 s4, 0
	v_mad_u32_u24 v6, v0, 3, 2
	s_cselect_b32 s12, ttmp9, s3
	s_mov_b32 s3, 0
	s_mul_i32 s2, s12, 0x300
	v_mad_u32_u24 v7, v0, 3, 1
	s_lshl_b64 s[4:5], s[2:3], 2
	s_wait_xcnt 0x0
	s_load_b96 s[0:2], s[0:1], 0x10
	v_cmp_ne_u32_e32 vcc_lo, 0, v0
	s_wait_kmcnt 0x0
	s_add_nc_u64 s[6:7], s[8:9], s[4:5]
	s_clause 0x2
	global_load_b32 v1, v0, s[6:7] scale_offset
	global_load_b32 v2, v0, s[6:7] offset:1024 scale_offset
	global_load_b32 v3, v0, s[6:7] offset:2048 scale_offset
	s_cvt_f32_u32 s3, s2
	s_wait_xcnt 0x0
	s_sub_co_i32 s6, 0, s2
	s_delay_alu instid0(SALU_CYCLE_1) | instskip(SKIP_1) | instid1(TRANS32_DEP_1)
	v_rcp_iflag_f32_e32 v4, s3
	v_nop
	v_readfirstlane_b32 s3, v4
	v_lshlrev_b32_e32 v4, 2, v0
	s_mul_f32 s3, s3, 0x4f7ffffe
	s_delay_alu instid0(VALU_DEP_1) | instskip(NEXT) | instid1(SALU_CYCLE_2)
	v_add_nc_u32_e32 v8, -4, v4
	s_cvt_u32_f32 s3, s3
	s_delay_alu instid0(SALU_CYCLE_3) | instskip(NEXT) | instid1(SALU_CYCLE_1)
	s_mul_i32 s6, s6, s3
	s_mul_hi_u32 s6, s3, s6
	s_delay_alu instid0(SALU_CYCLE_1) | instskip(NEXT) | instid1(SALU_CYCLE_1)
	s_add_co_i32 s3, s3, s6
	s_mul_hi_u32 s7, s3, 0x300
	s_load_b32 s3, s[10:11], s12 offset:0x0 scale_offset
	s_mul_i32 s6, s7, s2
	s_add_co_i32 s9, s7, 1
	s_sub_co_i32 s8, 0x300, s6
	s_mov_b32 s6, s0
	s_wait_xcnt 0x0
	s_sub_co_i32 s10, s8, s2
	s_cmp_ge_u32 s8, s2
	s_cselect_b32 s0, s9, s7
	s_cselect_b32 s7, s10, s8
	s_add_co_i32 s8, s0, 1
	s_cmp_ge_u32 s7, s2
	s_mov_b32 s7, s1
	s_cselect_b32 s0, s8, s0
	s_delay_alu instid0(SALU_CYCLE_1)
	s_add_co_i32 s1, s0, 1
	s_branch .LBB121_2
.LBB121_1:                              ;   in Loop: Header=BB121_2 Depth=1
	s_or_b32 exec_lo, exec_lo, s0
	s_add_co_i32 s0, s1, s3
	s_delay_alu instid0(VALU_DEP_1)
	v_dual_add_nc_u32 v1, v11, v1 :: v_dual_add_nc_u32 v2, v10, v2
	s_mul_hi_u32 s3, s0, 0xaaaaaaab
	v_add_nc_u32_e32 v3, v9, v3
	s_lshr_b32 s3, s3, 9
	s_add_co_i32 s2, s2, -1
	s_mulk_i32 s3, 0x300
	s_delay_alu instid0(SALU_CYCLE_1)
	s_sub_co_i32 s3, s0, s3
	s_cmp_lg_u32 s2, 0
	s_barrier_signal -1
	s_barrier_wait -1
	s_cbranch_scc0 .LBB121_4
.LBB121_2:                              ; =>This Inner Loop Header: Depth=1
	s_wait_loadcnt 0x0
	v_dual_sub_nc_u32 v9, v3, v2 :: v_dual_sub_nc_u32 v10, v2, v1
	s_wait_kmcnt 0x0
	v_cmp_gt_u32_e64 s0, s3, v6
	v_mov_b32_e32 v11, v1
	ds_store_b32 v4, v3
	s_wait_dscnt 0x0
	s_barrier_signal -1
	v_cndmask_b32_e64 v9, v3, v9, s0
	v_cmp_gt_u32_e64 s0, s3, v7
	s_barrier_wait -1
	s_delay_alu instid0(VALU_DEP_1) | instskip(SKIP_2) | instid1(SALU_CYCLE_1)
	v_cndmask_b32_e64 v10, v2, v10, s0
	v_cmp_gt_u32_e64 s0, s3, v5
	s_and_b32 s8, vcc_lo, s0
	s_and_saveexec_b32 s0, s8
	s_cbranch_execz .LBB121_1
; %bb.3:                                ;   in Loop: Header=BB121_2 Depth=1
	ds_load_b32 v11, v8
	s_wait_dscnt 0x0
	v_sub_nc_u32_e32 v11, v1, v11
	s_branch .LBB121_1
.LBB121_4:
	s_add_nc_u64 s[0:1], s[6:7], s[4:5]
	s_clause 0x2
	global_store_b32 v0, v1, s[0:1] scale_offset
	global_store_b32 v0, v2, s[0:1] offset:1024 scale_offset
	global_store_b32 v0, v3, s[0:1] offset:2048 scale_offset
	s_endpgm
	.section	.rodata,"a",@progbits
	.p2align	6, 0x0
	.amdhsa_kernel _Z6kernelI26subtract_left_partial_tileLj256ELj3ELb0EJPiS1_S1_jEEvDpT3_
		.amdhsa_group_segment_fixed_size 2048
		.amdhsa_private_segment_fixed_size 0
		.amdhsa_kernarg_size 28
		.amdhsa_user_sgpr_count 2
		.amdhsa_user_sgpr_dispatch_ptr 0
		.amdhsa_user_sgpr_queue_ptr 0
		.amdhsa_user_sgpr_kernarg_segment_ptr 1
		.amdhsa_user_sgpr_dispatch_id 0
		.amdhsa_user_sgpr_kernarg_preload_length 0
		.amdhsa_user_sgpr_kernarg_preload_offset 0
		.amdhsa_user_sgpr_private_segment_size 0
		.amdhsa_wavefront_size32 1
		.amdhsa_uses_dynamic_stack 0
		.amdhsa_enable_private_segment 0
		.amdhsa_system_sgpr_workgroup_id_x 1
		.amdhsa_system_sgpr_workgroup_id_y 0
		.amdhsa_system_sgpr_workgroup_id_z 0
		.amdhsa_system_sgpr_workgroup_info 0
		.amdhsa_system_vgpr_workitem_id 0
		.amdhsa_next_free_vgpr 12
		.amdhsa_next_free_sgpr 13
		.amdhsa_named_barrier_count 0
		.amdhsa_reserve_vcc 1
		.amdhsa_float_round_mode_32 0
		.amdhsa_float_round_mode_16_64 0
		.amdhsa_float_denorm_mode_32 3
		.amdhsa_float_denorm_mode_16_64 3
		.amdhsa_fp16_overflow 0
		.amdhsa_memory_ordered 1
		.amdhsa_forward_progress 1
		.amdhsa_inst_pref_size 5
		.amdhsa_round_robin_scheduling 0
		.amdhsa_exception_fp_ieee_invalid_op 0
		.amdhsa_exception_fp_denorm_src 0
		.amdhsa_exception_fp_ieee_div_zero 0
		.amdhsa_exception_fp_ieee_overflow 0
		.amdhsa_exception_fp_ieee_underflow 0
		.amdhsa_exception_fp_ieee_inexact 0
		.amdhsa_exception_int_div_zero 0
	.end_amdhsa_kernel
	.section	.text._Z6kernelI26subtract_left_partial_tileLj256ELj3ELb0EJPiS1_S1_jEEvDpT3_,"axG",@progbits,_Z6kernelI26subtract_left_partial_tileLj256ELj3ELb0EJPiS1_S1_jEEvDpT3_,comdat
.Lfunc_end121:
	.size	_Z6kernelI26subtract_left_partial_tileLj256ELj3ELb0EJPiS1_S1_jEEvDpT3_, .Lfunc_end121-_Z6kernelI26subtract_left_partial_tileLj256ELj3ELb0EJPiS1_S1_jEEvDpT3_
                                        ; -- End function
	.set _Z6kernelI26subtract_left_partial_tileLj256ELj3ELb0EJPiS1_S1_jEEvDpT3_.num_vgpr, 12
	.set _Z6kernelI26subtract_left_partial_tileLj256ELj3ELb0EJPiS1_S1_jEEvDpT3_.num_agpr, 0
	.set _Z6kernelI26subtract_left_partial_tileLj256ELj3ELb0EJPiS1_S1_jEEvDpT3_.numbered_sgpr, 13
	.set _Z6kernelI26subtract_left_partial_tileLj256ELj3ELb0EJPiS1_S1_jEEvDpT3_.num_named_barrier, 0
	.set _Z6kernelI26subtract_left_partial_tileLj256ELj3ELb0EJPiS1_S1_jEEvDpT3_.private_seg_size, 0
	.set _Z6kernelI26subtract_left_partial_tileLj256ELj3ELb0EJPiS1_S1_jEEvDpT3_.uses_vcc, 1
	.set _Z6kernelI26subtract_left_partial_tileLj256ELj3ELb0EJPiS1_S1_jEEvDpT3_.uses_flat_scratch, 0
	.set _Z6kernelI26subtract_left_partial_tileLj256ELj3ELb0EJPiS1_S1_jEEvDpT3_.has_dyn_sized_stack, 0
	.set _Z6kernelI26subtract_left_partial_tileLj256ELj3ELb0EJPiS1_S1_jEEvDpT3_.has_recursion, 0
	.set _Z6kernelI26subtract_left_partial_tileLj256ELj3ELb0EJPiS1_S1_jEEvDpT3_.has_indirect_call, 0
	.section	.AMDGPU.csdata,"",@progbits
; Kernel info:
; codeLenInByte = 540
; TotalNumSgprs: 15
; NumVgprs: 12
; ScratchSize: 0
; MemoryBound: 0
; FloatMode: 240
; IeeeMode: 1
; LDSByteSize: 2048 bytes/workgroup (compile time only)
; SGPRBlocks: 0
; VGPRBlocks: 0
; NumSGPRsForWavesPerEU: 15
; NumVGPRsForWavesPerEU: 12
; NamedBarCnt: 0
; Occupancy: 16
; WaveLimiterHint : 1
; COMPUTE_PGM_RSRC2:SCRATCH_EN: 0
; COMPUTE_PGM_RSRC2:USER_SGPR: 2
; COMPUTE_PGM_RSRC2:TRAP_HANDLER: 0
; COMPUTE_PGM_RSRC2:TGID_X_EN: 1
; COMPUTE_PGM_RSRC2:TGID_Y_EN: 0
; COMPUTE_PGM_RSRC2:TGID_Z_EN: 0
; COMPUTE_PGM_RSRC2:TIDIG_COMP_CNT: 0
	.section	.text._Z6kernelI26subtract_left_partial_tileLj256ELj4ELb0EJPiS1_S1_jEEvDpT3_,"axG",@progbits,_Z6kernelI26subtract_left_partial_tileLj256ELj4ELb0EJPiS1_S1_jEEvDpT3_,comdat
	.protected	_Z6kernelI26subtract_left_partial_tileLj256ELj4ELb0EJPiS1_S1_jEEvDpT3_ ; -- Begin function _Z6kernelI26subtract_left_partial_tileLj256ELj4ELb0EJPiS1_S1_jEEvDpT3_
	.globl	_Z6kernelI26subtract_left_partial_tileLj256ELj4ELb0EJPiS1_S1_jEEvDpT3_
	.p2align	8
	.type	_Z6kernelI26subtract_left_partial_tileLj256ELj4ELb0EJPiS1_S1_jEEvDpT3_,@function
_Z6kernelI26subtract_left_partial_tileLj256ELj4ELb0EJPiS1_S1_jEEvDpT3_: ; @_Z6kernelI26subtract_left_partial_tileLj256ELj4ELb0EJPiS1_S1_jEEvDpT3_
; %bb.0:
	s_load_b128 s[8:11], s[0:1], 0x0
	s_bfe_u32 s2, ttmp6, 0x4000c
	s_and_b32 s3, ttmp6, 15
	s_add_co_i32 s2, s2, 1
	s_getreg_b32 s4, hwreg(HW_REG_IB_STS2, 6, 4)
	s_mul_i32 s2, ttmp9, s2
	v_cmp_ne_u32_e32 vcc_lo, 0, v0
	s_add_co_i32 s3, s3, s2
	s_cmp_eq_u32 s4, 0
	s_cselect_b32 s12, ttmp9, s3
	s_mov_b32 s3, 0
	s_lshl_b32 s2, s12, 10
	s_delay_alu instid0(SALU_CYCLE_1)
	s_lshl_b64 s[4:5], s[2:3], 2
	s_wait_xcnt 0x0
	s_load_b96 s[0:2], s[0:1], 0x10
	s_wait_kmcnt 0x0
	s_add_nc_u64 s[6:7], s[8:9], s[4:5]
	s_clause 0x3
	global_load_b32 v1, v0, s[6:7] scale_offset
	global_load_b32 v2, v0, s[6:7] offset:1024 scale_offset
	global_load_b32 v3, v0, s[6:7] offset:2048 scale_offset
	;; [unrolled: 1-line block ×3, first 2 shown]
	s_cvt_f32_u32 s3, s2
	s_wait_xcnt 0x0
	s_sub_co_i32 s6, 0, s2
	s_delay_alu instid0(SALU_CYCLE_1) | instskip(SKIP_1) | instid1(TRANS32_DEP_1)
	v_rcp_iflag_f32_e32 v5, s3
	v_nop
	v_readfirstlane_b32 s3, v5
	v_lshlrev_b32_e32 v5, 2, v0
	s_mul_f32 s3, s3, 0x4f7ffffe
	s_delay_alu instid0(VALU_DEP_1) | instskip(SKIP_1) | instid1(SALU_CYCLE_1)
	v_dual_add_nc_u32 v9, -4, v5 :: v_dual_bitop2_b32 v6, 3, v5 bitop3:0x54
	v_or_b32_e32 v7, 2, v5
	s_cvt_u32_f32 s3, s3
	v_or_b32_e32 v8, 1, v5
	s_delay_alu instid0(SALU_CYCLE_2) | instskip(NEXT) | instid1(SALU_CYCLE_1)
	s_mul_i32 s6, s6, s3
	s_mul_hi_u32 s6, s3, s6
	s_delay_alu instid0(SALU_CYCLE_1) | instskip(SKIP_4) | instid1(SALU_CYCLE_1)
	s_add_co_i32 s3, s3, s6
	s_mov_b32 s6, s0
	s_lshr_b32 s7, s3, 22
	s_load_b32 s3, s[10:11], s12 offset:0x0 scale_offset
	s_mul_i32 s8, s7, s2
	s_sub_co_i32 s0, 0x400, s8
	s_add_co_i32 s8, s7, 1
	s_sub_co_i32 s9, s0, s2
	s_cmp_ge_u32 s0, s2
	s_cselect_b32 s7, s8, s7
	s_cselect_b32 s0, s9, s0
	s_add_co_i32 s8, s7, 1
	s_cmp_ge_u32 s0, s2
	s_cselect_b32 s0, s8, s7
	s_mov_b32 s7, s1
	s_add_co_i32 s1, s0, 1
	s_branch .LBB122_2
.LBB122_1:                              ;   in Loop: Header=BB122_2 Depth=1
	s_or_b32 exec_lo, exec_lo, s0
	s_delay_alu instid0(VALU_DEP_1)
	v_dual_add_nc_u32 v1, v13, v1 :: v_dual_add_nc_u32 v2, v12, v2
	v_dual_add_nc_u32 v3, v11, v3 :: v_dual_add_nc_u32 v4, v10, v4
	s_add_co_i32 s0, s1, s3
	s_add_co_i32 s2, s2, -1
	s_and_b32 s3, s0, 0x3ff
	s_cmp_lg_u32 s2, 0
	s_barrier_signal -1
	s_barrier_wait -1
	s_cbranch_scc0 .LBB122_4
.LBB122_2:                              ; =>This Inner Loop Header: Depth=1
	s_wait_loadcnt 0x0
	v_dual_sub_nc_u32 v10, v4, v3 :: v_dual_sub_nc_u32 v11, v3, v2
	s_wait_kmcnt 0x0
	v_cmp_gt_u32_e64 s0, s3, v6
	v_dual_mov_b32 v13, v1 :: v_dual_sub_nc_u32 v12, v2, v1
	ds_store_b32 v5, v4
	s_wait_dscnt 0x0
	v_cndmask_b32_e64 v10, v4, v10, s0
	v_cmp_gt_u32_e64 s0, s3, v7
	s_barrier_signal -1
	s_barrier_wait -1
	s_delay_alu instid0(VALU_DEP_1) | instskip(SKIP_1) | instid1(VALU_DEP_1)
	v_cndmask_b32_e64 v11, v3, v11, s0
	v_cmp_gt_u32_e64 s0, s3, v8
	v_cndmask_b32_e64 v12, v2, v12, s0
	v_cmp_gt_u32_e64 s0, s3, v5
	s_and_b32 s8, vcc_lo, s0
	s_delay_alu instid0(SALU_CYCLE_1)
	s_and_saveexec_b32 s0, s8
	s_cbranch_execz .LBB122_1
; %bb.3:                                ;   in Loop: Header=BB122_2 Depth=1
	ds_load_b32 v13, v9
	s_wait_dscnt 0x0
	v_sub_nc_u32_e32 v13, v1, v13
	s_branch .LBB122_1
.LBB122_4:
	s_add_nc_u64 s[0:1], s[6:7], s[4:5]
	s_clause 0x3
	global_store_b32 v0, v1, s[0:1] scale_offset
	global_store_b32 v0, v2, s[0:1] offset:1024 scale_offset
	global_store_b32 v0, v3, s[0:1] offset:2048 scale_offset
	;; [unrolled: 1-line block ×3, first 2 shown]
	s_endpgm
	.section	.rodata,"a",@progbits
	.p2align	6, 0x0
	.amdhsa_kernel _Z6kernelI26subtract_left_partial_tileLj256ELj4ELb0EJPiS1_S1_jEEvDpT3_
		.amdhsa_group_segment_fixed_size 2048
		.amdhsa_private_segment_fixed_size 0
		.amdhsa_kernarg_size 28
		.amdhsa_user_sgpr_count 2
		.amdhsa_user_sgpr_dispatch_ptr 0
		.amdhsa_user_sgpr_queue_ptr 0
		.amdhsa_user_sgpr_kernarg_segment_ptr 1
		.amdhsa_user_sgpr_dispatch_id 0
		.amdhsa_user_sgpr_kernarg_preload_length 0
		.amdhsa_user_sgpr_kernarg_preload_offset 0
		.amdhsa_user_sgpr_private_segment_size 0
		.amdhsa_wavefront_size32 1
		.amdhsa_uses_dynamic_stack 0
		.amdhsa_enable_private_segment 0
		.amdhsa_system_sgpr_workgroup_id_x 1
		.amdhsa_system_sgpr_workgroup_id_y 0
		.amdhsa_system_sgpr_workgroup_id_z 0
		.amdhsa_system_sgpr_workgroup_info 0
		.amdhsa_system_vgpr_workitem_id 0
		.amdhsa_next_free_vgpr 14
		.amdhsa_next_free_sgpr 13
		.amdhsa_named_barrier_count 0
		.amdhsa_reserve_vcc 1
		.amdhsa_float_round_mode_32 0
		.amdhsa_float_round_mode_16_64 0
		.amdhsa_float_denorm_mode_32 3
		.amdhsa_float_denorm_mode_16_64 3
		.amdhsa_fp16_overflow 0
		.amdhsa_memory_ordered 1
		.amdhsa_forward_progress 1
		.amdhsa_inst_pref_size 5
		.amdhsa_round_robin_scheduling 0
		.amdhsa_exception_fp_ieee_invalid_op 0
		.amdhsa_exception_fp_denorm_src 0
		.amdhsa_exception_fp_ieee_div_zero 0
		.amdhsa_exception_fp_ieee_overflow 0
		.amdhsa_exception_fp_ieee_underflow 0
		.amdhsa_exception_fp_ieee_inexact 0
		.amdhsa_exception_int_div_zero 0
	.end_amdhsa_kernel
	.section	.text._Z6kernelI26subtract_left_partial_tileLj256ELj4ELb0EJPiS1_S1_jEEvDpT3_,"axG",@progbits,_Z6kernelI26subtract_left_partial_tileLj256ELj4ELb0EJPiS1_S1_jEEvDpT3_,comdat
.Lfunc_end122:
	.size	_Z6kernelI26subtract_left_partial_tileLj256ELj4ELb0EJPiS1_S1_jEEvDpT3_, .Lfunc_end122-_Z6kernelI26subtract_left_partial_tileLj256ELj4ELb0EJPiS1_S1_jEEvDpT3_
                                        ; -- End function
	.set _Z6kernelI26subtract_left_partial_tileLj256ELj4ELb0EJPiS1_S1_jEEvDpT3_.num_vgpr, 14
	.set _Z6kernelI26subtract_left_partial_tileLj256ELj4ELb0EJPiS1_S1_jEEvDpT3_.num_agpr, 0
	.set _Z6kernelI26subtract_left_partial_tileLj256ELj4ELb0EJPiS1_S1_jEEvDpT3_.numbered_sgpr, 13
	.set _Z6kernelI26subtract_left_partial_tileLj256ELj4ELb0EJPiS1_S1_jEEvDpT3_.num_named_barrier, 0
	.set _Z6kernelI26subtract_left_partial_tileLj256ELj4ELb0EJPiS1_S1_jEEvDpT3_.private_seg_size, 0
	.set _Z6kernelI26subtract_left_partial_tileLj256ELj4ELb0EJPiS1_S1_jEEvDpT3_.uses_vcc, 1
	.set _Z6kernelI26subtract_left_partial_tileLj256ELj4ELb0EJPiS1_S1_jEEvDpT3_.uses_flat_scratch, 0
	.set _Z6kernelI26subtract_left_partial_tileLj256ELj4ELb0EJPiS1_S1_jEEvDpT3_.has_dyn_sized_stack, 0
	.set _Z6kernelI26subtract_left_partial_tileLj256ELj4ELb0EJPiS1_S1_jEEvDpT3_.has_recursion, 0
	.set _Z6kernelI26subtract_left_partial_tileLj256ELj4ELb0EJPiS1_S1_jEEvDpT3_.has_indirect_call, 0
	.section	.AMDGPU.csdata,"",@progbits
; Kernel info:
; codeLenInByte = 564
; TotalNumSgprs: 15
; NumVgprs: 14
; ScratchSize: 0
; MemoryBound: 0
; FloatMode: 240
; IeeeMode: 1
; LDSByteSize: 2048 bytes/workgroup (compile time only)
; SGPRBlocks: 0
; VGPRBlocks: 0
; NumSGPRsForWavesPerEU: 15
; NumVGPRsForWavesPerEU: 14
; NamedBarCnt: 0
; Occupancy: 16
; WaveLimiterHint : 1
; COMPUTE_PGM_RSRC2:SCRATCH_EN: 0
; COMPUTE_PGM_RSRC2:USER_SGPR: 2
; COMPUTE_PGM_RSRC2:TRAP_HANDLER: 0
; COMPUTE_PGM_RSRC2:TGID_X_EN: 1
; COMPUTE_PGM_RSRC2:TGID_Y_EN: 0
; COMPUTE_PGM_RSRC2:TGID_Z_EN: 0
; COMPUTE_PGM_RSRC2:TIDIG_COMP_CNT: 0
	.section	.text._Z6kernelI26subtract_left_partial_tileLj256ELj8ELb0EJPiS1_S1_jEEvDpT3_,"axG",@progbits,_Z6kernelI26subtract_left_partial_tileLj256ELj8ELb0EJPiS1_S1_jEEvDpT3_,comdat
	.protected	_Z6kernelI26subtract_left_partial_tileLj256ELj8ELb0EJPiS1_S1_jEEvDpT3_ ; -- Begin function _Z6kernelI26subtract_left_partial_tileLj256ELj8ELb0EJPiS1_S1_jEEvDpT3_
	.globl	_Z6kernelI26subtract_left_partial_tileLj256ELj8ELb0EJPiS1_S1_jEEvDpT3_
	.p2align	8
	.type	_Z6kernelI26subtract_left_partial_tileLj256ELj8ELb0EJPiS1_S1_jEEvDpT3_,@function
_Z6kernelI26subtract_left_partial_tileLj256ELj8ELb0EJPiS1_S1_jEEvDpT3_: ; @_Z6kernelI26subtract_left_partial_tileLj256ELj8ELb0EJPiS1_S1_jEEvDpT3_
; %bb.0:
	s_load_b128 s[4:7], s[0:1], 0x0
	s_bfe_u32 s2, ttmp6, 0x4000c
	s_and_b32 s3, ttmp6, 15
	s_add_co_i32 s2, s2, 1
	s_getreg_b32 s8, hwreg(HW_REG_IB_STS2, 6, 4)
	s_mul_i32 s2, ttmp9, s2
	v_cmp_ne_u32_e32 vcc_lo, 0, v0
	s_add_co_i32 s3, s3, s2
	s_cmp_eq_u32 s8, 0
	v_lshlrev_b32_e32 v10, 2, v0
	s_cselect_b32 s10, ttmp9, s3
	s_mov_b32 s3, 0
	s_lshl_b32 s2, s10, 11
	s_delay_alu instid0(SALU_CYCLE_1)
	s_lshl_b64 s[8:9], s[2:3], 2
	s_wait_xcnt 0x0
	s_load_b96 s[0:2], s[0:1], 0x10
	v_add_nc_u32_e32 v18, -4, v10
	s_wait_kmcnt 0x0
	s_add_nc_u64 s[4:5], s[4:5], s[8:9]
	s_clause 0x7
	global_load_b32 v1, v0, s[4:5] scale_offset
	global_load_b32 v2, v0, s[4:5] offset:1024 scale_offset
	global_load_b32 v3, v0, s[4:5] offset:2048 scale_offset
	;; [unrolled: 1-line block ×7, first 2 shown]
	s_cvt_f32_u32 s3, s2
	s_wait_xcnt 0x0
	s_sub_co_i32 s4, 0, s2
	s_delay_alu instid0(SALU_CYCLE_1) | instskip(SKIP_1) | instid1(TRANS32_DEP_1)
	v_rcp_iflag_f32_e32 v9, s3
	v_nop
	v_readfirstlane_b32 s3, v9
	v_lshlrev_b32_e32 v9, 3, v0
	s_mul_f32 s3, s3, 0x4f7ffffe
	s_delay_alu instid0(VALU_DEP_1)
	v_or_b32_e32 v11, 7, v9
	v_or_b32_e32 v12, 6, v9
	;; [unrolled: 1-line block ×3, first 2 shown]
	s_cvt_u32_f32 s3, s3
	v_or_b32_e32 v14, 4, v9
	v_or_b32_e32 v15, 3, v9
	;; [unrolled: 1-line block ×3, first 2 shown]
	s_mul_i32 s4, s4, s3
	v_or_b32_e32 v17, 1, v9
	s_mul_hi_u32 s4, s3, s4
	s_delay_alu instid0(SALU_CYCLE_1) | instskip(SKIP_2) | instid1(SALU_CYCLE_1)
	s_add_co_i32 s3, s3, s4
	s_mov_b32 s4, s0
	s_lshr_b32 s5, s3, 21
	s_mul_i32 s3, s5, s2
	s_add_co_i32 s11, s5, 1
	s_sub_co_i32 s0, 0x800, s3
	s_load_b32 s3, s[6:7], s10 offset:0x0 scale_offset
	s_sub_co_i32 s12, s0, s2
	s_cmp_ge_u32 s0, s2
	s_cselect_b32 s5, s11, s5
	s_cselect_b32 s0, s12, s0
	s_wait_xcnt 0x0
	s_add_co_i32 s6, s5, 1
	s_cmp_ge_u32 s0, s2
	s_cselect_b32 s0, s6, s5
	s_mov_b32 s5, s1
	s_add_co_i32 s1, s0, 1
	s_branch .LBB123_2
.LBB123_1:                              ;   in Loop: Header=BB123_2 Depth=1
	s_or_b32 exec_lo, exec_lo, s0
	v_cmp_gt_u32_e64 s0, s3, v11
	s_add_co_i32 s2, s2, -1
	s_barrier_signal -1
	s_barrier_wait -1
	v_cndmask_b32_e64 v20, 0, v7, s0
	v_cmp_gt_u32_e64 s0, s3, v12
	s_delay_alu instid0(VALU_DEP_1) | instskip(SKIP_1) | instid1(VALU_DEP_2)
	v_cndmask_b32_e64 v21, 0, v6, s0
	v_cmp_gt_u32_e64 s0, s3, v13
	v_dual_sub_nc_u32 v20, v8, v20 :: v_dual_sub_nc_u32 v21, v7, v21
	s_delay_alu instid0(VALU_DEP_2) | instskip(SKIP_1) | instid1(VALU_DEP_3)
	v_cndmask_b32_e64 v22, 0, v5, s0
	v_cmp_gt_u32_e64 s0, s3, v15
	v_dual_add_nc_u32 v8, v20, v8 :: v_dual_add_nc_u32 v7, v21, v7
	s_delay_alu instid0(VALU_DEP_2) | instskip(SKIP_1) | instid1(VALU_DEP_1)
	v_cndmask_b32_e64 v23, 0, v3, s0
	v_cmp_gt_u32_e64 s0, s3, v17
	v_dual_sub_nc_u32 v22, v6, v22 :: v_dual_cndmask_b32 v24, 0, v1, s0
	v_cmp_gt_u32_e64 s0, s3, v16
	s_delay_alu instid0(VALU_DEP_2) | instskip(NEXT) | instid1(VALU_DEP_2)
	v_add_nc_u32_e32 v6, v22, v6
	v_cndmask_b32_e64 v25, 0, v2, s0
	v_cmp_gt_u32_e64 s0, s3, v14
	s_delay_alu instid0(VALU_DEP_2) | instskip(NEXT) | instid1(VALU_DEP_2)
	v_dual_sub_nc_u32 v24, v2, v24 :: v_dual_sub_nc_u32 v25, v3, v25
	v_dual_cndmask_b32 v26, 0, v4, s0 :: v_dual_sub_nc_u32 v23, v4, v23
	s_delay_alu instid0(VALU_DEP_2) | instskip(SKIP_1) | instid1(VALU_DEP_2)
	v_dual_add_nc_u32 v1, v19, v1 :: v_dual_add_nc_u32 v2, v24, v2
	s_add_co_i32 s0, s1, s3
	v_sub_nc_u32_e32 v26, v5, v26
	s_delay_alu instid0(VALU_DEP_3) | instskip(SKIP_2) | instid1(VALU_DEP_2)
	v_dual_add_nc_u32 v3, v25, v3 :: v_dual_add_nc_u32 v4, v23, v4
	s_and_b32 s3, s0, 0x7ff
	s_cmp_lg_u32 s2, 0
	v_add_nc_u32_e32 v5, v26, v5
	s_cbranch_scc0 .LBB123_4
.LBB123_2:                              ; =>This Inner Loop Header: Depth=1
	s_wait_kmcnt 0x0
	v_cmp_gt_u32_e64 s0, s3, v9
	s_wait_loadcnt 0x7
	v_mov_b32_e32 v19, v1
	s_wait_loadcnt 0x0
	ds_store_b32 v10, v8
	s_wait_dscnt 0x0
	s_barrier_signal -1
	s_and_b32 s6, vcc_lo, s0
	s_barrier_wait -1
	s_and_saveexec_b32 s0, s6
	s_cbranch_execz .LBB123_1
; %bb.3:                                ;   in Loop: Header=BB123_2 Depth=1
	ds_load_b32 v19, v18
	s_wait_dscnt 0x0
	v_sub_nc_u32_e32 v19, v1, v19
	s_branch .LBB123_1
.LBB123_4:
	s_add_nc_u64 s[0:1], s[4:5], s[8:9]
	s_clause 0x7
	global_store_b32 v0, v1, s[0:1] scale_offset
	global_store_b32 v0, v2, s[0:1] offset:1024 scale_offset
	global_store_b32 v0, v3, s[0:1] offset:2048 scale_offset
	;; [unrolled: 1-line block ×7, first 2 shown]
	s_endpgm
	.section	.rodata,"a",@progbits
	.p2align	6, 0x0
	.amdhsa_kernel _Z6kernelI26subtract_left_partial_tileLj256ELj8ELb0EJPiS1_S1_jEEvDpT3_
		.amdhsa_group_segment_fixed_size 2048
		.amdhsa_private_segment_fixed_size 0
		.amdhsa_kernarg_size 28
		.amdhsa_user_sgpr_count 2
		.amdhsa_user_sgpr_dispatch_ptr 0
		.amdhsa_user_sgpr_queue_ptr 0
		.amdhsa_user_sgpr_kernarg_segment_ptr 1
		.amdhsa_user_sgpr_dispatch_id 0
		.amdhsa_user_sgpr_kernarg_preload_length 0
		.amdhsa_user_sgpr_kernarg_preload_offset 0
		.amdhsa_user_sgpr_private_segment_size 0
		.amdhsa_wavefront_size32 1
		.amdhsa_uses_dynamic_stack 0
		.amdhsa_enable_private_segment 0
		.amdhsa_system_sgpr_workgroup_id_x 1
		.amdhsa_system_sgpr_workgroup_id_y 0
		.amdhsa_system_sgpr_workgroup_id_z 0
		.amdhsa_system_sgpr_workgroup_info 0
		.amdhsa_system_vgpr_workitem_id 0
		.amdhsa_next_free_vgpr 27
		.amdhsa_next_free_sgpr 13
		.amdhsa_named_barrier_count 0
		.amdhsa_reserve_vcc 1
		.amdhsa_float_round_mode_32 0
		.amdhsa_float_round_mode_16_64 0
		.amdhsa_float_denorm_mode_32 3
		.amdhsa_float_denorm_mode_16_64 3
		.amdhsa_fp16_overflow 0
		.amdhsa_memory_ordered 1
		.amdhsa_forward_progress 1
		.amdhsa_inst_pref_size 7
		.amdhsa_round_robin_scheduling 0
		.amdhsa_exception_fp_ieee_invalid_op 0
		.amdhsa_exception_fp_denorm_src 0
		.amdhsa_exception_fp_ieee_div_zero 0
		.amdhsa_exception_fp_ieee_overflow 0
		.amdhsa_exception_fp_ieee_underflow 0
		.amdhsa_exception_fp_ieee_inexact 0
		.amdhsa_exception_int_div_zero 0
	.end_amdhsa_kernel
	.section	.text._Z6kernelI26subtract_left_partial_tileLj256ELj8ELb0EJPiS1_S1_jEEvDpT3_,"axG",@progbits,_Z6kernelI26subtract_left_partial_tileLj256ELj8ELb0EJPiS1_S1_jEEvDpT3_,comdat
.Lfunc_end123:
	.size	_Z6kernelI26subtract_left_partial_tileLj256ELj8ELb0EJPiS1_S1_jEEvDpT3_, .Lfunc_end123-_Z6kernelI26subtract_left_partial_tileLj256ELj8ELb0EJPiS1_S1_jEEvDpT3_
                                        ; -- End function
	.set _Z6kernelI26subtract_left_partial_tileLj256ELj8ELb0EJPiS1_S1_jEEvDpT3_.num_vgpr, 27
	.set _Z6kernelI26subtract_left_partial_tileLj256ELj8ELb0EJPiS1_S1_jEEvDpT3_.num_agpr, 0
	.set _Z6kernelI26subtract_left_partial_tileLj256ELj8ELb0EJPiS1_S1_jEEvDpT3_.numbered_sgpr, 13
	.set _Z6kernelI26subtract_left_partial_tileLj256ELj8ELb0EJPiS1_S1_jEEvDpT3_.num_named_barrier, 0
	.set _Z6kernelI26subtract_left_partial_tileLj256ELj8ELb0EJPiS1_S1_jEEvDpT3_.private_seg_size, 0
	.set _Z6kernelI26subtract_left_partial_tileLj256ELj8ELb0EJPiS1_S1_jEEvDpT3_.uses_vcc, 1
	.set _Z6kernelI26subtract_left_partial_tileLj256ELj8ELb0EJPiS1_S1_jEEvDpT3_.uses_flat_scratch, 0
	.set _Z6kernelI26subtract_left_partial_tileLj256ELj8ELb0EJPiS1_S1_jEEvDpT3_.has_dyn_sized_stack, 0
	.set _Z6kernelI26subtract_left_partial_tileLj256ELj8ELb0EJPiS1_S1_jEEvDpT3_.has_recursion, 0
	.set _Z6kernelI26subtract_left_partial_tileLj256ELj8ELb0EJPiS1_S1_jEEvDpT3_.has_indirect_call, 0
	.section	.AMDGPU.csdata,"",@progbits
; Kernel info:
; codeLenInByte = 800
; TotalNumSgprs: 15
; NumVgprs: 27
; ScratchSize: 0
; MemoryBound: 0
; FloatMode: 240
; IeeeMode: 1
; LDSByteSize: 2048 bytes/workgroup (compile time only)
; SGPRBlocks: 0
; VGPRBlocks: 1
; NumSGPRsForWavesPerEU: 15
; NumVGPRsForWavesPerEU: 27
; NamedBarCnt: 0
; Occupancy: 16
; WaveLimiterHint : 1
; COMPUTE_PGM_RSRC2:SCRATCH_EN: 0
; COMPUTE_PGM_RSRC2:USER_SGPR: 2
; COMPUTE_PGM_RSRC2:TRAP_HANDLER: 0
; COMPUTE_PGM_RSRC2:TGID_X_EN: 1
; COMPUTE_PGM_RSRC2:TGID_Y_EN: 0
; COMPUTE_PGM_RSRC2:TGID_Z_EN: 0
; COMPUTE_PGM_RSRC2:TIDIG_COMP_CNT: 0
	.section	.text._Z6kernelI26subtract_left_partial_tileLj256ELj16ELb0EJPiS1_S1_jEEvDpT3_,"axG",@progbits,_Z6kernelI26subtract_left_partial_tileLj256ELj16ELb0EJPiS1_S1_jEEvDpT3_,comdat
	.protected	_Z6kernelI26subtract_left_partial_tileLj256ELj16ELb0EJPiS1_S1_jEEvDpT3_ ; -- Begin function _Z6kernelI26subtract_left_partial_tileLj256ELj16ELb0EJPiS1_S1_jEEvDpT3_
	.globl	_Z6kernelI26subtract_left_partial_tileLj256ELj16ELb0EJPiS1_S1_jEEvDpT3_
	.p2align	8
	.type	_Z6kernelI26subtract_left_partial_tileLj256ELj16ELb0EJPiS1_S1_jEEvDpT3_,@function
_Z6kernelI26subtract_left_partial_tileLj256ELj16ELb0EJPiS1_S1_jEEvDpT3_: ; @_Z6kernelI26subtract_left_partial_tileLj256ELj16ELb0EJPiS1_S1_jEEvDpT3_
; %bb.0:
	s_load_b128 s[4:7], s[0:1], 0x0
	s_bfe_u32 s2, ttmp6, 0x4000c
	s_and_b32 s3, ttmp6, 15
	s_add_co_i32 s2, s2, 1
	s_getreg_b32 s8, hwreg(HW_REG_IB_STS2, 6, 4)
	s_mul_i32 s2, ttmp9, s2
	v_cmp_ne_u32_e32 vcc_lo, 0, v0
	s_add_co_i32 s3, s3, s2
	s_cmp_eq_u32 s8, 0
	v_lshlrev_b32_e32 v18, 2, v0
	s_cselect_b32 s10, ttmp9, s3
	s_mov_b32 s3, 0
	s_lshl_b32 s2, s10, 12
	s_delay_alu instid0(SALU_CYCLE_1)
	s_lshl_b64 s[8:9], s[2:3], 2
	s_wait_xcnt 0x0
	s_load_b96 s[0:2], s[0:1], 0x10
	v_add_nc_u32_e32 v34, -4, v18
	s_wait_kmcnt 0x0
	s_add_nc_u64 s[4:5], s[4:5], s[8:9]
	s_clause 0xf
	global_load_b32 v16, v0, s[4:5] scale_offset
	global_load_b32 v15, v0, s[4:5] offset:1024 scale_offset
	global_load_b32 v14, v0, s[4:5] offset:2048 scale_offset
	;; [unrolled: 1-line block ×15, first 2 shown]
	s_cvt_f32_u32 s3, s2
	s_wait_xcnt 0x0
	s_sub_co_i32 s4, 0, s2
	s_delay_alu instid0(SALU_CYCLE_1) | instskip(SKIP_1) | instid1(TRANS32_DEP_1)
	v_rcp_iflag_f32_e32 v17, s3
	v_nop
	v_readfirstlane_b32 s3, v17
	v_lshlrev_b32_e32 v17, 4, v0
	s_mul_f32 s3, s3, 0x4f7ffffe
	s_delay_alu instid0(VALU_DEP_1)
	v_or_b32_e32 v19, 15, v17
	v_or_b32_e32 v20, 14, v17
	;; [unrolled: 1-line block ×3, first 2 shown]
	s_cvt_u32_f32 s3, s3
	v_or_b32_e32 v22, 12, v17
	v_or_b32_e32 v23, 11, v17
	;; [unrolled: 1-line block ×3, first 2 shown]
	s_mul_i32 s4, s4, s3
	v_or_b32_e32 v25, 9, v17
	s_mul_hi_u32 s4, s3, s4
	v_or_b32_e32 v26, 8, v17
	s_add_co_i32 s3, s3, s4
	s_mov_b32 s4, s0
	s_lshr_b32 s5, s3, 20
	v_or_b32_e32 v27, 7, v17
	s_mul_i32 s3, s5, s2
	s_add_co_i32 s11, s5, 1
	s_sub_co_i32 s0, 0x1000, s3
	s_load_b32 s3, s[6:7], s10 offset:0x0 scale_offset
	s_sub_co_i32 s12, s0, s2
	s_cmp_ge_u32 s0, s2
	v_or_b32_e32 v28, 6, v17
	s_cselect_b32 s5, s11, s5
	s_cselect_b32 s0, s12, s0
	s_wait_xcnt 0x0
	s_add_co_i32 s6, s5, 1
	s_cmp_ge_u32 s0, s2
	v_or_b32_e32 v29, 5, v17
	v_or_b32_e32 v30, 4, v17
	;; [unrolled: 1-line block ×5, first 2 shown]
	s_cselect_b32 s0, s6, s5
	s_mov_b32 s5, s1
	s_add_co_i32 s1, s0, 1
	s_branch .LBB124_2
.LBB124_1:                              ;   in Loop: Header=BB124_2 Depth=1
	s_or_b32 exec_lo, exec_lo, s0
	v_cmp_gt_u32_e64 s0, s3, v19
	s_add_co_i32 s2, s2, -1
	s_barrier_signal -1
	s_barrier_wait -1
	v_cndmask_b32_e64 v36, 0, v2, s0
	v_cmp_gt_u32_e64 s0, s3, v20
	s_delay_alu instid0(VALU_DEP_1) | instskip(SKIP_1) | instid1(VALU_DEP_4)
	v_cndmask_b32_e64 v37, 0, v3, s0
	v_cmp_gt_u32_e64 s0, s3, v21
	v_sub_nc_u32_e32 v36, v1, v36
	s_delay_alu instid0(VALU_DEP_2) | instskip(SKIP_1) | instid1(VALU_DEP_3)
	v_cndmask_b32_e64 v38, 0, v4, s0
	v_cmp_gt_u32_e64 s0, s3, v22
	v_add_nc_u32_e32 v1, v36, v1
	s_delay_alu instid0(VALU_DEP_2) | instskip(SKIP_2) | instid1(VALU_DEP_2)
	v_cndmask_b32_e64 v39, 0, v5, s0
	v_cmp_gt_u32_e64 s0, s3, v23
	v_dual_sub_nc_u32 v37, v2, v37 :: v_dual_sub_nc_u32 v38, v3, v38
	v_cndmask_b32_e64 v40, 0, v6, s0
	v_cmp_gt_u32_e64 s0, s3, v24
	v_sub_nc_u32_e32 v39, v4, v39
	s_delay_alu instid0(VALU_DEP_4) | instskip(NEXT) | instid1(VALU_DEP_3)
	v_dual_add_nc_u32 v3, v38, v3 :: v_dual_add_nc_u32 v2, v37, v2
	v_dual_sub_nc_u32 v40, v5, v40 :: v_dual_cndmask_b32 v41, 0, v7, s0
	v_cmp_gt_u32_e64 s0, s3, v25
	s_delay_alu instid0(VALU_DEP_2) | instskip(NEXT) | instid1(VALU_DEP_2)
	v_dual_add_nc_u32 v4, v39, v4 :: v_dual_add_nc_u32 v5, v40, v5
	v_cndmask_b32_e64 v42, 0, v8, s0
	v_cmp_gt_u32_e64 s0, s3, v26
	v_sub_nc_u32_e32 v41, v6, v41
	s_delay_alu instid0(VALU_DEP_2) | instskip(SKIP_1) | instid1(VALU_DEP_3)
	v_cndmask_b32_e64 v43, 0, v9, s0
	v_cmp_gt_u32_e64 s0, s3, v27
	v_add_nc_u32_e32 v6, v41, v6
	s_delay_alu instid0(VALU_DEP_2) | instskip(SKIP_2) | instid1(VALU_DEP_2)
	v_cndmask_b32_e64 v44, 0, v10, s0
	v_cmp_gt_u32_e64 s0, s3, v28
	v_dual_sub_nc_u32 v42, v7, v42 :: v_dual_sub_nc_u32 v43, v8, v43
	v_cndmask_b32_e64 v45, 0, v11, s0
	v_cmp_gt_u32_e64 s0, s3, v29
	v_sub_nc_u32_e32 v44, v9, v44
	s_delay_alu instid0(VALU_DEP_4) | instskip(NEXT) | instid1(VALU_DEP_3)
	v_dual_add_nc_u32 v8, v43, v8 :: v_dual_add_nc_u32 v7, v42, v7
	v_dual_sub_nc_u32 v45, v10, v45 :: v_dual_cndmask_b32 v46, 0, v12, s0
	v_cmp_gt_u32_e64 s0, s3, v31
	s_delay_alu instid0(VALU_DEP_2) | instskip(NEXT) | instid1(VALU_DEP_2)
	v_dual_add_nc_u32 v9, v44, v9 :: v_dual_add_nc_u32 v10, v45, v10
	v_cndmask_b32_e64 v47, 0, v14, s0
	v_cmp_gt_u32_e64 s0, s3, v33
	s_delay_alu instid0(VALU_DEP_1) | instskip(SKIP_1) | instid1(VALU_DEP_2)
	v_dual_sub_nc_u32 v46, v11, v46 :: v_dual_cndmask_b32 v48, 0, v16, s0
	v_cmp_gt_u32_e64 s0, s3, v32
	v_add_nc_u32_e32 v11, v46, v11
	s_delay_alu instid0(VALU_DEP_2) | instskip(SKIP_1) | instid1(VALU_DEP_2)
	v_cndmask_b32_e64 v49, 0, v15, s0
	v_cmp_gt_u32_e64 s0, s3, v30
	v_dual_sub_nc_u32 v48, v15, v48 :: v_dual_sub_nc_u32 v49, v14, v49
	s_delay_alu instid0(VALU_DEP_2) | instskip(NEXT) | instid1(VALU_DEP_2)
	v_dual_cndmask_b32 v50, 0, v13, s0 :: v_dual_sub_nc_u32 v47, v13, v47
	v_dual_add_nc_u32 v16, v35, v16 :: v_dual_add_nc_u32 v15, v48, v15
	s_add_co_i32 s0, s1, s3
	s_delay_alu instid0(VALU_DEP_2) | instskip(NEXT) | instid1(VALU_DEP_3)
	v_sub_nc_u32_e32 v50, v12, v50
	v_dual_add_nc_u32 v14, v49, v14 :: v_dual_add_nc_u32 v13, v47, v13
	s_and_b32 s3, s0, 0xfff
	s_cmp_lg_u32 s2, 0
	s_delay_alu instid0(VALU_DEP_2)
	v_add_nc_u32_e32 v12, v50, v12
	s_cbranch_scc0 .LBB124_4
.LBB124_2:                              ; =>This Inner Loop Header: Depth=1
	s_wait_kmcnt 0x0
	v_cmp_gt_u32_e64 s0, s3, v17
	s_wait_loadcnt 0xf
	v_mov_b32_e32 v35, v16
	s_wait_loadcnt 0x0
	ds_store_b32 v18, v1
	s_wait_dscnt 0x0
	s_barrier_signal -1
	s_and_b32 s6, vcc_lo, s0
	s_barrier_wait -1
	s_and_saveexec_b32 s0, s6
	s_cbranch_execz .LBB124_1
; %bb.3:                                ;   in Loop: Header=BB124_2 Depth=1
	ds_load_b32 v35, v34
	s_wait_dscnt 0x0
	v_sub_nc_u32_e32 v35, v16, v35
	s_branch .LBB124_1
.LBB124_4:
	s_add_nc_u64 s[0:1], s[4:5], s[8:9]
	s_clause 0xf
	global_store_b32 v0, v16, s[0:1] scale_offset
	global_store_b32 v0, v15, s[0:1] offset:1024 scale_offset
	global_store_b32 v0, v14, s[0:1] offset:2048 scale_offset
	;; [unrolled: 1-line block ×15, first 2 shown]
	s_endpgm
	.section	.rodata,"a",@progbits
	.p2align	6, 0x0
	.amdhsa_kernel _Z6kernelI26subtract_left_partial_tileLj256ELj16ELb0EJPiS1_S1_jEEvDpT3_
		.amdhsa_group_segment_fixed_size 2048
		.amdhsa_private_segment_fixed_size 0
		.amdhsa_kernarg_size 28
		.amdhsa_user_sgpr_count 2
		.amdhsa_user_sgpr_dispatch_ptr 0
		.amdhsa_user_sgpr_queue_ptr 0
		.amdhsa_user_sgpr_kernarg_segment_ptr 1
		.amdhsa_user_sgpr_dispatch_id 0
		.amdhsa_user_sgpr_kernarg_preload_length 0
		.amdhsa_user_sgpr_kernarg_preload_offset 0
		.amdhsa_user_sgpr_private_segment_size 0
		.amdhsa_wavefront_size32 1
		.amdhsa_uses_dynamic_stack 0
		.amdhsa_enable_private_segment 0
		.amdhsa_system_sgpr_workgroup_id_x 1
		.amdhsa_system_sgpr_workgroup_id_y 0
		.amdhsa_system_sgpr_workgroup_id_z 0
		.amdhsa_system_sgpr_workgroup_info 0
		.amdhsa_system_vgpr_workitem_id 0
		.amdhsa_next_free_vgpr 51
		.amdhsa_next_free_sgpr 13
		.amdhsa_named_barrier_count 0
		.amdhsa_reserve_vcc 1
		.amdhsa_float_round_mode_32 0
		.amdhsa_float_round_mode_16_64 0
		.amdhsa_float_denorm_mode_32 3
		.amdhsa_float_denorm_mode_16_64 3
		.amdhsa_fp16_overflow 0
		.amdhsa_memory_ordered 1
		.amdhsa_forward_progress 1
		.amdhsa_inst_pref_size 10
		.amdhsa_round_robin_scheduling 0
		.amdhsa_exception_fp_ieee_invalid_op 0
		.amdhsa_exception_fp_denorm_src 0
		.amdhsa_exception_fp_ieee_div_zero 0
		.amdhsa_exception_fp_ieee_overflow 0
		.amdhsa_exception_fp_ieee_underflow 0
		.amdhsa_exception_fp_ieee_inexact 0
		.amdhsa_exception_int_div_zero 0
	.end_amdhsa_kernel
	.section	.text._Z6kernelI26subtract_left_partial_tileLj256ELj16ELb0EJPiS1_S1_jEEvDpT3_,"axG",@progbits,_Z6kernelI26subtract_left_partial_tileLj256ELj16ELb0EJPiS1_S1_jEEvDpT3_,comdat
.Lfunc_end124:
	.size	_Z6kernelI26subtract_left_partial_tileLj256ELj16ELb0EJPiS1_S1_jEEvDpT3_, .Lfunc_end124-_Z6kernelI26subtract_left_partial_tileLj256ELj16ELb0EJPiS1_S1_jEEvDpT3_
                                        ; -- End function
	.set _Z6kernelI26subtract_left_partial_tileLj256ELj16ELb0EJPiS1_S1_jEEvDpT3_.num_vgpr, 51
	.set _Z6kernelI26subtract_left_partial_tileLj256ELj16ELb0EJPiS1_S1_jEEvDpT3_.num_agpr, 0
	.set _Z6kernelI26subtract_left_partial_tileLj256ELj16ELb0EJPiS1_S1_jEEvDpT3_.numbered_sgpr, 13
	.set _Z6kernelI26subtract_left_partial_tileLj256ELj16ELb0EJPiS1_S1_jEEvDpT3_.num_named_barrier, 0
	.set _Z6kernelI26subtract_left_partial_tileLj256ELj16ELb0EJPiS1_S1_jEEvDpT3_.private_seg_size, 0
	.set _Z6kernelI26subtract_left_partial_tileLj256ELj16ELb0EJPiS1_S1_jEEvDpT3_.uses_vcc, 1
	.set _Z6kernelI26subtract_left_partial_tileLj256ELj16ELb0EJPiS1_S1_jEEvDpT3_.uses_flat_scratch, 0
	.set _Z6kernelI26subtract_left_partial_tileLj256ELj16ELb0EJPiS1_S1_jEEvDpT3_.has_dyn_sized_stack, 0
	.set _Z6kernelI26subtract_left_partial_tileLj256ELj16ELb0EJPiS1_S1_jEEvDpT3_.has_recursion, 0
	.set _Z6kernelI26subtract_left_partial_tileLj256ELj16ELb0EJPiS1_S1_jEEvDpT3_.has_indirect_call, 0
	.section	.AMDGPU.csdata,"",@progbits
; Kernel info:
; codeLenInByte = 1256
; TotalNumSgprs: 15
; NumVgprs: 51
; ScratchSize: 0
; MemoryBound: 0
; FloatMode: 240
; IeeeMode: 1
; LDSByteSize: 2048 bytes/workgroup (compile time only)
; SGPRBlocks: 0
; VGPRBlocks: 3
; NumSGPRsForWavesPerEU: 15
; NumVGPRsForWavesPerEU: 51
; NamedBarCnt: 0
; Occupancy: 16
; WaveLimiterHint : 1
; COMPUTE_PGM_RSRC2:SCRATCH_EN: 0
; COMPUTE_PGM_RSRC2:USER_SGPR: 2
; COMPUTE_PGM_RSRC2:TRAP_HANDLER: 0
; COMPUTE_PGM_RSRC2:TGID_X_EN: 1
; COMPUTE_PGM_RSRC2:TGID_Y_EN: 0
; COMPUTE_PGM_RSRC2:TGID_Z_EN: 0
; COMPUTE_PGM_RSRC2:TIDIG_COMP_CNT: 0
	.section	.text._Z6kernelI26subtract_left_partial_tileLj256ELj32ELb0EJPiS1_S1_jEEvDpT3_,"axG",@progbits,_Z6kernelI26subtract_left_partial_tileLj256ELj32ELb0EJPiS1_S1_jEEvDpT3_,comdat
	.protected	_Z6kernelI26subtract_left_partial_tileLj256ELj32ELb0EJPiS1_S1_jEEvDpT3_ ; -- Begin function _Z6kernelI26subtract_left_partial_tileLj256ELj32ELb0EJPiS1_S1_jEEvDpT3_
	.globl	_Z6kernelI26subtract_left_partial_tileLj256ELj32ELb0EJPiS1_S1_jEEvDpT3_
	.p2align	8
	.type	_Z6kernelI26subtract_left_partial_tileLj256ELj32ELb0EJPiS1_S1_jEEvDpT3_,@function
_Z6kernelI26subtract_left_partial_tileLj256ELj32ELb0EJPiS1_S1_jEEvDpT3_: ; @_Z6kernelI26subtract_left_partial_tileLj256ELj32ELb0EJPiS1_S1_jEEvDpT3_
; %bb.0:
	s_load_b128 s[4:7], s[0:1], 0x0
	s_bfe_u32 s2, ttmp6, 0x4000c
	s_and_b32 s3, ttmp6, 15
	s_add_co_i32 s2, s2, 1
	s_getreg_b32 s8, hwreg(HW_REG_IB_STS2, 6, 4)
	s_mul_i32 s2, ttmp9, s2
	v_cmp_ne_u32_e32 vcc_lo, 0, v0
	s_add_co_i32 s3, s3, s2
	s_cmp_eq_u32 s8, 0
	v_lshlrev_b32_e32 v34, 2, v0
	s_cselect_b32 s10, ttmp9, s3
	s_mov_b32 s3, 0
	s_lshl_b32 s2, s10, 13
	s_delay_alu instid0(SALU_CYCLE_1)
	s_lshl_b64 s[8:9], s[2:3], 2
	s_wait_xcnt 0x0
	s_load_b96 s[0:2], s[0:1], 0x10
	v_add_nc_u32_e32 v66, -4, v34
	s_wait_kmcnt 0x0
	s_add_nc_u64 s[4:5], s[4:5], s[8:9]
	s_clause 0x1f
	global_load_b32 v32, v0, s[4:5] scale_offset
	global_load_b32 v31, v0, s[4:5] offset:1024 scale_offset
	global_load_b32 v30, v0, s[4:5] offset:2048 scale_offset
	;; [unrolled: 1-line block ×31, first 2 shown]
	s_cvt_f32_u32 s3, s2
	s_wait_xcnt 0x0
	s_sub_co_i32 s4, 0, s2
	s_delay_alu instid0(SALU_CYCLE_1) | instskip(SKIP_1) | instid1(TRANS32_DEP_1)
	v_rcp_iflag_f32_e32 v33, s3
	v_nop
	v_readfirstlane_b32 s3, v33
	v_lshlrev_b32_e32 v33, 5, v0
	s_mul_f32 s3, s3, 0x4f7ffffe
	s_delay_alu instid0(VALU_DEP_1)
	v_or_b32_e32 v35, 31, v33
	v_or_b32_e32 v36, 30, v33
	;; [unrolled: 1-line block ×3, first 2 shown]
	s_cvt_u32_f32 s3, s3
	v_or_b32_e32 v38, 28, v33
	v_or_b32_e32 v39, 27, v33
	;; [unrolled: 1-line block ×3, first 2 shown]
	s_mul_i32 s4, s4, s3
	v_or_b32_e32 v41, 25, v33
	s_mul_hi_u32 s4, s3, s4
	v_or_b32_e32 v42, 24, v33
	s_add_co_i32 s3, s3, s4
	v_or_b32_e32 v43, 23, v33
	s_lshr_b32 s3, s3, 19
	v_or_b32_e32 v44, 22, v33
	s_mul_i32 s4, s3, s2
	s_add_co_i32 s11, s3, 1
	s_sub_co_i32 s5, 0x2000, s4
	s_mov_b32 s4, s0
	s_sub_co_i32 s12, s5, s2
	s_cmp_ge_u32 s5, s2
	v_or_b32_e32 v45, 21, v33
	s_cselect_b32 s0, s11, s3
	s_cselect_b32 s3, s12, s5
	s_add_co_i32 s5, s0, 1
	s_cmp_ge_u32 s3, s2
	s_load_b32 s3, s[6:7], s10 offset:0x0 scale_offset
	v_or_b32_e32 v46, 20, v33
	v_or_b32_e32 v47, 19, v33
	;; [unrolled: 1-line block ×20, first 2 shown]
	s_cselect_b32 s0, s5, s0
	s_mov_b32 s5, s1
	s_add_co_i32 s1, s0, 1
	s_branch .LBB125_2
.LBB125_1:                              ;   in Loop: Header=BB125_2 Depth=1
	s_or_b32 exec_lo, exec_lo, s0
	v_cmp_gt_u32_e64 s0, s3, v35
	s_add_co_i32 s2, s2, -1
	s_barrier_signal -1
	s_barrier_wait -1
	v_cndmask_b32_e64 v68, 0, v2, s0
	v_cmp_gt_u32_e64 s0, s3, v36
	s_delay_alu instid0(VALU_DEP_1) | instskip(SKIP_1) | instid1(VALU_DEP_1)
	v_cndmask_b32_e64 v69, 0, v3, s0
	v_cmp_gt_u32_e64 s0, s3, v65
	v_dual_sub_nc_u32 v69, v2, v69 :: v_dual_cndmask_b32 v70, 0, v32, s0
	v_cmp_gt_u32_e64 s0, s3, v38
	s_delay_alu instid0(VALU_DEP_1) | instskip(SKIP_1) | instid1(VALU_DEP_4)
	v_cndmask_b32_e64 v71, 0, v5, s0
	v_cmp_gt_u32_e64 s0, s3, v64
	v_dual_sub_nc_u32 v70, v31, v70 :: v_dual_sub_nc_u32 v68, v1, v68
	s_delay_alu instid0(VALU_DEP_3) | instskip(NEXT) | instid1(VALU_DEP_3)
	v_sub_nc_u32_e32 v71, v4, v71
	v_cndmask_b32_e64 v72, 0, v31, s0
	v_cmp_gt_u32_e64 s0, s3, v63
	v_dual_add_nc_u32 v32, v67, v32 :: v_dual_add_nc_u32 v2, v69, v2
	s_delay_alu instid0(VALU_DEP_2) | instskip(SKIP_2) | instid1(VALU_DEP_2)
	v_dual_add_nc_u32 v1, v68, v1 :: v_dual_cndmask_b32 v67, 0, v30, s0
	v_cmp_gt_u32_e64 s0, s3, v62
	v_sub_nc_u32_e32 v72, v30, v72
	v_dual_add_nc_u32 v31, v70, v31 :: v_dual_cndmask_b32 v70, 0, v29, s0
	v_cmp_gt_u32_e64 s0, s3, v61
	s_delay_alu instid0(VALU_DEP_3) | instskip(NEXT) | instid1(VALU_DEP_2)
	v_dual_sub_nc_u32 v67, v29, v67 :: v_dual_add_nc_u32 v30, v72, v30
	v_cndmask_b32_e64 v72, 0, v28, s0
	v_cmp_gt_u32_e64 s0, s3, v60
	s_delay_alu instid0(VALU_DEP_3) | instskip(NEXT) | instid1(VALU_DEP_2)
	v_dual_sub_nc_u32 v70, v28, v70 :: v_dual_add_nc_u32 v29, v67, v29
	v_dual_sub_nc_u32 v72, v27, v72 :: v_dual_cndmask_b32 v67, 0, v27, s0
	v_cmp_gt_u32_e64 s0, s3, v59
	s_delay_alu instid0(VALU_DEP_1) | instskip(SKIP_1) | instid1(VALU_DEP_4)
	v_dual_add_nc_u32 v28, v70, v28 :: v_dual_cndmask_b32 v70, 0, v26, s0
	v_cmp_gt_u32_e64 s0, s3, v58
	v_sub_nc_u32_e32 v67, v26, v67
	s_delay_alu instid0(VALU_DEP_3) | instskip(NEXT) | instid1(VALU_DEP_3)
	v_dual_add_nc_u32 v27, v72, v27 :: v_dual_sub_nc_u32 v70, v25, v70
	v_cndmask_b32_e64 v72, 0, v25, s0
	v_cmp_gt_u32_e64 s0, s3, v57
	s_delay_alu instid0(VALU_DEP_3) | instskip(NEXT) | instid1(VALU_DEP_3)
	v_dual_add_nc_u32 v26, v67, v26 :: v_dual_add_nc_u32 v25, v70, v25
	v_sub_nc_u32_e32 v72, v24, v72
	s_delay_alu instid0(VALU_DEP_3) | instskip(SKIP_1) | instid1(VALU_DEP_1)
	v_cndmask_b32_e64 v67, 0, v24, s0
	v_cmp_gt_u32_e64 s0, s3, v56
	v_dual_add_nc_u32 v24, v72, v24 :: v_dual_cndmask_b32 v70, 0, v23, s0
	v_cmp_gt_u32_e64 s0, s3, v55
	s_delay_alu instid0(VALU_DEP_1) | instskip(SKIP_1) | instid1(VALU_DEP_2)
	v_dual_sub_nc_u32 v67, v23, v67 :: v_dual_cndmask_b32 v72, 0, v22, s0
	v_cmp_gt_u32_e64 s0, s3, v54
	v_dual_sub_nc_u32 v70, v22, v70 :: v_dual_add_nc_u32 v23, v67, v23
	s_delay_alu instid0(VALU_DEP_2) | instskip(SKIP_1) | instid1(VALU_DEP_2)
	v_dual_sub_nc_u32 v72, v21, v72 :: v_dual_cndmask_b32 v67, 0, v21, s0
	v_cmp_gt_u32_e64 s0, s3, v53
	v_dual_add_nc_u32 v22, v70, v22 :: v_dual_add_nc_u32 v21, v72, v21
	s_delay_alu instid0(VALU_DEP_2) | instskip(SKIP_1) | instid1(VALU_DEP_2)
	v_cndmask_b32_e64 v70, 0, v20, s0
	v_cmp_gt_u32_e64 s0, s3, v52
	v_dual_sub_nc_u32 v67, v20, v67 :: v_dual_sub_nc_u32 v70, v19, v70
	s_delay_alu instid0(VALU_DEP_2) | instskip(SKIP_1) | instid1(VALU_DEP_2)
	v_cndmask_b32_e64 v73, 0, v19, s0
	v_cmp_gt_u32_e64 s0, s3, v51
	v_dual_add_nc_u32 v20, v67, v20 :: v_dual_sub_nc_u32 v73, v18, v73
	s_delay_alu instid0(VALU_DEP_2) | instskip(SKIP_1) | instid1(VALU_DEP_2)
	v_cndmask_b32_e64 v72, 0, v18, s0
	v_cmp_gt_u32_e64 s0, s3, v50
	v_dual_add_nc_u32 v19, v70, v19 :: v_dual_sub_nc_u32 v67, v17, v72
	s_delay_alu instid0(VALU_DEP_2) | instskip(SKIP_1) | instid1(VALU_DEP_1)
	v_cndmask_b32_e64 v74, 0, v17, s0
	v_cmp_gt_u32_e64 s0, s3, v49
	v_dual_add_nc_u32 v18, v73, v18 :: v_dual_cndmask_b32 v72, 0, v16, s0
	v_cmp_gt_u32_e64 s0, s3, v48
	s_delay_alu instid0(VALU_DEP_2) | instskip(NEXT) | instid1(VALU_DEP_2)
	v_dual_sub_nc_u32 v70, v16, v74 :: v_dual_sub_nc_u32 v72, v15, v72
	v_cndmask_b32_e64 v73, 0, v15, s0
	v_cmp_gt_u32_e64 s0, s3, v47
	s_delay_alu instid0(VALU_DEP_3) | instskip(NEXT) | instid1(VALU_DEP_2)
	v_dual_add_nc_u32 v17, v67, v17 :: v_dual_add_nc_u32 v16, v70, v16
	v_cndmask_b32_e64 v74, 0, v14, s0
	v_cmp_gt_u32_e64 s0, s3, v46
	v_dual_add_nc_u32 v15, v72, v15 :: v_dual_sub_nc_u32 v67, v14, v73
	s_delay_alu instid0(VALU_DEP_2) | instskip(SKIP_1) | instid1(VALU_DEP_2)
	v_dual_sub_nc_u32 v70, v13, v74 :: v_dual_cndmask_b32 v72, 0, v13, s0
	v_cmp_gt_u32_e64 s0, s3, v45
	v_dual_add_nc_u32 v14, v67, v14 :: v_dual_sub_nc_u32 v72, v12, v72
	s_delay_alu instid0(VALU_DEP_2) | instskip(SKIP_1) | instid1(VALU_DEP_3)
	v_cndmask_b32_e64 v73, 0, v12, s0
	v_cmp_gt_u32_e64 s0, s3, v44
	v_dual_add_nc_u32 v13, v70, v13 :: v_dual_add_nc_u32 v12, v72, v12
	s_delay_alu instid0(VALU_DEP_2) | instskip(SKIP_1) | instid1(VALU_DEP_2)
	v_cndmask_b32_e64 v74, 0, v11, s0
	v_cmp_gt_u32_e64 s0, s3, v43
	v_dual_sub_nc_u32 v67, v11, v73 :: v_dual_sub_nc_u32 v70, v10, v74
	s_delay_alu instid0(VALU_DEP_2) | instskip(SKIP_1) | instid1(VALU_DEP_3)
	v_cndmask_b32_e64 v72, 0, v10, s0
	v_cmp_gt_u32_e64 s0, s3, v42
	v_dual_add_nc_u32 v11, v67, v11 :: v_dual_add_nc_u32 v10, v70, v10
	s_delay_alu instid0(VALU_DEP_2) | instskip(SKIP_2) | instid1(VALU_DEP_2)
	v_cndmask_b32_e64 v73, 0, v9, s0
	v_cmp_gt_u32_e64 s0, s3, v41
	v_sub_nc_u32_e32 v72, v9, v72
	v_cndmask_b32_e64 v74, 0, v8, s0
	v_cmp_gt_u32_e64 s0, s3, v40
	v_sub_nc_u32_e32 v67, v8, v73
	s_delay_alu instid0(VALU_DEP_3) | instskip(NEXT) | instid1(VALU_DEP_3)
	v_dual_add_nc_u32 v9, v72, v9 :: v_dual_sub_nc_u32 v70, v7, v74
	v_cndmask_b32_e64 v72, 0, v7, s0
	v_cmp_gt_u32_e64 s0, s3, v39
	s_delay_alu instid0(VALU_DEP_1) | instskip(SKIP_2) | instid1(VALU_DEP_3)
	v_dual_add_nc_u32 v8, v67, v8 :: v_dual_cndmask_b32 v67, 0, v6, s0
	v_cmp_gt_u32_e64 s0, s3, v37
	v_add_nc_u32_e32 v7, v70, v7
	v_dual_sub_nc_u32 v72, v6, v72 :: v_dual_sub_nc_u32 v67, v5, v67
	s_delay_alu instid0(VALU_DEP_3) | instskip(SKIP_1) | instid1(VALU_DEP_2)
	v_cndmask_b32_e64 v70, 0, v4, s0
	s_add_co_i32 s0, s1, s3
	v_add_nc_u32_e32 v6, v72, v6
	s_and_b32 s3, s0, 0x1fff
	v_add_nc_u32_e32 v5, v67, v5
	v_sub_nc_u32_e32 v70, v3, v70
	v_add_nc_u32_e32 v4, v71, v4
	s_cmp_lg_u32 s2, 0
	s_delay_alu instid0(VALU_DEP_2)
	v_add_nc_u32_e32 v3, v70, v3
	s_cbranch_scc0 .LBB125_4
.LBB125_2:                              ; =>This Inner Loop Header: Depth=1
	s_wait_kmcnt 0x0
	v_cmp_gt_u32_e64 s0, s3, v33
	s_wait_loadcnt 0x1f
	v_mov_b32_e32 v67, v32
	s_wait_loadcnt 0x0
	ds_store_b32 v34, v1
	s_wait_dscnt 0x0
	s_barrier_signal -1
	s_and_b32 s6, vcc_lo, s0
	s_barrier_wait -1
	s_and_saveexec_b32 s0, s6
	s_cbranch_execz .LBB125_1
; %bb.3:                                ;   in Loop: Header=BB125_2 Depth=1
	ds_load_b32 v67, v66
	s_wait_dscnt 0x0
	v_sub_nc_u32_e32 v67, v32, v67
	s_branch .LBB125_1
.LBB125_4:
	s_add_nc_u64 s[0:1], s[4:5], s[8:9]
	s_clause 0x1f
	global_store_b32 v0, v32, s[0:1] scale_offset
	global_store_b32 v0, v31, s[0:1] offset:1024 scale_offset
	global_store_b32 v0, v30, s[0:1] offset:2048 scale_offset
	;; [unrolled: 1-line block ×31, first 2 shown]
	s_sendmsg sendmsg(MSG_DEALLOC_VGPRS)
	s_endpgm
	.section	.rodata,"a",@progbits
	.p2align	6, 0x0
	.amdhsa_kernel _Z6kernelI26subtract_left_partial_tileLj256ELj32ELb0EJPiS1_S1_jEEvDpT3_
		.amdhsa_group_segment_fixed_size 2048
		.amdhsa_private_segment_fixed_size 0
		.amdhsa_kernarg_size 28
		.amdhsa_user_sgpr_count 2
		.amdhsa_user_sgpr_dispatch_ptr 0
		.amdhsa_user_sgpr_queue_ptr 0
		.amdhsa_user_sgpr_kernarg_segment_ptr 1
		.amdhsa_user_sgpr_dispatch_id 0
		.amdhsa_user_sgpr_kernarg_preload_length 0
		.amdhsa_user_sgpr_kernarg_preload_offset 0
		.amdhsa_user_sgpr_private_segment_size 0
		.amdhsa_wavefront_size32 1
		.amdhsa_uses_dynamic_stack 0
		.amdhsa_enable_private_segment 0
		.amdhsa_system_sgpr_workgroup_id_x 1
		.amdhsa_system_sgpr_workgroup_id_y 0
		.amdhsa_system_sgpr_workgroup_id_z 0
		.amdhsa_system_sgpr_workgroup_info 0
		.amdhsa_system_vgpr_workitem_id 0
		.amdhsa_next_free_vgpr 75
		.amdhsa_next_free_sgpr 13
		.amdhsa_named_barrier_count 0
		.amdhsa_reserve_vcc 1
		.amdhsa_float_round_mode_32 0
		.amdhsa_float_round_mode_16_64 0
		.amdhsa_float_denorm_mode_32 3
		.amdhsa_float_denorm_mode_16_64 3
		.amdhsa_fp16_overflow 0
		.amdhsa_memory_ordered 1
		.amdhsa_forward_progress 1
		.amdhsa_inst_pref_size 18
		.amdhsa_round_robin_scheduling 0
		.amdhsa_exception_fp_ieee_invalid_op 0
		.amdhsa_exception_fp_denorm_src 0
		.amdhsa_exception_fp_ieee_div_zero 0
		.amdhsa_exception_fp_ieee_overflow 0
		.amdhsa_exception_fp_ieee_underflow 0
		.amdhsa_exception_fp_ieee_inexact 0
		.amdhsa_exception_int_div_zero 0
	.end_amdhsa_kernel
	.section	.text._Z6kernelI26subtract_left_partial_tileLj256ELj32ELb0EJPiS1_S1_jEEvDpT3_,"axG",@progbits,_Z6kernelI26subtract_left_partial_tileLj256ELj32ELb0EJPiS1_S1_jEEvDpT3_,comdat
.Lfunc_end125:
	.size	_Z6kernelI26subtract_left_partial_tileLj256ELj32ELb0EJPiS1_S1_jEEvDpT3_, .Lfunc_end125-_Z6kernelI26subtract_left_partial_tileLj256ELj32ELb0EJPiS1_S1_jEEvDpT3_
                                        ; -- End function
	.set _Z6kernelI26subtract_left_partial_tileLj256ELj32ELb0EJPiS1_S1_jEEvDpT3_.num_vgpr, 75
	.set _Z6kernelI26subtract_left_partial_tileLj256ELj32ELb0EJPiS1_S1_jEEvDpT3_.num_agpr, 0
	.set _Z6kernelI26subtract_left_partial_tileLj256ELj32ELb0EJPiS1_S1_jEEvDpT3_.numbered_sgpr, 13
	.set _Z6kernelI26subtract_left_partial_tileLj256ELj32ELb0EJPiS1_S1_jEEvDpT3_.num_named_barrier, 0
	.set _Z6kernelI26subtract_left_partial_tileLj256ELj32ELb0EJPiS1_S1_jEEvDpT3_.private_seg_size, 0
	.set _Z6kernelI26subtract_left_partial_tileLj256ELj32ELb0EJPiS1_S1_jEEvDpT3_.uses_vcc, 1
	.set _Z6kernelI26subtract_left_partial_tileLj256ELj32ELb0EJPiS1_S1_jEEvDpT3_.uses_flat_scratch, 0
	.set _Z6kernelI26subtract_left_partial_tileLj256ELj32ELb0EJPiS1_S1_jEEvDpT3_.has_dyn_sized_stack, 0
	.set _Z6kernelI26subtract_left_partial_tileLj256ELj32ELb0EJPiS1_S1_jEEvDpT3_.has_recursion, 0
	.set _Z6kernelI26subtract_left_partial_tileLj256ELj32ELb0EJPiS1_S1_jEEvDpT3_.has_indirect_call, 0
	.section	.AMDGPU.csdata,"",@progbits
; Kernel info:
; codeLenInByte = 2184
; TotalNumSgprs: 15
; NumVgprs: 75
; ScratchSize: 0
; MemoryBound: 0
; FloatMode: 240
; IeeeMode: 1
; LDSByteSize: 2048 bytes/workgroup (compile time only)
; SGPRBlocks: 0
; VGPRBlocks: 4
; NumSGPRsForWavesPerEU: 15
; NumVGPRsForWavesPerEU: 75
; NamedBarCnt: 0
; Occupancy: 12
; WaveLimiterHint : 1
; COMPUTE_PGM_RSRC2:SCRATCH_EN: 0
; COMPUTE_PGM_RSRC2:USER_SGPR: 2
; COMPUTE_PGM_RSRC2:TRAP_HANDLER: 0
; COMPUTE_PGM_RSRC2:TGID_X_EN: 1
; COMPUTE_PGM_RSRC2:TGID_Y_EN: 0
; COMPUTE_PGM_RSRC2:TGID_Z_EN: 0
; COMPUTE_PGM_RSRC2:TIDIG_COMP_CNT: 0
	.section	.text._Z6kernelI26subtract_left_partial_tileLj256ELj1ELb0EJPfPiS1_jEEvDpT3_,"axG",@progbits,_Z6kernelI26subtract_left_partial_tileLj256ELj1ELb0EJPfPiS1_jEEvDpT3_,comdat
	.protected	_Z6kernelI26subtract_left_partial_tileLj256ELj1ELb0EJPfPiS1_jEEvDpT3_ ; -- Begin function _Z6kernelI26subtract_left_partial_tileLj256ELj1ELb0EJPfPiS1_jEEvDpT3_
	.globl	_Z6kernelI26subtract_left_partial_tileLj256ELj1ELb0EJPfPiS1_jEEvDpT3_
	.p2align	8
	.type	_Z6kernelI26subtract_left_partial_tileLj256ELj1ELb0EJPfPiS1_jEEvDpT3_,@function
_Z6kernelI26subtract_left_partial_tileLj256ELj1ELb0EJPfPiS1_jEEvDpT3_: ; @_Z6kernelI26subtract_left_partial_tileLj256ELj1ELb0EJPfPiS1_jEEvDpT3_
; %bb.0:
	s_load_b128 s[8:11], s[0:1], 0x0
	s_bfe_u32 s2, ttmp6, 0x4000c
	s_and_b32 s3, ttmp6, 15
	s_add_co_i32 s2, s2, 1
	s_getreg_b32 s4, hwreg(HW_REG_IB_STS2, 6, 4)
	s_mul_i32 s2, ttmp9, s2
	v_cmp_ne_u32_e32 vcc_lo, 0, v0
	s_add_co_i32 s3, s3, s2
	s_cmp_eq_u32 s4, 0
	s_cselect_b32 s12, ttmp9, s3
	s_mov_b32 s3, 0
	s_lshl_b32 s2, s12, 8
	s_delay_alu instid0(SALU_CYCLE_1)
	s_lshl_b64 s[4:5], s[2:3], 2
	s_wait_xcnt 0x0
	s_load_b96 s[0:2], s[0:1], 0x10
	s_wait_kmcnt 0x0
	s_add_nc_u64 s[6:7], s[8:9], s[4:5]
	global_load_b32 v1, v0, s[6:7] scale_offset
	s_cvt_f32_u32 s3, s2
	s_wait_xcnt 0x0
	s_sub_co_i32 s6, 0, s2
	s_delay_alu instid0(SALU_CYCLE_1) | instskip(SKIP_1) | instid1(TRANS32_DEP_1)
	v_rcp_iflag_f32_e32 v2, s3
	v_nop
	v_readfirstlane_b32 s3, v2
	v_lshlrev_b32_e32 v2, 2, v0
	s_mul_f32 s3, s3, 0x4f7ffffe
	s_delay_alu instid0(VALU_DEP_1) | instskip(NEXT) | instid1(SALU_CYCLE_2)
	v_add_nc_u32_e32 v3, -4, v2
	s_cvt_u32_f32 s3, s3
	s_delay_alu instid0(SALU_CYCLE_3) | instskip(NEXT) | instid1(SALU_CYCLE_1)
	s_mul_i32 s6, s6, s3
	s_mul_hi_u32 s6, s3, s6
	s_delay_alu instid0(SALU_CYCLE_1) | instskip(SKIP_2) | instid1(SALU_CYCLE_1)
	s_add_co_i32 s6, s3, s6
	s_load_b32 s3, s[10:11], s12 offset:0x0 scale_offset
	s_lshr_b32 s7, s6, 24
	s_mul_i32 s6, s7, s2
	s_add_co_i32 s9, s7, 1
	s_sub_co_i32 s8, 0x100, s6
	s_mov_b32 s6, s0
	s_wait_xcnt 0x0
	s_sub_co_i32 s10, s8, s2
	s_cmp_ge_u32 s8, s2
	s_cselect_b32 s0, s9, s7
	s_cselect_b32 s7, s10, s8
	s_add_co_i32 s8, s0, 1
	s_cmp_ge_u32 s7, s2
	s_mov_b32 s7, s1
	s_cselect_b32 s0, s8, s0
	s_delay_alu instid0(SALU_CYCLE_1)
	s_add_co_i32 s1, s0, 1
	s_branch .LBB126_2
.LBB126_1:                              ;   in Loop: Header=BB126_2 Depth=1
	s_or_b32 exec_lo, exec_lo, s0
	s_add_co_i32 s0, s1, s3
	s_delay_alu instid0(VALU_DEP_1)
	v_add_f32_e32 v1, v1, v4
	s_add_co_i32 s2, s2, -1
	s_and_b32 s3, s0, 0xff
	s_cmp_lg_u32 s2, 0
	s_barrier_signal -1
	s_barrier_wait -1
	s_cbranch_scc0 .LBB126_4
.LBB126_2:                              ; =>This Inner Loop Header: Depth=1
	s_wait_kmcnt 0x0
	v_cmp_gt_u32_e64 s0, s3, v0
	s_wait_loadcnt 0x0
	v_mov_b32_e32 v4, v1
	ds_store_b32 v2, v1
	s_wait_dscnt 0x0
	s_barrier_signal -1
	s_and_b32 s8, vcc_lo, s0
	s_barrier_wait -1
	s_and_saveexec_b32 s0, s8
	s_cbranch_execz .LBB126_1
; %bb.3:                                ;   in Loop: Header=BB126_2 Depth=1
	ds_load_b32 v4, v3
	s_wait_dscnt 0x0
	v_sub_f32_e32 v4, v1, v4
	s_branch .LBB126_1
.LBB126_4:
	s_add_nc_u64 s[0:1], s[6:7], s[4:5]
	global_store_b32 v0, v1, s[0:1] scale_offset
	s_endpgm
	.section	.rodata,"a",@progbits
	.p2align	6, 0x0
	.amdhsa_kernel _Z6kernelI26subtract_left_partial_tileLj256ELj1ELb0EJPfPiS1_jEEvDpT3_
		.amdhsa_group_segment_fixed_size 2048
		.amdhsa_private_segment_fixed_size 0
		.amdhsa_kernarg_size 28
		.amdhsa_user_sgpr_count 2
		.amdhsa_user_sgpr_dispatch_ptr 0
		.amdhsa_user_sgpr_queue_ptr 0
		.amdhsa_user_sgpr_kernarg_segment_ptr 1
		.amdhsa_user_sgpr_dispatch_id 0
		.amdhsa_user_sgpr_kernarg_preload_length 0
		.amdhsa_user_sgpr_kernarg_preload_offset 0
		.amdhsa_user_sgpr_private_segment_size 0
		.amdhsa_wavefront_size32 1
		.amdhsa_uses_dynamic_stack 0
		.amdhsa_enable_private_segment 0
		.amdhsa_system_sgpr_workgroup_id_x 1
		.amdhsa_system_sgpr_workgroup_id_y 0
		.amdhsa_system_sgpr_workgroup_id_z 0
		.amdhsa_system_sgpr_workgroup_info 0
		.amdhsa_system_vgpr_workitem_id 0
		.amdhsa_next_free_vgpr 5
		.amdhsa_next_free_sgpr 13
		.amdhsa_named_barrier_count 0
		.amdhsa_reserve_vcc 1
		.amdhsa_float_round_mode_32 0
		.amdhsa_float_round_mode_16_64 0
		.amdhsa_float_denorm_mode_32 3
		.amdhsa_float_denorm_mode_16_64 3
		.amdhsa_fp16_overflow 0
		.amdhsa_memory_ordered 1
		.amdhsa_forward_progress 1
		.amdhsa_inst_pref_size 3
		.amdhsa_round_robin_scheduling 0
		.amdhsa_exception_fp_ieee_invalid_op 0
		.amdhsa_exception_fp_denorm_src 0
		.amdhsa_exception_fp_ieee_div_zero 0
		.amdhsa_exception_fp_ieee_overflow 0
		.amdhsa_exception_fp_ieee_underflow 0
		.amdhsa_exception_fp_ieee_inexact 0
		.amdhsa_exception_int_div_zero 0
	.end_amdhsa_kernel
	.section	.text._Z6kernelI26subtract_left_partial_tileLj256ELj1ELb0EJPfPiS1_jEEvDpT3_,"axG",@progbits,_Z6kernelI26subtract_left_partial_tileLj256ELj1ELb0EJPfPiS1_jEEvDpT3_,comdat
.Lfunc_end126:
	.size	_Z6kernelI26subtract_left_partial_tileLj256ELj1ELb0EJPfPiS1_jEEvDpT3_, .Lfunc_end126-_Z6kernelI26subtract_left_partial_tileLj256ELj1ELb0EJPfPiS1_jEEvDpT3_
                                        ; -- End function
	.set _Z6kernelI26subtract_left_partial_tileLj256ELj1ELb0EJPfPiS1_jEEvDpT3_.num_vgpr, 5
	.set _Z6kernelI26subtract_left_partial_tileLj256ELj1ELb0EJPfPiS1_jEEvDpT3_.num_agpr, 0
	.set _Z6kernelI26subtract_left_partial_tileLj256ELj1ELb0EJPfPiS1_jEEvDpT3_.numbered_sgpr, 13
	.set _Z6kernelI26subtract_left_partial_tileLj256ELj1ELb0EJPfPiS1_jEEvDpT3_.num_named_barrier, 0
	.set _Z6kernelI26subtract_left_partial_tileLj256ELj1ELb0EJPfPiS1_jEEvDpT3_.private_seg_size, 0
	.set _Z6kernelI26subtract_left_partial_tileLj256ELj1ELb0EJPfPiS1_jEEvDpT3_.uses_vcc, 1
	.set _Z6kernelI26subtract_left_partial_tileLj256ELj1ELb0EJPfPiS1_jEEvDpT3_.uses_flat_scratch, 0
	.set _Z6kernelI26subtract_left_partial_tileLj256ELj1ELb0EJPfPiS1_jEEvDpT3_.has_dyn_sized_stack, 0
	.set _Z6kernelI26subtract_left_partial_tileLj256ELj1ELb0EJPfPiS1_jEEvDpT3_.has_recursion, 0
	.set _Z6kernelI26subtract_left_partial_tileLj256ELj1ELb0EJPfPiS1_jEEvDpT3_.has_indirect_call, 0
	.section	.AMDGPU.csdata,"",@progbits
; Kernel info:
; codeLenInByte = 384
; TotalNumSgprs: 15
; NumVgprs: 5
; ScratchSize: 0
; MemoryBound: 0
; FloatMode: 240
; IeeeMode: 1
; LDSByteSize: 2048 bytes/workgroup (compile time only)
; SGPRBlocks: 0
; VGPRBlocks: 0
; NumSGPRsForWavesPerEU: 15
; NumVGPRsForWavesPerEU: 5
; NamedBarCnt: 0
; Occupancy: 16
; WaveLimiterHint : 0
; COMPUTE_PGM_RSRC2:SCRATCH_EN: 0
; COMPUTE_PGM_RSRC2:USER_SGPR: 2
; COMPUTE_PGM_RSRC2:TRAP_HANDLER: 0
; COMPUTE_PGM_RSRC2:TGID_X_EN: 1
; COMPUTE_PGM_RSRC2:TGID_Y_EN: 0
; COMPUTE_PGM_RSRC2:TGID_Z_EN: 0
; COMPUTE_PGM_RSRC2:TIDIG_COMP_CNT: 0
	.section	.text._Z6kernelI26subtract_left_partial_tileLj256ELj3ELb0EJPfPiS1_jEEvDpT3_,"axG",@progbits,_Z6kernelI26subtract_left_partial_tileLj256ELj3ELb0EJPfPiS1_jEEvDpT3_,comdat
	.protected	_Z6kernelI26subtract_left_partial_tileLj256ELj3ELb0EJPfPiS1_jEEvDpT3_ ; -- Begin function _Z6kernelI26subtract_left_partial_tileLj256ELj3ELb0EJPfPiS1_jEEvDpT3_
	.globl	_Z6kernelI26subtract_left_partial_tileLj256ELj3ELb0EJPfPiS1_jEEvDpT3_
	.p2align	8
	.type	_Z6kernelI26subtract_left_partial_tileLj256ELj3ELb0EJPfPiS1_jEEvDpT3_,@function
_Z6kernelI26subtract_left_partial_tileLj256ELj3ELb0EJPfPiS1_jEEvDpT3_: ; @_Z6kernelI26subtract_left_partial_tileLj256ELj3ELb0EJPfPiS1_jEEvDpT3_
; %bb.0:
	s_load_b128 s[8:11], s[0:1], 0x0
	s_bfe_u32 s2, ttmp6, 0x4000c
	s_and_b32 s3, ttmp6, 15
	s_add_co_i32 s2, s2, 1
	s_getreg_b32 s4, hwreg(HW_REG_IB_STS2, 6, 4)
	s_mul_i32 s2, ttmp9, s2
	v_lshlrev_b32_e32 v7, 2, v0
	s_add_co_i32 s3, s3, s2
	s_cmp_eq_u32 s4, 0
	v_mul_u32_u24_e32 v8, 3, v0
	s_cselect_b32 s12, ttmp9, s3
	s_mov_b32 s3, 0
	s_mul_i32 s2, s12, 0x300
	v_mad_u32_u24 v9, v0, 3, 2
	s_lshl_b64 s[4:5], s[2:3], 2
	s_wait_xcnt 0x0
	s_load_b96 s[0:2], s[0:1], 0x10
	v_mad_u32_u24 v10, v0, 3, 1
	v_add_nc_u32_e32 v11, -4, v7
	v_cmp_ne_u32_e32 vcc_lo, 0, v0
	s_wait_kmcnt 0x0
	s_add_nc_u64 s[6:7], s[8:9], s[4:5]
	s_clause 0x2
	global_load_b32 v2, v0, s[6:7] scale_offset
	global_load_b32 v3, v0, s[6:7] offset:1024 scale_offset
	global_load_b32 v1, v0, s[6:7] offset:2048 scale_offset
	s_cvt_f32_u32 s3, s2
	s_wait_xcnt 0x0
	s_sub_co_i32 s6, 0, s2
	s_delay_alu instid0(SALU_CYCLE_1) | instskip(SKIP_1) | instid1(TRANS32_DEP_1)
	v_rcp_iflag_f32_e32 v4, s3
	v_nop
	v_readfirstlane_b32 s3, v4
	s_mul_f32 s3, s3, 0x4f7ffffe
	s_delay_alu instid0(SALU_CYCLE_3) | instskip(NEXT) | instid1(SALU_CYCLE_3)
	s_cvt_u32_f32 s3, s3
	s_mul_i32 s6, s6, s3
	s_delay_alu instid0(SALU_CYCLE_1) | instskip(NEXT) | instid1(SALU_CYCLE_1)
	s_mul_hi_u32 s6, s3, s6
	s_add_co_i32 s3, s3, s6
	s_delay_alu instid0(SALU_CYCLE_1)
	s_mul_hi_u32 s7, s3, 0x300
	s_load_b32 s3, s[10:11], s12 offset:0x0 scale_offset
	s_mul_i32 s6, s7, s2
	s_add_co_i32 s9, s7, 1
	s_sub_co_i32 s8, 0x300, s6
	s_mov_b32 s6, s0
	s_wait_xcnt 0x0
	s_sub_co_i32 s10, s8, s2
	s_cmp_ge_u32 s8, s2
	s_cselect_b32 s0, s9, s7
	s_cselect_b32 s7, s10, s8
	s_add_co_i32 s8, s0, 1
	s_cmp_ge_u32 s7, s2
	s_mov_b32 s7, s1
	s_cselect_b32 s0, s8, s0
	s_delay_alu instid0(SALU_CYCLE_1)
	s_add_co_i32 s1, s0, 1
	s_branch .LBB127_2
.LBB127_1:                              ;   in Loop: Header=BB127_2 Depth=1
	s_or_b32 exec_lo, exec_lo, s0
	s_add_co_i32 s0, s1, s3
	s_delay_alu instid0(VALU_DEP_1)
	v_dual_add_f32 v3, v3, v13 :: v_dual_add_f32 v2, v2, v4
	s_mul_hi_u32 s3, s0, 0xaaaaaaab
	v_add_f32_e32 v1, v1, v12
	s_lshr_b32 s3, s3, 9
	s_add_co_i32 s2, s2, -1
	s_mulk_i32 s3, 0x300
	s_delay_alu instid0(SALU_CYCLE_1)
	s_sub_co_i32 s3, s0, s3
	s_cmp_lg_u32 s2, 0
	s_barrier_signal -1
	s_barrier_wait -1
	s_cbranch_scc0 .LBB127_4
.LBB127_2:                              ; =>This Inner Loop Header: Depth=1
	s_wait_loadcnt 0x0
	v_dual_sub_f32 v4, v1, v3 :: v_dual_sub_f32 v5, v3, v2
	s_wait_kmcnt 0x0
	v_cmp_gt_u32_e64 s0, s3, v9
	ds_store_b32 v7, v1
	s_wait_dscnt 0x0
	s_barrier_signal -1
	s_barrier_wait -1
	v_cndmask_b32_e64 v12, v1, v4, s0
	v_cmp_gt_u32_e64 s0, s3, v10
	s_delay_alu instid0(VALU_DEP_1) | instskip(SKIP_4) | instid1(SALU_CYCLE_1)
	v_cndmask_b32_e64 v13, v3, v5, s0
	v_cmp_gt_u32_e64 s0, s3, v8
	v_mov_b32_e32 v6, v4
	v_dual_mov_b32 v5, v3 :: v_dual_mov_b32 v4, v2
	s_and_b32 s8, vcc_lo, s0
	s_and_saveexec_b32 s0, s8
	s_cbranch_execz .LBB127_1
; %bb.3:                                ;   in Loop: Header=BB127_2 Depth=1
	ds_load_b32 v4, v11
	s_wait_dscnt 0x0
	v_sub_f32_e32 v4, v2, v4
	s_branch .LBB127_1
.LBB127_4:
	s_add_nc_u64 s[0:1], s[6:7], s[4:5]
	s_clause 0x2
	global_store_b32 v0, v2, s[0:1] scale_offset
	global_store_b32 v0, v3, s[0:1] offset:1024 scale_offset
	global_store_b32 v0, v1, s[0:1] offset:2048 scale_offset
	s_endpgm
	.section	.rodata,"a",@progbits
	.p2align	6, 0x0
	.amdhsa_kernel _Z6kernelI26subtract_left_partial_tileLj256ELj3ELb0EJPfPiS1_jEEvDpT3_
		.amdhsa_group_segment_fixed_size 2048
		.amdhsa_private_segment_fixed_size 0
		.amdhsa_kernarg_size 28
		.amdhsa_user_sgpr_count 2
		.amdhsa_user_sgpr_dispatch_ptr 0
		.amdhsa_user_sgpr_queue_ptr 0
		.amdhsa_user_sgpr_kernarg_segment_ptr 1
		.amdhsa_user_sgpr_dispatch_id 0
		.amdhsa_user_sgpr_kernarg_preload_length 0
		.amdhsa_user_sgpr_kernarg_preload_offset 0
		.amdhsa_user_sgpr_private_segment_size 0
		.amdhsa_wavefront_size32 1
		.amdhsa_uses_dynamic_stack 0
		.amdhsa_enable_private_segment 0
		.amdhsa_system_sgpr_workgroup_id_x 1
		.amdhsa_system_sgpr_workgroup_id_y 0
		.amdhsa_system_sgpr_workgroup_id_z 0
		.amdhsa_system_sgpr_workgroup_info 0
		.amdhsa_system_vgpr_workitem_id 0
		.amdhsa_next_free_vgpr 14
		.amdhsa_next_free_sgpr 13
		.amdhsa_named_barrier_count 0
		.amdhsa_reserve_vcc 1
		.amdhsa_float_round_mode_32 0
		.amdhsa_float_round_mode_16_64 0
		.amdhsa_float_denorm_mode_32 3
		.amdhsa_float_denorm_mode_16_64 3
		.amdhsa_fp16_overflow 0
		.amdhsa_memory_ordered 1
		.amdhsa_forward_progress 1
		.amdhsa_inst_pref_size 5
		.amdhsa_round_robin_scheduling 0
		.amdhsa_exception_fp_ieee_invalid_op 0
		.amdhsa_exception_fp_denorm_src 0
		.amdhsa_exception_fp_ieee_div_zero 0
		.amdhsa_exception_fp_ieee_overflow 0
		.amdhsa_exception_fp_ieee_underflow 0
		.amdhsa_exception_fp_ieee_inexact 0
		.amdhsa_exception_int_div_zero 0
	.end_amdhsa_kernel
	.section	.text._Z6kernelI26subtract_left_partial_tileLj256ELj3ELb0EJPfPiS1_jEEvDpT3_,"axG",@progbits,_Z6kernelI26subtract_left_partial_tileLj256ELj3ELb0EJPfPiS1_jEEvDpT3_,comdat
.Lfunc_end127:
	.size	_Z6kernelI26subtract_left_partial_tileLj256ELj3ELb0EJPfPiS1_jEEvDpT3_, .Lfunc_end127-_Z6kernelI26subtract_left_partial_tileLj256ELj3ELb0EJPfPiS1_jEEvDpT3_
                                        ; -- End function
	.set _Z6kernelI26subtract_left_partial_tileLj256ELj3ELb0EJPfPiS1_jEEvDpT3_.num_vgpr, 14
	.set _Z6kernelI26subtract_left_partial_tileLj256ELj3ELb0EJPfPiS1_jEEvDpT3_.num_agpr, 0
	.set _Z6kernelI26subtract_left_partial_tileLj256ELj3ELb0EJPfPiS1_jEEvDpT3_.numbered_sgpr, 13
	.set _Z6kernelI26subtract_left_partial_tileLj256ELj3ELb0EJPfPiS1_jEEvDpT3_.num_named_barrier, 0
	.set _Z6kernelI26subtract_left_partial_tileLj256ELj3ELb0EJPfPiS1_jEEvDpT3_.private_seg_size, 0
	.set _Z6kernelI26subtract_left_partial_tileLj256ELj3ELb0EJPfPiS1_jEEvDpT3_.uses_vcc, 1
	.set _Z6kernelI26subtract_left_partial_tileLj256ELj3ELb0EJPfPiS1_jEEvDpT3_.uses_flat_scratch, 0
	.set _Z6kernelI26subtract_left_partial_tileLj256ELj3ELb0EJPfPiS1_jEEvDpT3_.has_dyn_sized_stack, 0
	.set _Z6kernelI26subtract_left_partial_tileLj256ELj3ELb0EJPfPiS1_jEEvDpT3_.has_recursion, 0
	.set _Z6kernelI26subtract_left_partial_tileLj256ELj3ELb0EJPfPiS1_jEEvDpT3_.has_indirect_call, 0
	.section	.AMDGPU.csdata,"",@progbits
; Kernel info:
; codeLenInByte = 540
; TotalNumSgprs: 15
; NumVgprs: 14
; ScratchSize: 0
; MemoryBound: 0
; FloatMode: 240
; IeeeMode: 1
; LDSByteSize: 2048 bytes/workgroup (compile time only)
; SGPRBlocks: 0
; VGPRBlocks: 0
; NumSGPRsForWavesPerEU: 15
; NumVGPRsForWavesPerEU: 14
; NamedBarCnt: 0
; Occupancy: 16
; WaveLimiterHint : 1
; COMPUTE_PGM_RSRC2:SCRATCH_EN: 0
; COMPUTE_PGM_RSRC2:USER_SGPR: 2
; COMPUTE_PGM_RSRC2:TRAP_HANDLER: 0
; COMPUTE_PGM_RSRC2:TGID_X_EN: 1
; COMPUTE_PGM_RSRC2:TGID_Y_EN: 0
; COMPUTE_PGM_RSRC2:TGID_Z_EN: 0
; COMPUTE_PGM_RSRC2:TIDIG_COMP_CNT: 0
	.section	.text._Z6kernelI26subtract_left_partial_tileLj256ELj4ELb0EJPfPiS1_jEEvDpT3_,"axG",@progbits,_Z6kernelI26subtract_left_partial_tileLj256ELj4ELb0EJPfPiS1_jEEvDpT3_,comdat
	.protected	_Z6kernelI26subtract_left_partial_tileLj256ELj4ELb0EJPfPiS1_jEEvDpT3_ ; -- Begin function _Z6kernelI26subtract_left_partial_tileLj256ELj4ELb0EJPfPiS1_jEEvDpT3_
	.globl	_Z6kernelI26subtract_left_partial_tileLj256ELj4ELb0EJPfPiS1_jEEvDpT3_
	.p2align	8
	.type	_Z6kernelI26subtract_left_partial_tileLj256ELj4ELb0EJPfPiS1_jEEvDpT3_,@function
_Z6kernelI26subtract_left_partial_tileLj256ELj4ELb0EJPfPiS1_jEEvDpT3_: ; @_Z6kernelI26subtract_left_partial_tileLj256ELj4ELb0EJPfPiS1_jEEvDpT3_
; %bb.0:
	s_load_b128 s[8:11], s[0:1], 0x0
	s_bfe_u32 s2, ttmp6, 0x4000c
	s_and_b32 s3, ttmp6, 15
	s_add_co_i32 s2, s2, 1
	s_getreg_b32 s4, hwreg(HW_REG_IB_STS2, 6, 4)
	s_mul_i32 s2, ttmp9, s2
	v_cmp_ne_u32_e32 vcc_lo, 0, v0
	s_add_co_i32 s3, s3, s2
	s_cmp_eq_u32 s4, 0
	s_cselect_b32 s12, ttmp9, s3
	s_mov_b32 s3, 0
	s_lshl_b32 s2, s12, 10
	s_delay_alu instid0(SALU_CYCLE_1)
	s_lshl_b64 s[4:5], s[2:3], 2
	s_wait_xcnt 0x0
	s_load_b96 s[0:2], s[0:1], 0x10
	s_wait_kmcnt 0x0
	s_add_nc_u64 s[6:7], s[8:9], s[4:5]
	s_clause 0x3
	global_load_b32 v2, v0, s[6:7] scale_offset
	global_load_b32 v3, v0, s[6:7] offset:1024 scale_offset
	global_load_b32 v4, v0, s[6:7] offset:2048 scale_offset
	;; [unrolled: 1-line block ×3, first 2 shown]
	s_cvt_f32_u32 s3, s2
	s_wait_xcnt 0x0
	s_sub_co_i32 s6, 0, s2
	s_delay_alu instid0(SALU_CYCLE_1) | instskip(SKIP_1) | instid1(TRANS32_DEP_1)
	v_rcp_iflag_f32_e32 v1, s3
	v_nop
	v_readfirstlane_b32 s3, v1
	v_lshlrev_b32_e32 v1, 2, v0
	s_mul_f32 s3, s3, 0x4f7ffffe
	s_delay_alu instid0(VALU_DEP_1) | instskip(SKIP_1) | instid1(SALU_CYCLE_1)
	v_dual_add_nc_u32 v15, -4, v1 :: v_dual_bitop2_b32 v12, 3, v1 bitop3:0x54
	v_or_b32_e32 v13, 2, v1
	s_cvt_u32_f32 s3, s3
	v_or_b32_e32 v14, 1, v1
	s_delay_alu instid0(SALU_CYCLE_2) | instskip(NEXT) | instid1(SALU_CYCLE_1)
	s_mul_i32 s6, s6, s3
	s_mul_hi_u32 s6, s3, s6
	s_delay_alu instid0(SALU_CYCLE_1) | instskip(SKIP_4) | instid1(SALU_CYCLE_1)
	s_add_co_i32 s3, s3, s6
	s_mov_b32 s6, s0
	s_lshr_b32 s7, s3, 22
	s_load_b32 s3, s[10:11], s12 offset:0x0 scale_offset
	s_mul_i32 s8, s7, s2
	s_sub_co_i32 s0, 0x400, s8
	s_add_co_i32 s8, s7, 1
	s_sub_co_i32 s9, s0, s2
	s_cmp_ge_u32 s0, s2
	s_cselect_b32 s7, s8, s7
	s_cselect_b32 s0, s9, s0
	s_add_co_i32 s8, s7, 1
	s_cmp_ge_u32 s0, s2
	s_cselect_b32 s0, s8, s7
	s_mov_b32 s7, s1
	s_add_co_i32 s1, s0, 1
	s_branch .LBB128_2
.LBB128_1:                              ;   in Loop: Header=BB128_2 Depth=1
	s_or_b32 exec_lo, exec_lo, s0
	v_mov_b32_e32 v7, v16
	v_pk_add_f32 v[4:5], v[4:5], v[10:11]
	s_add_co_i32 s0, s1, s3
	s_add_co_i32 s2, s2, -1
	s_and_b32 s3, s0, 0x3ff
	v_pk_add_f32 v[2:3], v[2:3], v[6:7]
	s_cmp_lg_u32 s2, 0
	s_barrier_signal -1
	s_barrier_wait -1
	s_cbranch_scc0 .LBB128_4
.LBB128_2:                              ; =>This Inner Loop Header: Depth=1
	s_wait_loadcnt 0x0
	v_dual_sub_f32 v6, v5, v4 :: v_dual_sub_f32 v7, v4, v3
	s_wait_kmcnt 0x0
	v_cmp_gt_u32_e64 s0, s3, v12
	ds_store_b32 v1, v5
	s_wait_dscnt 0x0
	s_barrier_signal -1
	s_barrier_wait -1
	v_cndmask_b32_e64 v11, v5, v6, s0
	v_cmp_gt_u32_e64 s0, s3, v13
	v_sub_f32_e32 v8, v3, v2
	s_delay_alu instid0(VALU_DEP_2) | instskip(SKIP_1) | instid1(VALU_DEP_1)
	v_cndmask_b32_e64 v10, v4, v7, s0
	v_cmp_gt_u32_e64 s0, s3, v14
	v_cndmask_b32_e64 v16, v3, v8, s0
	v_mov_b64_e32 v[8:9], v[4:5]
	v_cmp_gt_u32_e64 s0, s3, v1
	v_mov_b64_e32 v[6:7], v[2:3]
	s_and_b32 s8, vcc_lo, s0
	s_delay_alu instid0(SALU_CYCLE_1)
	s_and_saveexec_b32 s0, s8
	s_cbranch_execz .LBB128_1
; %bb.3:                                ;   in Loop: Header=BB128_2 Depth=1
	ds_load_b32 v6, v15
	s_wait_dscnt 0x0
	v_sub_f32_e32 v6, v2, v6
	s_branch .LBB128_1
.LBB128_4:
	s_add_nc_u64 s[0:1], s[6:7], s[4:5]
	s_clause 0x3
	global_store_b32 v0, v2, s[0:1] scale_offset
	global_store_b32 v0, v3, s[0:1] offset:1024 scale_offset
	global_store_b32 v0, v4, s[0:1] offset:2048 scale_offset
	global_store_b32 v0, v5, s[0:1] offset:3072 scale_offset
	s_endpgm
	.section	.rodata,"a",@progbits
	.p2align	6, 0x0
	.amdhsa_kernel _Z6kernelI26subtract_left_partial_tileLj256ELj4ELb0EJPfPiS1_jEEvDpT3_
		.amdhsa_group_segment_fixed_size 2048
		.amdhsa_private_segment_fixed_size 0
		.amdhsa_kernarg_size 28
		.amdhsa_user_sgpr_count 2
		.amdhsa_user_sgpr_dispatch_ptr 0
		.amdhsa_user_sgpr_queue_ptr 0
		.amdhsa_user_sgpr_kernarg_segment_ptr 1
		.amdhsa_user_sgpr_dispatch_id 0
		.amdhsa_user_sgpr_kernarg_preload_length 0
		.amdhsa_user_sgpr_kernarg_preload_offset 0
		.amdhsa_user_sgpr_private_segment_size 0
		.amdhsa_wavefront_size32 1
		.amdhsa_uses_dynamic_stack 0
		.amdhsa_enable_private_segment 0
		.amdhsa_system_sgpr_workgroup_id_x 1
		.amdhsa_system_sgpr_workgroup_id_y 0
		.amdhsa_system_sgpr_workgroup_id_z 0
		.amdhsa_system_sgpr_workgroup_info 0
		.amdhsa_system_vgpr_workitem_id 0
		.amdhsa_next_free_vgpr 17
		.amdhsa_next_free_sgpr 13
		.amdhsa_named_barrier_count 0
		.amdhsa_reserve_vcc 1
		.amdhsa_float_round_mode_32 0
		.amdhsa_float_round_mode_16_64 0
		.amdhsa_float_denorm_mode_32 3
		.amdhsa_float_denorm_mode_16_64 3
		.amdhsa_fp16_overflow 0
		.amdhsa_memory_ordered 1
		.amdhsa_forward_progress 1
		.amdhsa_inst_pref_size 5
		.amdhsa_round_robin_scheduling 0
		.amdhsa_exception_fp_ieee_invalid_op 0
		.amdhsa_exception_fp_denorm_src 0
		.amdhsa_exception_fp_ieee_div_zero 0
		.amdhsa_exception_fp_ieee_overflow 0
		.amdhsa_exception_fp_ieee_underflow 0
		.amdhsa_exception_fp_ieee_inexact 0
		.amdhsa_exception_int_div_zero 0
	.end_amdhsa_kernel
	.section	.text._Z6kernelI26subtract_left_partial_tileLj256ELj4ELb0EJPfPiS1_jEEvDpT3_,"axG",@progbits,_Z6kernelI26subtract_left_partial_tileLj256ELj4ELb0EJPfPiS1_jEEvDpT3_,comdat
.Lfunc_end128:
	.size	_Z6kernelI26subtract_left_partial_tileLj256ELj4ELb0EJPfPiS1_jEEvDpT3_, .Lfunc_end128-_Z6kernelI26subtract_left_partial_tileLj256ELj4ELb0EJPfPiS1_jEEvDpT3_
                                        ; -- End function
	.set _Z6kernelI26subtract_left_partial_tileLj256ELj4ELb0EJPfPiS1_jEEvDpT3_.num_vgpr, 17
	.set _Z6kernelI26subtract_left_partial_tileLj256ELj4ELb0EJPfPiS1_jEEvDpT3_.num_agpr, 0
	.set _Z6kernelI26subtract_left_partial_tileLj256ELj4ELb0EJPfPiS1_jEEvDpT3_.numbered_sgpr, 13
	.set _Z6kernelI26subtract_left_partial_tileLj256ELj4ELb0EJPfPiS1_jEEvDpT3_.num_named_barrier, 0
	.set _Z6kernelI26subtract_left_partial_tileLj256ELj4ELb0EJPfPiS1_jEEvDpT3_.private_seg_size, 0
	.set _Z6kernelI26subtract_left_partial_tileLj256ELj4ELb0EJPfPiS1_jEEvDpT3_.uses_vcc, 1
	.set _Z6kernelI26subtract_left_partial_tileLj256ELj4ELb0EJPfPiS1_jEEvDpT3_.uses_flat_scratch, 0
	.set _Z6kernelI26subtract_left_partial_tileLj256ELj4ELb0EJPfPiS1_jEEvDpT3_.has_dyn_sized_stack, 0
	.set _Z6kernelI26subtract_left_partial_tileLj256ELj4ELb0EJPfPiS1_jEEvDpT3_.has_recursion, 0
	.set _Z6kernelI26subtract_left_partial_tileLj256ELj4ELb0EJPfPiS1_jEEvDpT3_.has_indirect_call, 0
	.section	.AMDGPU.csdata,"",@progbits
; Kernel info:
; codeLenInByte = 556
; TotalNumSgprs: 15
; NumVgprs: 17
; ScratchSize: 0
; MemoryBound: 0
; FloatMode: 240
; IeeeMode: 1
; LDSByteSize: 2048 bytes/workgroup (compile time only)
; SGPRBlocks: 0
; VGPRBlocks: 1
; NumSGPRsForWavesPerEU: 15
; NumVGPRsForWavesPerEU: 17
; NamedBarCnt: 0
; Occupancy: 16
; WaveLimiterHint : 1
; COMPUTE_PGM_RSRC2:SCRATCH_EN: 0
; COMPUTE_PGM_RSRC2:USER_SGPR: 2
; COMPUTE_PGM_RSRC2:TRAP_HANDLER: 0
; COMPUTE_PGM_RSRC2:TGID_X_EN: 1
; COMPUTE_PGM_RSRC2:TGID_Y_EN: 0
; COMPUTE_PGM_RSRC2:TGID_Z_EN: 0
; COMPUTE_PGM_RSRC2:TIDIG_COMP_CNT: 0
	.section	.text._Z6kernelI26subtract_left_partial_tileLj256ELj8ELb0EJPfPiS1_jEEvDpT3_,"axG",@progbits,_Z6kernelI26subtract_left_partial_tileLj256ELj8ELb0EJPfPiS1_jEEvDpT3_,comdat
	.protected	_Z6kernelI26subtract_left_partial_tileLj256ELj8ELb0EJPfPiS1_jEEvDpT3_ ; -- Begin function _Z6kernelI26subtract_left_partial_tileLj256ELj8ELb0EJPfPiS1_jEEvDpT3_
	.globl	_Z6kernelI26subtract_left_partial_tileLj256ELj8ELb0EJPfPiS1_jEEvDpT3_
	.p2align	8
	.type	_Z6kernelI26subtract_left_partial_tileLj256ELj8ELb0EJPfPiS1_jEEvDpT3_,@function
_Z6kernelI26subtract_left_partial_tileLj256ELj8ELb0EJPfPiS1_jEEvDpT3_: ; @_Z6kernelI26subtract_left_partial_tileLj256ELj8ELb0EJPfPiS1_jEEvDpT3_
; %bb.0:
	s_load_b128 s[4:7], s[0:1], 0x0
	s_bfe_u32 s2, ttmp6, 0x4000c
	s_and_b32 s3, ttmp6, 15
	s_add_co_i32 s2, s2, 1
	s_getreg_b32 s8, hwreg(HW_REG_IB_STS2, 6, 4)
	s_mul_i32 s2, ttmp9, s2
	v_dual_lshlrev_b32 v19, 3, v0 :: v_dual_lshlrev_b32 v24, 2, v0
	s_add_co_i32 s3, s3, s2
	s_cmp_eq_u32 s8, 0
	v_cmp_ne_u32_e32 vcc_lo, 0, v0
	s_cselect_b32 s10, ttmp9, s3
	s_mov_b32 s3, 0
	s_lshl_b32 s2, s10, 11
	v_or_b32_e32 v12, 6, v19
	s_lshl_b64 s[8:9], s[2:3], 2
	s_wait_xcnt 0x0
	s_load_b96 s[0:2], s[0:1], 0x10
	v_or_b32_e32 v13, 5, v19
	v_or_b32_e32 v16, 4, v19
	;; [unrolled: 1-line block ×3, first 2 shown]
	s_wait_kmcnt 0x0
	s_add_nc_u64 s[4:5], s[4:5], s[8:9]
	v_or_b32_e32 v18, 2, v19
	s_clause 0x7
	global_load_b32 v2, v0, s[4:5] scale_offset
	global_load_b32 v10, v0, s[4:5] offset:1024 scale_offset
	global_load_b32 v4, v0, s[4:5] offset:2048 scale_offset
	;; [unrolled: 1-line block ×7, first 2 shown]
	v_dual_add_nc_u32 v26, -4, v24 :: v_dual_bitop2_b32 v25, 1, v19 bitop3:0x54
	s_cvt_f32_u32 s3, s2
	s_wait_xcnt 0x0
	s_sub_co_i32 s4, 0, s2
	s_delay_alu instid0(SALU_CYCLE_1) | instskip(SKIP_1) | instid1(TRANS32_DEP_1)
	v_rcp_iflag_f32_e32 v1, s3
	v_nop
	v_readfirstlane_b32 s3, v1
	v_or_b32_e32 v1, 7, v19
	s_mul_f32 s3, s3, 0x4f7ffffe
	s_delay_alu instid0(SALU_CYCLE_3) | instskip(NEXT) | instid1(SALU_CYCLE_3)
	s_cvt_u32_f32 s3, s3
	s_mul_i32 s4, s4, s3
	s_delay_alu instid0(SALU_CYCLE_1) | instskip(NEXT) | instid1(SALU_CYCLE_1)
	s_mul_hi_u32 s4, s3, s4
	s_add_co_i32 s3, s3, s4
	s_mov_b32 s4, s0
	s_lshr_b32 s5, s3, 21
	s_delay_alu instid0(SALU_CYCLE_1)
	s_mul_i32 s3, s5, s2
	s_add_co_i32 s11, s5, 1
	s_sub_co_i32 s0, 0x800, s3
	s_load_b32 s3, s[6:7], s10 offset:0x0 scale_offset
	s_sub_co_i32 s12, s0, s2
	s_cmp_ge_u32 s0, s2
	s_cselect_b32 s5, s11, s5
	s_cselect_b32 s0, s12, s0
	s_wait_xcnt 0x0
	s_add_co_i32 s6, s5, 1
	s_cmp_ge_u32 s0, s2
	s_cselect_b32 s0, s6, s5
	s_mov_b32 s5, s1
	s_add_co_i32 s1, s0, 1
	s_branch .LBB129_2
.LBB129_1:                              ;   in Loop: Header=BB129_2 Depth=1
	s_or_b32 exec_lo, exec_lo, s0
	v_dual_mov_b32 v21, v8 :: v_dual_mov_b32 v7, v20
	v_dual_mov_b32 v15, v6 :: v_dual_mov_b32 v5, v14
	v_dual_mov_b32 v11, v4 :: v_dual_sub_f32 v3, v10, v2
	s_delay_alu instid0(VALU_DEP_3) | instskip(SKIP_1) | instid1(VALU_DEP_4)
	v_pk_add_f32 v[28:29], v[8:9], v[20:21] neg_lo:[0,1] neg_hi:[0,1]
	v_cmp_gt_u32_e64 s0, s3, v1
	v_pk_add_f32 v[30:31], v[6:7], v[14:15] neg_lo:[0,1] neg_hi:[0,1]
	s_delay_alu instid0(VALU_DEP_4)
	v_pk_add_f32 v[32:33], v[4:5], v[10:11] neg_lo:[0,1] neg_hi:[0,1]
	s_add_co_i32 s2, s2, -1
	v_cndmask_b32_e64 v11, v9, v29, s0
	v_cmp_gt_u32_e64 s0, s3, v13
	s_barrier_signal -1
	s_barrier_wait -1
	s_delay_alu instid0(VALU_DEP_1) | instskip(SKIP_1) | instid1(VALU_DEP_1)
	v_cndmask_b32_e64 v15, v20, v31, s0
	v_cmp_gt_u32_e64 s0, s3, v17
	v_cndmask_b32_e64 v21, v14, v33, s0
	v_cmp_gt_u32_e64 s0, s3, v18
	s_delay_alu instid0(VALU_DEP_1) | instskip(SKIP_1) | instid1(VALU_DEP_2)
	v_cndmask_b32_e64 v20, v4, v32, s0
	v_cmp_gt_u32_e64 s0, s3, v25
	v_pk_add_f32 v[4:5], v[4:5], v[20:21]
	s_delay_alu instid0(VALU_DEP_2) | instskip(SKIP_1) | instid1(VALU_DEP_2)
	v_dual_cndmask_b32 v23, v10, v3, s0 :: v_dual_mov_b32 v3, v10
	v_cmp_gt_u32_e64 s0, s3, v16
	v_pk_add_f32 v[2:3], v[2:3], v[22:23]
	s_delay_alu instid0(VALU_DEP_2) | instskip(SKIP_1) | instid1(VALU_DEP_1)
	v_cndmask_b32_e64 v14, v6, v30, s0
	v_cmp_gt_u32_e64 s0, s3, v12
	v_cndmask_b32_e64 v10, v8, v28, s0
	s_delay_alu instid0(VALU_DEP_3)
	v_pk_add_f32 v[6:7], v[6:7], v[14:15]
	s_add_co_i32 s0, s1, s3
	v_mov_b32_e32 v14, v5
	s_and_b32 s3, s0, 0x7ff
	v_pk_add_f32 v[8:9], v[8:9], v[10:11]
	v_dual_mov_b32 v10, v3 :: v_dual_mov_b32 v20, v7
	s_cmp_lg_u32 s2, 0
	s_cbranch_scc0 .LBB129_4
.LBB129_2:                              ; =>This Inner Loop Header: Depth=1
	s_wait_kmcnt 0x0
	v_cmp_gt_u32_e64 s0, s3, v19
	s_wait_loadcnt 0x7
	v_mov_b32_e32 v22, v2
	s_wait_loadcnt 0x0
	ds_store_b32 v24, v9
	s_wait_dscnt 0x0
	s_barrier_signal -1
	s_and_b32 s6, vcc_lo, s0
	s_barrier_wait -1
	s_and_saveexec_b32 s0, s6
	s_cbranch_execz .LBB129_1
; %bb.3:                                ;   in Loop: Header=BB129_2 Depth=1
	ds_load_b32 v3, v26
	s_wait_dscnt 0x0
	v_sub_f32_e32 v22, v2, v3
	s_branch .LBB129_1
.LBB129_4:
	s_add_nc_u64 s[0:1], s[4:5], s[8:9]
	s_clause 0x7
	global_store_b32 v0, v2, s[0:1] scale_offset
	global_store_b32 v0, v3, s[0:1] offset:1024 scale_offset
	global_store_b32 v0, v4, s[0:1] offset:2048 scale_offset
	;; [unrolled: 1-line block ×7, first 2 shown]
	s_endpgm
	.section	.rodata,"a",@progbits
	.p2align	6, 0x0
	.amdhsa_kernel _Z6kernelI26subtract_left_partial_tileLj256ELj8ELb0EJPfPiS1_jEEvDpT3_
		.amdhsa_group_segment_fixed_size 2048
		.amdhsa_private_segment_fixed_size 0
		.amdhsa_kernarg_size 28
		.amdhsa_user_sgpr_count 2
		.amdhsa_user_sgpr_dispatch_ptr 0
		.amdhsa_user_sgpr_queue_ptr 0
		.amdhsa_user_sgpr_kernarg_segment_ptr 1
		.amdhsa_user_sgpr_dispatch_id 0
		.amdhsa_user_sgpr_kernarg_preload_length 0
		.amdhsa_user_sgpr_kernarg_preload_offset 0
		.amdhsa_user_sgpr_private_segment_size 0
		.amdhsa_wavefront_size32 1
		.amdhsa_uses_dynamic_stack 0
		.amdhsa_enable_private_segment 0
		.amdhsa_system_sgpr_workgroup_id_x 1
		.amdhsa_system_sgpr_workgroup_id_y 0
		.amdhsa_system_sgpr_workgroup_id_z 0
		.amdhsa_system_sgpr_workgroup_info 0
		.amdhsa_system_vgpr_workitem_id 0
		.amdhsa_next_free_vgpr 34
		.amdhsa_next_free_sgpr 13
		.amdhsa_named_barrier_count 0
		.amdhsa_reserve_vcc 1
		.amdhsa_float_round_mode_32 0
		.amdhsa_float_round_mode_16_64 0
		.amdhsa_float_denorm_mode_32 3
		.amdhsa_float_denorm_mode_16_64 3
		.amdhsa_fp16_overflow 0
		.amdhsa_memory_ordered 1
		.amdhsa_forward_progress 1
		.amdhsa_inst_pref_size 7
		.amdhsa_round_robin_scheduling 0
		.amdhsa_exception_fp_ieee_invalid_op 0
		.amdhsa_exception_fp_denorm_src 0
		.amdhsa_exception_fp_ieee_div_zero 0
		.amdhsa_exception_fp_ieee_overflow 0
		.amdhsa_exception_fp_ieee_underflow 0
		.amdhsa_exception_fp_ieee_inexact 0
		.amdhsa_exception_int_div_zero 0
	.end_amdhsa_kernel
	.section	.text._Z6kernelI26subtract_left_partial_tileLj256ELj8ELb0EJPfPiS1_jEEvDpT3_,"axG",@progbits,_Z6kernelI26subtract_left_partial_tileLj256ELj8ELb0EJPfPiS1_jEEvDpT3_,comdat
.Lfunc_end129:
	.size	_Z6kernelI26subtract_left_partial_tileLj256ELj8ELb0EJPfPiS1_jEEvDpT3_, .Lfunc_end129-_Z6kernelI26subtract_left_partial_tileLj256ELj8ELb0EJPfPiS1_jEEvDpT3_
                                        ; -- End function
	.set _Z6kernelI26subtract_left_partial_tileLj256ELj8ELb0EJPfPiS1_jEEvDpT3_.num_vgpr, 34
	.set _Z6kernelI26subtract_left_partial_tileLj256ELj8ELb0EJPfPiS1_jEEvDpT3_.num_agpr, 0
	.set _Z6kernelI26subtract_left_partial_tileLj256ELj8ELb0EJPfPiS1_jEEvDpT3_.numbered_sgpr, 13
	.set _Z6kernelI26subtract_left_partial_tileLj256ELj8ELb0EJPfPiS1_jEEvDpT3_.num_named_barrier, 0
	.set _Z6kernelI26subtract_left_partial_tileLj256ELj8ELb0EJPfPiS1_jEEvDpT3_.private_seg_size, 0
	.set _Z6kernelI26subtract_left_partial_tileLj256ELj8ELb0EJPfPiS1_jEEvDpT3_.uses_vcc, 1
	.set _Z6kernelI26subtract_left_partial_tileLj256ELj8ELb0EJPfPiS1_jEEvDpT3_.uses_flat_scratch, 0
	.set _Z6kernelI26subtract_left_partial_tileLj256ELj8ELb0EJPfPiS1_jEEvDpT3_.has_dyn_sized_stack, 0
	.set _Z6kernelI26subtract_left_partial_tileLj256ELj8ELb0EJPfPiS1_jEEvDpT3_.has_recursion, 0
	.set _Z6kernelI26subtract_left_partial_tileLj256ELj8ELb0EJPfPiS1_jEEvDpT3_.has_indirect_call, 0
	.section	.AMDGPU.csdata,"",@progbits
; Kernel info:
; codeLenInByte = 840
; TotalNumSgprs: 15
; NumVgprs: 34
; ScratchSize: 0
; MemoryBound: 0
; FloatMode: 240
; IeeeMode: 1
; LDSByteSize: 2048 bytes/workgroup (compile time only)
; SGPRBlocks: 0
; VGPRBlocks: 2
; NumSGPRsForWavesPerEU: 15
; NumVGPRsForWavesPerEU: 34
; NamedBarCnt: 0
; Occupancy: 16
; WaveLimiterHint : 1
; COMPUTE_PGM_RSRC2:SCRATCH_EN: 0
; COMPUTE_PGM_RSRC2:USER_SGPR: 2
; COMPUTE_PGM_RSRC2:TRAP_HANDLER: 0
; COMPUTE_PGM_RSRC2:TGID_X_EN: 1
; COMPUTE_PGM_RSRC2:TGID_Y_EN: 0
; COMPUTE_PGM_RSRC2:TGID_Z_EN: 0
; COMPUTE_PGM_RSRC2:TIDIG_COMP_CNT: 0
	.section	.text._Z6kernelI26subtract_left_partial_tileLj256ELj16ELb0EJPfPiS1_jEEvDpT3_,"axG",@progbits,_Z6kernelI26subtract_left_partial_tileLj256ELj16ELb0EJPfPiS1_jEEvDpT3_,comdat
	.protected	_Z6kernelI26subtract_left_partial_tileLj256ELj16ELb0EJPfPiS1_jEEvDpT3_ ; -- Begin function _Z6kernelI26subtract_left_partial_tileLj256ELj16ELb0EJPfPiS1_jEEvDpT3_
	.globl	_Z6kernelI26subtract_left_partial_tileLj256ELj16ELb0EJPfPiS1_jEEvDpT3_
	.p2align	8
	.type	_Z6kernelI26subtract_left_partial_tileLj256ELj16ELb0EJPfPiS1_jEEvDpT3_,@function
_Z6kernelI26subtract_left_partial_tileLj256ELj16ELb0EJPfPiS1_jEEvDpT3_: ; @_Z6kernelI26subtract_left_partial_tileLj256ELj16ELb0EJPfPiS1_jEEvDpT3_
; %bb.0:
	s_load_b128 s[4:7], s[0:1], 0x0
	s_bfe_u32 s2, ttmp6, 0x4000c
	s_and_b32 s3, ttmp6, 15
	s_add_co_i32 s2, s2, 1
	s_getreg_b32 s8, hwreg(HW_REG_IB_STS2, 6, 4)
	s_mul_i32 s2, ttmp9, s2
	v_dual_lshlrev_b32 v22, 4, v0 :: v_dual_lshlrev_b32 v23, 2, v0
	s_add_co_i32 s3, s3, s2
	s_cmp_eq_u32 s8, 0
	v_cmp_ne_u32_e32 vcc_lo, 0, v0
	s_cselect_b32 s10, ttmp9, s3
	s_mov_b32 s3, 0
	s_lshl_b32 s2, s10, 12
	v_dual_add_nc_u32 v37, -4, v23 :: v_dual_bitop2_b32 v24, 15, v22 bitop3:0x54
	s_lshl_b64 s[8:9], s[2:3], 2
	s_wait_xcnt 0x0
	s_load_b96 s[0:2], s[0:1], 0x10
	v_or_b32_e32 v26, 13, v22
	v_or_b32_e32 v27, 12, v22
	s_wait_kmcnt 0x0
	s_add_nc_u64 s[4:5], s[4:5], s[8:9]
	v_or_b32_e32 v28, 11, v22
	s_clause 0xf
	global_load_b32 v5, v0, s[4:5] scale_offset
	global_load_b32 v3, v0, s[4:5] offset:1024 scale_offset
	global_load_b32 v2, v0, s[4:5] offset:2048 scale_offset
	;; [unrolled: 1-line block ×15, first 2 shown]
	v_or_b32_e32 v25, 14, v22
	v_or_b32_e32 v29, 10, v22
	;; [unrolled: 1-line block ×10, first 2 shown]
	s_cvt_f32_u32 s3, s2
	s_wait_xcnt 0x0
	s_sub_co_i32 s4, 0, s2
	s_delay_alu instid0(SALU_CYCLE_1) | instskip(SKIP_1) | instid1(TRANS32_DEP_1)
	v_rcp_iflag_f32_e32 v1, s3
	v_nop
	v_readfirstlane_b32 s3, v1
	v_or_b32_e32 v1, 1, v22
	s_mul_f32 s3, s3, 0x4f7ffffe
	s_delay_alu instid0(SALU_CYCLE_3) | instskip(NEXT) | instid1(SALU_CYCLE_3)
	s_cvt_u32_f32 s3, s3
	s_mul_i32 s4, s4, s3
	s_delay_alu instid0(SALU_CYCLE_1) | instskip(NEXT) | instid1(SALU_CYCLE_1)
	s_mul_hi_u32 s4, s3, s4
	s_add_co_i32 s3, s3, s4
	s_mov_b32 s4, s0
	s_lshr_b32 s5, s3, 20
	s_delay_alu instid0(SALU_CYCLE_1)
	s_mul_i32 s3, s5, s2
	s_add_co_i32 s11, s5, 1
	s_sub_co_i32 s0, 0x1000, s3
	s_load_b32 s3, s[6:7], s10 offset:0x0 scale_offset
	s_sub_co_i32 s12, s0, s2
	s_cmp_ge_u32 s0, s2
	s_cselect_b32 s5, s11, s5
	s_cselect_b32 s0, s12, s0
	s_wait_xcnt 0x0
	s_add_co_i32 s6, s5, 1
	s_cmp_ge_u32 s0, s2
	s_cselect_b32 s0, s6, s5
	s_mov_b32 s5, s1
	s_add_co_i32 s1, s0, 1
	s_wait_loadcnt 0xe
	v_mov_b32_e32 v4, v3
	s_branch .LBB130_2
.LBB130_1:                              ;   in Loop: Header=BB130_2 Depth=1
	s_or_b32 exec_lo, exec_lo, s0
	v_dual_sub_f32 v8, v7, v10 :: v_dual_sub_f32 v38, v10, v11
	v_cmp_gt_u32_e64 s0, s3, v24
	s_add_co_i32 s2, s2, -1
	s_barrier_signal -1
	s_barrier_wait -1
	v_dual_cndmask_b32 v40, v7, v8, s0 :: v_dual_sub_f32 v8, v12, v13
	v_cmp_gt_u32_e64 s0, s3, v25
	v_sub_f32_e32 v39, v11, v12
	s_delay_alu instid0(VALU_DEP_3) | instskip(NEXT) | instid1(VALU_DEP_3)
	v_add_f32_e32 v7, v7, v40
	v_dual_sub_f32 v50, v19, v20 :: v_dual_cndmask_b32 v41, v10, v38, s0
	v_cmp_gt_u32_e64 s0, s3, v26
	s_delay_alu instid0(VALU_DEP_2) | instskip(NEXT) | instid1(VALU_DEP_2)
	v_dual_sub_f32 v38, v13, v14 :: v_dual_add_f32 v10, v10, v41
	v_cndmask_b32_e64 v42, v11, v39, s0
	v_cmp_gt_u32_e64 s0, s3, v27
	s_delay_alu instid0(VALU_DEP_1) | instskip(SKIP_2) | instid1(VALU_DEP_1)
	v_dual_add_f32 v11, v11, v42 :: v_dual_cndmask_b32 v43, v12, v8, s0
	v_sub_f32_e32 v8, v14, v15
	v_cmp_gt_u32_e64 s0, s3, v28
	v_dual_add_f32 v12, v12, v43 :: v_dual_cndmask_b32 v44, v13, v38, s0
	v_sub_f32_e32 v38, v15, v16
	v_cmp_gt_u32_e64 s0, s3, v29
	s_delay_alu instid0(VALU_DEP_3) | instskip(NEXT) | instid1(VALU_DEP_2)
	v_add_f32_e32 v13, v13, v44
	v_dual_cndmask_b32 v45, v14, v8, s0 :: v_dual_sub_f32 v8, v16, v17
	v_cmp_gt_u32_e64 s0, s3, v30
	s_delay_alu instid0(VALU_DEP_1) | instskip(SKIP_1) | instid1(VALU_DEP_1)
	v_dual_add_f32 v14, v14, v45 :: v_dual_cndmask_b32 v46, v15, v38, s0
	v_cmp_gt_u32_e64 s0, s3, v31
	v_dual_sub_f32 v38, v17, v18 :: v_dual_cndmask_b32 v47, v16, v8, s0
	v_cmp_gt_u32_e64 s0, s3, v32
	s_delay_alu instid0(VALU_DEP_4) | instskip(NEXT) | instid1(VALU_DEP_2)
	v_dual_sub_f32 v8, v18, v19 :: v_dual_add_f32 v15, v15, v46
	v_dual_add_f32 v16, v16, v47 :: v_dual_cndmask_b32 v48, v17, v38, s0
	v_cmp_gt_u32_e64 s0, s3, v33
	v_pk_add_f32 v[38:39], v[2:3], v[4:5] neg_lo:[0,1] neg_hi:[0,1]
	s_delay_alu instid0(VALU_DEP_2) | instskip(SKIP_2) | instid1(VALU_DEP_2)
	v_cndmask_b32_e64 v49, v18, v8, s0
	v_cmp_gt_u32_e64 s0, s3, v1
	v_dual_sub_f32 v8, v20, v21 :: v_dual_add_f32 v17, v17, v48
	v_dual_add_f32 v18, v18, v49 :: v_dual_cndmask_b32 v39, v3, v39, s0
	v_cmp_gt_u32_e64 s0, s3, v35
	s_delay_alu instid0(VALU_DEP_1) | instskip(SKIP_1) | instid1(VALU_DEP_1)
	v_dual_sub_f32 v52, v21, v2 :: v_dual_cndmask_b32 v51, v20, v8, s0
	v_cmp_gt_u32_e64 s0, s3, v6
	v_dual_mov_b32 v8, v39 :: v_dual_cndmask_b32 v38, v2, v38, s0
	v_cmp_gt_u32_e64 s0, s3, v36
	s_delay_alu instid0(VALU_DEP_2) | instskip(NEXT) | instid1(VALU_DEP_2)
	v_pk_add_f32 v[4:5], v[4:5], v[8:9]
	v_cndmask_b32_e64 v52, v21, v52, s0
	v_cmp_gt_u32_e64 s0, s3, v34
	v_pk_add_f32 v[2:3], v[2:3], v[38:39]
	s_delay_alu instid0(VALU_DEP_2) | instskip(SKIP_2) | instid1(SALU_CYCLE_1)
	v_dual_add_f32 v21, v21, v52 :: v_dual_cndmask_b32 v50, v19, v50, s0
	v_add_f32_e32 v20, v20, v51
	s_add_co_i32 s0, s1, s3
	s_and_b32 s3, s0, 0xfff
	s_delay_alu instid0(VALU_DEP_2)
	v_add_f32_e32 v19, v19, v50
	s_cmp_lg_u32 s2, 0
	s_cbranch_scc0 .LBB130_4
.LBB130_2:                              ; =>This Inner Loop Header: Depth=1
	s_wait_kmcnt 0x0
	v_cmp_gt_u32_e64 s0, s3, v22
	v_mov_b32_e32 v9, v5
	s_wait_loadcnt 0x0
	ds_store_b32 v23, v7
	s_wait_dscnt 0x0
	s_barrier_signal -1
	s_and_b32 s6, vcc_lo, s0
	s_barrier_wait -1
	s_and_saveexec_b32 s0, s6
	s_cbranch_execz .LBB130_1
; %bb.3:                                ;   in Loop: Header=BB130_2 Depth=1
	ds_load_b32 v8, v37
	s_wait_dscnt 0x0
	v_sub_f32_e32 v9, v5, v8
	s_branch .LBB130_1
.LBB130_4:
	s_add_nc_u64 s[0:1], s[4:5], s[8:9]
	s_clause 0xf
	global_store_b32 v0, v5, s[0:1] scale_offset
	global_store_b32 v0, v3, s[0:1] offset:1024 scale_offset
	global_store_b32 v0, v2, s[0:1] offset:2048 scale_offset
	;; [unrolled: 1-line block ×15, first 2 shown]
	s_endpgm
	.section	.rodata,"a",@progbits
	.p2align	6, 0x0
	.amdhsa_kernel _Z6kernelI26subtract_left_partial_tileLj256ELj16ELb0EJPfPiS1_jEEvDpT3_
		.amdhsa_group_segment_fixed_size 2048
		.amdhsa_private_segment_fixed_size 0
		.amdhsa_kernarg_size 28
		.amdhsa_user_sgpr_count 2
		.amdhsa_user_sgpr_dispatch_ptr 0
		.amdhsa_user_sgpr_queue_ptr 0
		.amdhsa_user_sgpr_kernarg_segment_ptr 1
		.amdhsa_user_sgpr_dispatch_id 0
		.amdhsa_user_sgpr_kernarg_preload_length 0
		.amdhsa_user_sgpr_kernarg_preload_offset 0
		.amdhsa_user_sgpr_private_segment_size 0
		.amdhsa_wavefront_size32 1
		.amdhsa_uses_dynamic_stack 0
		.amdhsa_enable_private_segment 0
		.amdhsa_system_sgpr_workgroup_id_x 1
		.amdhsa_system_sgpr_workgroup_id_y 0
		.amdhsa_system_sgpr_workgroup_id_z 0
		.amdhsa_system_sgpr_workgroup_info 0
		.amdhsa_system_vgpr_workitem_id 0
		.amdhsa_next_free_vgpr 53
		.amdhsa_next_free_sgpr 13
		.amdhsa_named_barrier_count 0
		.amdhsa_reserve_vcc 1
		.amdhsa_float_round_mode_32 0
		.amdhsa_float_round_mode_16_64 0
		.amdhsa_float_denorm_mode_32 3
		.amdhsa_float_denorm_mode_16_64 3
		.amdhsa_fp16_overflow 0
		.amdhsa_memory_ordered 1
		.amdhsa_forward_progress 1
		.amdhsa_inst_pref_size 10
		.amdhsa_round_robin_scheduling 0
		.amdhsa_exception_fp_ieee_invalid_op 0
		.amdhsa_exception_fp_denorm_src 0
		.amdhsa_exception_fp_ieee_div_zero 0
		.amdhsa_exception_fp_ieee_overflow 0
		.amdhsa_exception_fp_ieee_underflow 0
		.amdhsa_exception_fp_ieee_inexact 0
		.amdhsa_exception_int_div_zero 0
	.end_amdhsa_kernel
	.section	.text._Z6kernelI26subtract_left_partial_tileLj256ELj16ELb0EJPfPiS1_jEEvDpT3_,"axG",@progbits,_Z6kernelI26subtract_left_partial_tileLj256ELj16ELb0EJPfPiS1_jEEvDpT3_,comdat
.Lfunc_end130:
	.size	_Z6kernelI26subtract_left_partial_tileLj256ELj16ELb0EJPfPiS1_jEEvDpT3_, .Lfunc_end130-_Z6kernelI26subtract_left_partial_tileLj256ELj16ELb0EJPfPiS1_jEEvDpT3_
                                        ; -- End function
	.set _Z6kernelI26subtract_left_partial_tileLj256ELj16ELb0EJPfPiS1_jEEvDpT3_.num_vgpr, 53
	.set _Z6kernelI26subtract_left_partial_tileLj256ELj16ELb0EJPfPiS1_jEEvDpT3_.num_agpr, 0
	.set _Z6kernelI26subtract_left_partial_tileLj256ELj16ELb0EJPfPiS1_jEEvDpT3_.numbered_sgpr, 13
	.set _Z6kernelI26subtract_left_partial_tileLj256ELj16ELb0EJPfPiS1_jEEvDpT3_.num_named_barrier, 0
	.set _Z6kernelI26subtract_left_partial_tileLj256ELj16ELb0EJPfPiS1_jEEvDpT3_.private_seg_size, 0
	.set _Z6kernelI26subtract_left_partial_tileLj256ELj16ELb0EJPfPiS1_jEEvDpT3_.uses_vcc, 1
	.set _Z6kernelI26subtract_left_partial_tileLj256ELj16ELb0EJPfPiS1_jEEvDpT3_.uses_flat_scratch, 0
	.set _Z6kernelI26subtract_left_partial_tileLj256ELj16ELb0EJPfPiS1_jEEvDpT3_.has_dyn_sized_stack, 0
	.set _Z6kernelI26subtract_left_partial_tileLj256ELj16ELb0EJPfPiS1_jEEvDpT3_.has_recursion, 0
	.set _Z6kernelI26subtract_left_partial_tileLj256ELj16ELb0EJPfPiS1_jEEvDpT3_.has_indirect_call, 0
	.section	.AMDGPU.csdata,"",@progbits
; Kernel info:
; codeLenInByte = 1240
; TotalNumSgprs: 15
; NumVgprs: 53
; ScratchSize: 0
; MemoryBound: 0
; FloatMode: 240
; IeeeMode: 1
; LDSByteSize: 2048 bytes/workgroup (compile time only)
; SGPRBlocks: 0
; VGPRBlocks: 3
; NumSGPRsForWavesPerEU: 15
; NumVGPRsForWavesPerEU: 53
; NamedBarCnt: 0
; Occupancy: 16
; WaveLimiterHint : 1
; COMPUTE_PGM_RSRC2:SCRATCH_EN: 0
; COMPUTE_PGM_RSRC2:USER_SGPR: 2
; COMPUTE_PGM_RSRC2:TRAP_HANDLER: 0
; COMPUTE_PGM_RSRC2:TGID_X_EN: 1
; COMPUTE_PGM_RSRC2:TGID_Y_EN: 0
; COMPUTE_PGM_RSRC2:TGID_Z_EN: 0
; COMPUTE_PGM_RSRC2:TIDIG_COMP_CNT: 0
	.section	.text._Z6kernelI26subtract_left_partial_tileLj256ELj32ELb0EJPfPiS1_jEEvDpT3_,"axG",@progbits,_Z6kernelI26subtract_left_partial_tileLj256ELj32ELb0EJPfPiS1_jEEvDpT3_,comdat
	.protected	_Z6kernelI26subtract_left_partial_tileLj256ELj32ELb0EJPfPiS1_jEEvDpT3_ ; -- Begin function _Z6kernelI26subtract_left_partial_tileLj256ELj32ELb0EJPfPiS1_jEEvDpT3_
	.globl	_Z6kernelI26subtract_left_partial_tileLj256ELj32ELb0EJPfPiS1_jEEvDpT3_
	.p2align	8
	.type	_Z6kernelI26subtract_left_partial_tileLj256ELj32ELb0EJPfPiS1_jEEvDpT3_,@function
_Z6kernelI26subtract_left_partial_tileLj256ELj32ELb0EJPfPiS1_jEEvDpT3_: ; @_Z6kernelI26subtract_left_partial_tileLj256ELj32ELb0EJPfPiS1_jEEvDpT3_
; %bb.0:
	s_load_b128 s[4:7], s[0:1], 0x0
	s_bfe_u32 s2, ttmp6, 0x4000c
	s_and_b32 s3, ttmp6, 15
	s_add_co_i32 s2, s2, 1
	s_getreg_b32 s8, hwreg(HW_REG_IB_STS2, 6, 4)
	s_mul_i32 s2, ttmp9, s2
	s_mov_b32 s9, 0
	s_add_co_i32 s3, s3, s2
	s_cmp_eq_u32 s8, 0
	v_dual_lshlrev_b32 v38, 5, v0 :: v_dual_lshlrev_b32 v39, 2, v0
	s_cselect_b32 s2, ttmp9, s3
	v_cmp_ne_u32_e32 vcc_lo, 0, v0
	s_lshl_b32 s8, s2, 13
	s_delay_alu instid0(VALU_DEP_2)
	v_dual_add_nc_u32 v54, -4, v39 :: v_dual_bitop2_b32 v40, 16, v38 bitop3:0x54
	s_lshl_b64 s[12:13], s[8:9], 2
	s_load_b96 s[8:10], s[0:1], 0x10
	v_or_b32_e32 v42, 14, v38
	v_or_b32_e32 v43, 13, v38
	s_wait_kmcnt 0x0
	s_add_nc_u64 s[0:1], s[4:5], s[12:13]
	v_or_b32_e32 v44, 12, v38
	s_clause 0x1f
	global_load_b32 v5, v0, s[0:1] scale_offset
	global_load_b32 v3, v0, s[0:1] offset:1024 scale_offset
	global_load_b32 v2, v0, s[0:1] offset:2048 scale_offset
	;; [unrolled: 1-line block ×31, first 2 shown]
	s_load_b32 s11, s[6:7], s2 offset:0x0 scale_offset
	v_or_b32_e32 v41, 15, v38
	v_or_b32_e32 v45, 11, v38
	;; [unrolled: 1-line block ×11, first 2 shown]
	s_cvt_f32_u32 s0, s10
	s_sub_co_i32 s1, 0, s10
	s_delay_alu instid0(SALU_CYCLE_2) | instskip(SKIP_1) | instid1(TRANS32_DEP_1)
	v_rcp_iflag_f32_e32 v1, s0
	v_nop
	v_readfirstlane_b32 s0, v1
	v_or_b32_e32 v1, 1, v38
	s_mul_f32 s0, s0, 0x4f7ffffe
	s_delay_alu instid0(SALU_CYCLE_3) | instskip(NEXT) | instid1(SALU_CYCLE_3)
	s_cvt_u32_f32 s0, s0
	s_mul_i32 s1, s1, s0
	s_delay_alu instid0(SALU_CYCLE_1) | instskip(NEXT) | instid1(SALU_CYCLE_1)
	s_mul_hi_u32 s1, s0, s1
	s_add_co_i32 s0, s0, s1
	s_delay_alu instid0(SALU_CYCLE_1) | instskip(NEXT) | instid1(SALU_CYCLE_1)
	s_lshr_b32 s0, s0, 19
	s_mul_i32 s1, s0, s10
	s_wait_xcnt 0x0
	s_add_co_i32 s2, s0, 1
	s_sub_co_i32 s1, 0x2000, s1
	s_delay_alu instid0(SALU_CYCLE_1)
	s_sub_co_i32 s3, s1, s10
	s_cmp_ge_u32 s1, s10
	s_cselect_b32 s0, s2, s0
	s_cselect_b32 s1, s3, s1
	s_add_co_i32 s2, s0, 1
	s_cmp_ge_u32 s1, s10
	s_cselect_b32 s14, s2, s0
	s_delay_alu instid0(SALU_CYCLE_1)
	s_add_co_i32 s14, s14, 1
	s_wait_loadcnt 0x1e
	v_mov_b32_e32 v4, v3
	s_branch .LBB131_2
.LBB131_1:                              ;   in Loop: Header=BB131_2 Depth=1
	s_or_b32 exec_lo, exec_lo, s0
	v_pk_add_f32 v[56:57], v[2:3], v[4:5] neg_lo:[0,1] neg_hi:[0,1]
	v_cmp_gt_u32_e64 s0, s11, v1
	v_or_b32_e32 v60, 29, v38
	v_cmp_gt_u32_e64 s5, s11, v53
	v_cmp_gt_u32_e64 s7, s11, v40
	s_delay_alu instid0(VALU_DEP_4)
	v_dual_sub_f32 v55, v10, v11 :: v_dual_cndmask_b32 v57, v3, v57, s0
	v_sub_f32_e32 v58, v11, v12
	v_cmp_gt_u32_e64 s0, s11, v6
	s_add_co_i32 s10, s10, -1
	v_dual_mov_b32 v8, v57 :: v_dual_bitop2_b32 v59, 30, v38 bitop3:0x54
	v_cndmask_b32_e64 v56, v2, v56, s0
	s_barrier_signal -1
	s_delay_alu instid0(VALU_DEP_2) | instskip(NEXT) | instid1(VALU_DEP_3)
	v_cmp_gt_u32_e64 s0, s11, v59
	v_pk_add_f32 v[4:5], v[4:5], v[8:9]
	v_sub_f32_e32 v8, v12, v13
	v_cmp_gt_u32_e64 s1, s11, v60
	v_or_b32_e32 v60, 25, v38
	v_or_b32_e32 v9, 28, v38
	s_barrier_wait -1
	v_cndmask_b32_e64 v55, v10, v55, s0
	s_delay_alu instid0(VALU_DEP_3) | instskip(SKIP_4) | instid1(VALU_DEP_4)
	v_cmp_gt_u32_e64 s4, s11, v60
	v_sub_f32_e32 v60, v37, v2
	v_or_b32_e32 v59, 27, v38
	v_pk_add_f32 v[2:3], v[2:3], v[56:57]
	v_dual_sub_f32 v56, v36, v37 :: v_dual_sub_f32 v57, v35, v36
	v_cndmask_b32_e64 v60, v37, v60, s5
	v_cmp_gt_u32_e64 s5, s11, v52
	v_cmp_gt_u32_e64 s3, s11, v59
	v_sub_f32_e32 v59, v15, v16
	v_cmp_gt_u32_e64 s2, s11, v9
	s_delay_alu instid0(VALU_DEP_4) | instskip(SKIP_2) | instid1(VALU_DEP_3)
	v_dual_sub_f32 v9, v13, v14 :: v_dual_cndmask_b32 v56, v36, v56, s5
	v_cmp_gt_u32_e64 s5, s11, v51
	v_dual_add_f32 v37, v37, v60 :: v_dual_sub_f32 v60, v34, v35
	v_dual_cndmask_b32 v59, v15, v59, s4 :: v_dual_cndmask_b32 v9, v13, v9, s3
	s_delay_alu instid0(VALU_DEP_3)
	v_cndmask_b32_e64 v57, v35, v57, s5
	v_cmp_gt_u32_e64 s5, s11, v50
	v_dual_add_f32 v36, v36, v56 :: v_dual_sub_f32 v56, v33, v34
	v_cndmask_b32_e64 v8, v12, v8, s2
	s_add_co_i32 s0, s14, s11
	v_cndmask_b32_e64 v60, v34, v60, s5
	v_cmp_gt_u32_e64 s5, s11, v49
	v_add_f32_e32 v35, v35, v57
	s_delay_alu instid0(VALU_DEP_3) | instskip(SKIP_1) | instid1(VALU_DEP_4)
	v_dual_sub_f32 v57, v32, v33 :: v_dual_add_f32 v34, v34, v60
	v_sub_f32_e32 v60, v31, v32
	v_cndmask_b32_e64 v56, v33, v56, s5
	v_cmp_gt_u32_e64 s5, s11, v48
	s_delay_alu instid0(VALU_DEP_1) | instskip(SKIP_1) | instid1(VALU_DEP_4)
	v_cndmask_b32_e64 v57, v32, v57, s5
	v_cmp_gt_u32_e64 s5, s11, v47
	v_dual_add_f32 v33, v33, v56 :: v_dual_sub_f32 v56, v30, v31
	s_delay_alu instid0(VALU_DEP_2) | instskip(SKIP_1) | instid1(VALU_DEP_2)
	v_dual_add_f32 v32, v32, v57 :: v_dual_cndmask_b32 v60, v31, v60, s5
	v_cmp_gt_u32_e64 s5, s11, v46
	v_dual_sub_f32 v57, v29, v30 :: v_dual_add_f32 v31, v31, v60
	s_delay_alu instid0(VALU_DEP_2) | instskip(SKIP_1) | instid1(VALU_DEP_1)
	v_dual_sub_f32 v60, v28, v29 :: v_dual_cndmask_b32 v56, v30, v56, s5
	v_cmp_gt_u32_e64 s5, s11, v45
	v_cndmask_b32_e64 v57, v29, v57, s5
	v_cmp_gt_u32_e64 s5, s11, v44
	s_delay_alu instid0(VALU_DEP_1) | instskip(NEXT) | instid1(VALU_DEP_3)
	v_cndmask_b32_e64 v60, v28, v60, s5
	v_dual_add_f32 v30, v30, v56 :: v_dual_add_f32 v29, v29, v57
	v_dual_sub_f32 v56, v27, v28 :: v_dual_sub_f32 v57, v26, v27
	v_cmp_gt_u32_e64 s5, s11, v43
	s_delay_alu instid0(VALU_DEP_4) | instskip(NEXT) | instid1(VALU_DEP_2)
	v_dual_add_f32 v28, v28, v60 :: v_dual_sub_f32 v60, v25, v26
	v_cndmask_b32_e64 v56, v27, v56, s5
	v_cmp_gt_u32_e64 s5, s11, v42
	s_delay_alu instid0(VALU_DEP_1) | instskip(SKIP_1) | instid1(VALU_DEP_4)
	v_cndmask_b32_e64 v57, v26, v57, s5
	v_cmp_gt_u32_e64 s5, s11, v41
	v_dual_add_f32 v27, v27, v56 :: v_dual_bitop2_b32 v56, 17, v38 bitop3:0x54
	s_delay_alu instid0(VALU_DEP_2) | instskip(SKIP_1) | instid1(VALU_DEP_3)
	v_dual_add_f32 v26, v26, v57 :: v_dual_cndmask_b32 v60, v25, v60, s5
	v_sub_f32_e32 v57, v24, v25
	v_cmp_gt_u32_e64 s5, s11, v56
	s_delay_alu instid0(VALU_DEP_3) | instskip(SKIP_1) | instid1(VALU_DEP_2)
	v_dual_add_f32 v25, v25, v60 :: v_dual_bitop2_b32 v56, 18, v38 bitop3:0x54
	v_dual_sub_f32 v60, v23, v24 :: v_dual_sub_f32 v61, v22, v23
	v_cmp_gt_u32_e64 s6, s11, v56
	s_delay_alu instid0(VALU_DEP_2) | instskip(NEXT) | instid1(VALU_DEP_1)
	v_dual_cndmask_b32 v56, v24, v57, s7 :: v_dual_cndmask_b32 v57, v23, v60, s5
	v_dual_cndmask_b32 v60, v22, v61, s6 :: v_dual_add_f32 v24, v24, v56
	s_delay_alu instid0(VALU_DEP_2) | instskip(NEXT) | instid1(VALU_DEP_2)
	v_dual_add_f32 v23, v23, v57 :: v_dual_bitop2_b32 v56, 20, v38 bitop3:0x54
	v_dual_sub_f32 v57, v21, v22 :: v_dual_add_f32 v22, v22, v60
	v_sub_f32_e32 v60, v20, v21
	s_delay_alu instid0(VALU_DEP_3) | instskip(SKIP_1) | instid1(VALU_DEP_1)
	v_cmp_gt_u32_e64 s5, s11, v56
	v_dual_sub_f32 v61, v19, v20 :: v_dual_bitop2_b32 v56, 21, v38 bitop3:0x54
	v_cmp_gt_u32_e64 s6, s11, v56
	v_or_b32_e32 v56, 19, v38
	s_delay_alu instid0(VALU_DEP_1) | instskip(NEXT) | instid1(VALU_DEP_1)
	v_cmp_gt_u32_e64 s7, s11, v56
	v_dual_cndmask_b32 v56, v21, v57, s7 :: v_dual_cndmask_b32 v57, v20, v60, s5
	s_delay_alu instid0(VALU_DEP_1) | instskip(NEXT) | instid1(VALU_DEP_2)
	v_add_f32_e32 v20, v20, v57
	v_dual_cndmask_b32 v60, v19, v61, s6 :: v_dual_add_f32 v21, v21, v56
	v_dual_sub_f32 v57, v18, v19 :: v_dual_bitop2_b32 v56, 24, v38 bitop3:0x54
	s_delay_alu instid0(VALU_DEP_2) | instskip(SKIP_1) | instid1(VALU_DEP_3)
	v_dual_sub_f32 v61, v14, v15 :: v_dual_add_f32 v19, v19, v60
	v_sub_f32_e32 v60, v16, v17
	v_cmp_gt_u32_e64 s5, s11, v56
	v_dual_add_f32 v15, v15, v59 :: v_dual_bitop2_b32 v56, 26, v38 bitop3:0x54
	v_dual_add_f32 v13, v13, v9 :: v_dual_add_f32 v12, v12, v8
	s_delay_alu instid0(VALU_DEP_2) | instskip(SKIP_1) | instid1(VALU_DEP_1)
	v_cmp_gt_u32_e64 s6, s11, v56
	v_or_b32_e32 v56, 22, v38
	v_cmp_gt_u32_e64 s7, s11, v56
	s_delay_alu instid0(VALU_DEP_1) | instskip(NEXT) | instid1(VALU_DEP_1)
	v_dual_cndmask_b32 v56, v18, v57, s7 :: v_dual_sub_f32 v57, v17, v18
	v_dual_add_f32 v18, v18, v56 :: v_dual_bitop2_b32 v56, 23, v38 bitop3:0x54
	s_delay_alu instid0(VALU_DEP_1) | instskip(NEXT) | instid1(VALU_DEP_1)
	v_cmp_gt_u32_e64 s7, s11, v56
	v_dual_cndmask_b32 v56, v17, v57, s7 :: v_dual_sub_f32 v57, v7, v10
	s_delay_alu instid0(VALU_DEP_1) | instskip(SKIP_1) | instid1(VALU_DEP_1)
	v_dual_add_f32 v10, v10, v55 :: v_dual_add_f32 v17, v17, v56
	v_or_b32_e32 v56, 31, v38
	v_cmp_gt_u32_e64 s7, s11, v56
	s_and_b32 s11, s0, 0x1fff
	s_cmp_lg_u32 s10, 0
	v_cndmask_b32_e64 v56, v7, v57, s7
	v_dual_cndmask_b32 v57, v11, v58, s1 :: v_dual_cndmask_b32 v58, v16, v60, s5
	s_delay_alu instid0(VALU_DEP_2) | instskip(NEXT) | instid1(VALU_DEP_2)
	v_dual_cndmask_b32 v60, v14, v61, s6 :: v_dual_add_f32 v7, v7, v56
	v_dual_add_f32 v11, v11, v57 :: v_dual_add_f32 v16, v16, v58
	s_delay_alu instid0(VALU_DEP_2)
	v_add_f32_e32 v14, v14, v60
	s_cbranch_scc0 .LBB131_4
.LBB131_2:                              ; =>This Inner Loop Header: Depth=1
	s_wait_kmcnt 0x0
	v_cmp_gt_u32_e64 s0, s11, v38
	v_mov_b32_e32 v9, v5
	s_wait_loadcnt 0x0
	ds_store_b32 v39, v7
	s_wait_dscnt 0x0
	s_barrier_signal -1
	s_and_b32 s1, vcc_lo, s0
	s_barrier_wait -1
	s_and_saveexec_b32 s0, s1
	s_cbranch_execz .LBB131_1
; %bb.3:                                ;   in Loop: Header=BB131_2 Depth=1
	ds_load_b32 v8, v54
	s_wait_dscnt 0x0
	v_sub_f32_e32 v9, v5, v8
	s_branch .LBB131_1
.LBB131_4:
	s_add_nc_u64 s[0:1], s[8:9], s[12:13]
	s_clause 0x1f
	global_store_b32 v0, v5, s[0:1] scale_offset
	global_store_b32 v0, v3, s[0:1] offset:1024 scale_offset
	global_store_b32 v0, v2, s[0:1] offset:2048 scale_offset
	;; [unrolled: 1-line block ×31, first 2 shown]
	s_endpgm
	.section	.rodata,"a",@progbits
	.p2align	6, 0x0
	.amdhsa_kernel _Z6kernelI26subtract_left_partial_tileLj256ELj32ELb0EJPfPiS1_jEEvDpT3_
		.amdhsa_group_segment_fixed_size 2048
		.amdhsa_private_segment_fixed_size 0
		.amdhsa_kernarg_size 28
		.amdhsa_user_sgpr_count 2
		.amdhsa_user_sgpr_dispatch_ptr 0
		.amdhsa_user_sgpr_queue_ptr 0
		.amdhsa_user_sgpr_kernarg_segment_ptr 1
		.amdhsa_user_sgpr_dispatch_id 0
		.amdhsa_user_sgpr_kernarg_preload_length 0
		.amdhsa_user_sgpr_kernarg_preload_offset 0
		.amdhsa_user_sgpr_private_segment_size 0
		.amdhsa_wavefront_size32 1
		.amdhsa_uses_dynamic_stack 0
		.amdhsa_enable_private_segment 0
		.amdhsa_system_sgpr_workgroup_id_x 1
		.amdhsa_system_sgpr_workgroup_id_y 0
		.amdhsa_system_sgpr_workgroup_id_z 0
		.amdhsa_system_sgpr_workgroup_info 0
		.amdhsa_system_vgpr_workitem_id 0
		.amdhsa_next_free_vgpr 62
		.amdhsa_next_free_sgpr 15
		.amdhsa_named_barrier_count 0
		.amdhsa_reserve_vcc 1
		.amdhsa_float_round_mode_32 0
		.amdhsa_float_round_mode_16_64 0
		.amdhsa_float_denorm_mode_32 3
		.amdhsa_float_denorm_mode_16_64 3
		.amdhsa_fp16_overflow 0
		.amdhsa_memory_ordered 1
		.amdhsa_forward_progress 1
		.amdhsa_inst_pref_size 17
		.amdhsa_round_robin_scheduling 0
		.amdhsa_exception_fp_ieee_invalid_op 0
		.amdhsa_exception_fp_denorm_src 0
		.amdhsa_exception_fp_ieee_div_zero 0
		.amdhsa_exception_fp_ieee_overflow 0
		.amdhsa_exception_fp_ieee_underflow 0
		.amdhsa_exception_fp_ieee_inexact 0
		.amdhsa_exception_int_div_zero 0
	.end_amdhsa_kernel
	.section	.text._Z6kernelI26subtract_left_partial_tileLj256ELj32ELb0EJPfPiS1_jEEvDpT3_,"axG",@progbits,_Z6kernelI26subtract_left_partial_tileLj256ELj32ELb0EJPfPiS1_jEEvDpT3_,comdat
.Lfunc_end131:
	.size	_Z6kernelI26subtract_left_partial_tileLj256ELj32ELb0EJPfPiS1_jEEvDpT3_, .Lfunc_end131-_Z6kernelI26subtract_left_partial_tileLj256ELj32ELb0EJPfPiS1_jEEvDpT3_
                                        ; -- End function
	.set _Z6kernelI26subtract_left_partial_tileLj256ELj32ELb0EJPfPiS1_jEEvDpT3_.num_vgpr, 62
	.set _Z6kernelI26subtract_left_partial_tileLj256ELj32ELb0EJPfPiS1_jEEvDpT3_.num_agpr, 0
	.set _Z6kernelI26subtract_left_partial_tileLj256ELj32ELb0EJPfPiS1_jEEvDpT3_.numbered_sgpr, 15
	.set _Z6kernelI26subtract_left_partial_tileLj256ELj32ELb0EJPfPiS1_jEEvDpT3_.num_named_barrier, 0
	.set _Z6kernelI26subtract_left_partial_tileLj256ELj32ELb0EJPfPiS1_jEEvDpT3_.private_seg_size, 0
	.set _Z6kernelI26subtract_left_partial_tileLj256ELj32ELb0EJPfPiS1_jEEvDpT3_.uses_vcc, 1
	.set _Z6kernelI26subtract_left_partial_tileLj256ELj32ELb0EJPfPiS1_jEEvDpT3_.uses_flat_scratch, 0
	.set _Z6kernelI26subtract_left_partial_tileLj256ELj32ELb0EJPfPiS1_jEEvDpT3_.has_dyn_sized_stack, 0
	.set _Z6kernelI26subtract_left_partial_tileLj256ELj32ELb0EJPfPiS1_jEEvDpT3_.has_recursion, 0
	.set _Z6kernelI26subtract_left_partial_tileLj256ELj32ELb0EJPfPiS1_jEEvDpT3_.has_indirect_call, 0
	.section	.AMDGPU.csdata,"",@progbits
; Kernel info:
; codeLenInByte = 2152
; TotalNumSgprs: 17
; NumVgprs: 62
; ScratchSize: 0
; MemoryBound: 0
; FloatMode: 240
; IeeeMode: 1
; LDSByteSize: 2048 bytes/workgroup (compile time only)
; SGPRBlocks: 0
; VGPRBlocks: 3
; NumSGPRsForWavesPerEU: 17
; NumVGPRsForWavesPerEU: 62
; NamedBarCnt: 0
; Occupancy: 16
; WaveLimiterHint : 1
; COMPUTE_PGM_RSRC2:SCRATCH_EN: 0
; COMPUTE_PGM_RSRC2:USER_SGPR: 2
; COMPUTE_PGM_RSRC2:TRAP_HANDLER: 0
; COMPUTE_PGM_RSRC2:TGID_X_EN: 1
; COMPUTE_PGM_RSRC2:TGID_Y_EN: 0
; COMPUTE_PGM_RSRC2:TGID_Z_EN: 0
; COMPUTE_PGM_RSRC2:TIDIG_COMP_CNT: 0
	.section	.text._Z6kernelI26subtract_left_partial_tileLj256ELj1ELb0EJPaPiS1_jEEvDpT3_,"axG",@progbits,_Z6kernelI26subtract_left_partial_tileLj256ELj1ELb0EJPaPiS1_jEEvDpT3_,comdat
	.protected	_Z6kernelI26subtract_left_partial_tileLj256ELj1ELb0EJPaPiS1_jEEvDpT3_ ; -- Begin function _Z6kernelI26subtract_left_partial_tileLj256ELj1ELb0EJPaPiS1_jEEvDpT3_
	.globl	_Z6kernelI26subtract_left_partial_tileLj256ELj1ELb0EJPaPiS1_jEEvDpT3_
	.p2align	8
	.type	_Z6kernelI26subtract_left_partial_tileLj256ELj1ELb0EJPaPiS1_jEEvDpT3_,@function
_Z6kernelI26subtract_left_partial_tileLj256ELj1ELb0EJPaPiS1_jEEvDpT3_: ; @_Z6kernelI26subtract_left_partial_tileLj256ELj1ELb0EJPaPiS1_jEEvDpT3_
; %bb.0:
	s_load_b128 s[8:11], s[0:1], 0x0
	s_bfe_u32 s2, ttmp6, 0x4000c
	s_and_b32 s3, ttmp6, 15
	s_add_co_i32 s2, s2, 1
	s_getreg_b32 s4, hwreg(HW_REG_IB_STS2, 6, 4)
	s_mul_i32 s2, ttmp9, s2
	s_mov_b32 s5, 0
	s_add_co_i32 s3, s3, s2
	s_cmp_eq_u32 s4, 0
	s_wait_xcnt 0x0
	s_load_b96 s[0:2], s[0:1], 0x10
	s_cselect_b32 s3, ttmp9, s3
	v_cmp_ne_u32_e32 vcc_lo, 0, v0
	s_lshl_b32 s4, s3, 8
	v_add_nc_u32_e32 v3, -1, v0
	s_wait_kmcnt 0x0
	s_add_nc_u64 s[6:7], s[8:9], s[4:5]
	s_load_b32 s3, s[10:11], s3 offset:0x0 scale_offset
	global_load_u8 v2, v0, s[6:7]
	s_wait_xcnt 0x0
	s_cvt_f32_u32 s6, s2
	s_sub_co_i32 s7, 0, s2
	s_delay_alu instid0(SALU_CYCLE_2) | instskip(SKIP_1) | instid1(TRANS32_DEP_1)
	v_rcp_iflag_f32_e32 v1, s6
	v_nop
	v_readfirstlane_b32 s6, v1
	v_mov_b32_e32 v1, 0
	s_mul_f32 s6, s6, 0x4f7ffffe
	s_delay_alu instid0(SALU_CYCLE_3) | instskip(NEXT) | instid1(SALU_CYCLE_3)
	s_cvt_u32_f32 s6, s6
	s_mul_i32 s7, s7, s6
	s_delay_alu instid0(SALU_CYCLE_1) | instskip(NEXT) | instid1(SALU_CYCLE_1)
	s_mul_hi_u32 s7, s6, s7
	s_add_co_i32 s6, s6, s7
	s_delay_alu instid0(SALU_CYCLE_1) | instskip(SKIP_2) | instid1(SALU_CYCLE_1)
	s_lshr_b32 s7, s6, 24
	s_mov_b32 s6, s0
	s_mul_i32 s8, s7, s2
	s_sub_co_i32 s0, 0x100, s8
	s_add_co_i32 s8, s7, 1
	s_sub_co_i32 s9, s0, s2
	s_cmp_ge_u32 s0, s2
	s_cselect_b32 s7, s8, s7
	s_cselect_b32 s0, s9, s0
	s_add_co_i32 s8, s7, 1
	s_cmp_ge_u32 s0, s2
	s_cselect_b32 s0, s8, s7
	s_mov_b32 s7, s1
	s_add_co_i32 s1, s0, 1
	s_branch .LBB132_2
.LBB132_1:                              ;   in Loop: Header=BB132_2 Depth=1
	s_or_b32 exec_lo, exec_lo, s0
	s_add_co_i32 s0, s1, s3
	s_delay_alu instid0(VALU_DEP_1)
	v_add_nc_u16 v2, v4, v2
	s_add_co_i32 s2, s2, -1
	s_and_b32 s3, s0, 0xff
	s_cmp_lg_u32 s2, 0
	s_barrier_signal -1
	s_barrier_wait -1
	s_cbranch_scc0 .LBB132_4
.LBB132_2:                              ; =>This Inner Loop Header: Depth=1
	s_wait_kmcnt 0x0
	v_cmp_gt_u32_e64 s0, s3, v0
	s_wait_loadcnt 0x0
	v_mov_b32_e32 v4, v2
	ds_store_b8 v0, v2
	s_wait_dscnt 0x0
	s_barrier_signal -1
	s_and_b32 s8, vcc_lo, s0
	s_barrier_wait -1
	s_and_saveexec_b32 s0, s8
	s_cbranch_execz .LBB132_1
; %bb.3:                                ;   in Loop: Header=BB132_2 Depth=1
	ds_load_u8 v4, v3
	s_wait_dscnt 0x0
	v_sub_nc_u16 v4, v2, v4
	s_branch .LBB132_1
.LBB132_4:
	s_add_nc_u64 s[0:1], s[6:7], s[4:5]
	s_delay_alu instid0(SALU_CYCLE_1)
	v_add_nc_u64_e32 v[0:1], s[0:1], v[0:1]
	global_store_b8 v[0:1], v2, off
	s_endpgm
	.section	.rodata,"a",@progbits
	.p2align	6, 0x0
	.amdhsa_kernel _Z6kernelI26subtract_left_partial_tileLj256ELj1ELb0EJPaPiS1_jEEvDpT3_
		.amdhsa_group_segment_fixed_size 512
		.amdhsa_private_segment_fixed_size 0
		.amdhsa_kernarg_size 28
		.amdhsa_user_sgpr_count 2
		.amdhsa_user_sgpr_dispatch_ptr 0
		.amdhsa_user_sgpr_queue_ptr 0
		.amdhsa_user_sgpr_kernarg_segment_ptr 1
		.amdhsa_user_sgpr_dispatch_id 0
		.amdhsa_user_sgpr_kernarg_preload_length 0
		.amdhsa_user_sgpr_kernarg_preload_offset 0
		.amdhsa_user_sgpr_private_segment_size 0
		.amdhsa_wavefront_size32 1
		.amdhsa_uses_dynamic_stack 0
		.amdhsa_enable_private_segment 0
		.amdhsa_system_sgpr_workgroup_id_x 1
		.amdhsa_system_sgpr_workgroup_id_y 0
		.amdhsa_system_sgpr_workgroup_id_z 0
		.amdhsa_system_sgpr_workgroup_info 0
		.amdhsa_system_vgpr_workitem_id 0
		.amdhsa_next_free_vgpr 5
		.amdhsa_next_free_sgpr 12
		.amdhsa_named_barrier_count 0
		.amdhsa_reserve_vcc 1
		.amdhsa_float_round_mode_32 0
		.amdhsa_float_round_mode_16_64 0
		.amdhsa_float_denorm_mode_32 3
		.amdhsa_float_denorm_mode_16_64 3
		.amdhsa_fp16_overflow 0
		.amdhsa_memory_ordered 1
		.amdhsa_forward_progress 1
		.amdhsa_inst_pref_size 3
		.amdhsa_round_robin_scheduling 0
		.amdhsa_exception_fp_ieee_invalid_op 0
		.amdhsa_exception_fp_denorm_src 0
		.amdhsa_exception_fp_ieee_div_zero 0
		.amdhsa_exception_fp_ieee_overflow 0
		.amdhsa_exception_fp_ieee_underflow 0
		.amdhsa_exception_fp_ieee_inexact 0
		.amdhsa_exception_int_div_zero 0
	.end_amdhsa_kernel
	.section	.text._Z6kernelI26subtract_left_partial_tileLj256ELj1ELb0EJPaPiS1_jEEvDpT3_,"axG",@progbits,_Z6kernelI26subtract_left_partial_tileLj256ELj1ELb0EJPaPiS1_jEEvDpT3_,comdat
.Lfunc_end132:
	.size	_Z6kernelI26subtract_left_partial_tileLj256ELj1ELb0EJPaPiS1_jEEvDpT3_, .Lfunc_end132-_Z6kernelI26subtract_left_partial_tileLj256ELj1ELb0EJPaPiS1_jEEvDpT3_
                                        ; -- End function
	.set _Z6kernelI26subtract_left_partial_tileLj256ELj1ELb0EJPaPiS1_jEEvDpT3_.num_vgpr, 5
	.set _Z6kernelI26subtract_left_partial_tileLj256ELj1ELb0EJPaPiS1_jEEvDpT3_.num_agpr, 0
	.set _Z6kernelI26subtract_left_partial_tileLj256ELj1ELb0EJPaPiS1_jEEvDpT3_.numbered_sgpr, 12
	.set _Z6kernelI26subtract_left_partial_tileLj256ELj1ELb0EJPaPiS1_jEEvDpT3_.num_named_barrier, 0
	.set _Z6kernelI26subtract_left_partial_tileLj256ELj1ELb0EJPaPiS1_jEEvDpT3_.private_seg_size, 0
	.set _Z6kernelI26subtract_left_partial_tileLj256ELj1ELb0EJPaPiS1_jEEvDpT3_.uses_vcc, 1
	.set _Z6kernelI26subtract_left_partial_tileLj256ELj1ELb0EJPaPiS1_jEEvDpT3_.uses_flat_scratch, 0
	.set _Z6kernelI26subtract_left_partial_tileLj256ELj1ELb0EJPaPiS1_jEEvDpT3_.has_dyn_sized_stack, 0
	.set _Z6kernelI26subtract_left_partial_tileLj256ELj1ELb0EJPaPiS1_jEEvDpT3_.has_recursion, 0
	.set _Z6kernelI26subtract_left_partial_tileLj256ELj1ELb0EJPaPiS1_jEEvDpT3_.has_indirect_call, 0
	.section	.AMDGPU.csdata,"",@progbits
; Kernel info:
; codeLenInByte = 384
; TotalNumSgprs: 14
; NumVgprs: 5
; ScratchSize: 0
; MemoryBound: 0
; FloatMode: 240
; IeeeMode: 1
; LDSByteSize: 512 bytes/workgroup (compile time only)
; SGPRBlocks: 0
; VGPRBlocks: 0
; NumSGPRsForWavesPerEU: 14
; NumVGPRsForWavesPerEU: 5
; NamedBarCnt: 0
; Occupancy: 16
; WaveLimiterHint : 0
; COMPUTE_PGM_RSRC2:SCRATCH_EN: 0
; COMPUTE_PGM_RSRC2:USER_SGPR: 2
; COMPUTE_PGM_RSRC2:TRAP_HANDLER: 0
; COMPUTE_PGM_RSRC2:TGID_X_EN: 1
; COMPUTE_PGM_RSRC2:TGID_Y_EN: 0
; COMPUTE_PGM_RSRC2:TGID_Z_EN: 0
; COMPUTE_PGM_RSRC2:TIDIG_COMP_CNT: 0
	.section	.text._Z6kernelI26subtract_left_partial_tileLj256ELj3ELb0EJPaPiS1_jEEvDpT3_,"axG",@progbits,_Z6kernelI26subtract_left_partial_tileLj256ELj3ELb0EJPaPiS1_jEEvDpT3_,comdat
	.protected	_Z6kernelI26subtract_left_partial_tileLj256ELj3ELb0EJPaPiS1_jEEvDpT3_ ; -- Begin function _Z6kernelI26subtract_left_partial_tileLj256ELj3ELb0EJPaPiS1_jEEvDpT3_
	.globl	_Z6kernelI26subtract_left_partial_tileLj256ELj3ELb0EJPaPiS1_jEEvDpT3_
	.p2align	8
	.type	_Z6kernelI26subtract_left_partial_tileLj256ELj3ELb0EJPaPiS1_jEEvDpT3_,@function
_Z6kernelI26subtract_left_partial_tileLj256ELj3ELb0EJPaPiS1_jEEvDpT3_: ; @_Z6kernelI26subtract_left_partial_tileLj256ELj3ELb0EJPaPiS1_jEEvDpT3_
; %bb.0:
	s_load_b128 s[4:7], s[0:1], 0x0
	s_bfe_u32 s2, ttmp6, 0x4000c
	s_and_b32 s3, ttmp6, 15
	s_add_co_i32 s2, s2, 1
	s_getreg_b32 s8, hwreg(HW_REG_IB_STS2, 6, 4)
	s_mul_i32 s2, ttmp9, s2
	s_mov_b32 s9, 0
	s_add_co_i32 s3, s3, s2
	s_cmp_eq_u32 s8, 0
	s_wait_xcnt 0x0
	s_load_b96 s[0:2], s[0:1], 0x10
	s_cselect_b32 s3, ttmp9, s3
	v_mul_u32_u24_e32 v2, 3, v0
	s_mul_i32 s8, s3, 0x300
	v_mad_u32_u24 v3, v0, 3, 2
	v_mad_u32_u24 v4, v0, 3, 1
	v_cmp_ne_u32_e32 vcc_lo, 0, v0
	v_add_nc_u32_e32 v5, -1, v0
	s_wait_kmcnt 0x0
	s_add_nc_u64 s[4:5], s[4:5], s[8:9]
	s_clause 0x2
	global_load_u8 v6, v0, s[4:5] offset:256
	global_load_u8 v8, v0, s[4:5] offset:512
	global_load_u8 v9, v0, s[4:5]
	s_load_b32 s3, s[6:7], s3 offset:0x0 scale_offset
	s_cvt_f32_u32 s4, s2
	s_sub_co_i32 s5, 0, s2
	s_delay_alu instid0(SALU_CYCLE_2) | instskip(SKIP_1) | instid1(TRANS32_DEP_1)
	v_rcp_iflag_f32_e32 v1, s4
	v_nop
	v_readfirstlane_b32 s4, v1
	v_mov_b32_e32 v1, 0
	s_mul_f32 s4, s4, 0x4f7ffffe
	s_delay_alu instid0(VALU_DEP_1) | instskip(NEXT) | instid1(SALU_CYCLE_2)
	v_mov_b32_e32 v7, v1
	s_cvt_u32_f32 s4, s4
	s_delay_alu instid0(SALU_CYCLE_3) | instskip(NEXT) | instid1(SALU_CYCLE_1)
	s_mul_i32 s5, s5, s4
	s_mul_hi_u32 s5, s4, s5
	s_delay_alu instid0(SALU_CYCLE_1) | instskip(NEXT) | instid1(SALU_CYCLE_1)
	s_add_co_i32 s4, s4, s5
	s_mul_hi_u32 s5, s4, 0x300
	s_mov_b32 s4, s0
	s_wait_xcnt 0x0
	s_mul_i32 s6, s5, s2
	s_delay_alu instid0(SALU_CYCLE_1)
	s_sub_co_i32 s0, 0x300, s6
	s_add_co_i32 s6, s5, 1
	s_sub_co_i32 s7, s0, s2
	s_cmp_ge_u32 s0, s2
	s_cselect_b32 s5, s6, s5
	s_cselect_b32 s0, s7, s0
	s_add_co_i32 s6, s5, 1
	s_cmp_ge_u32 s0, s2
	s_cselect_b32 s0, s6, s5
	s_mov_b32 s5, s1
	s_add_co_i32 s1, s0, 1
	s_wait_loadcnt 0x0
	v_perm_b32 v6, v9, v6, 0xc0c0004
	s_delay_alu instid0(VALU_DEP_1)
	v_lshl_or_b32 v6, v8, 16, v6
	v_mov_b32_e32 v8, v1
	s_branch .LBB133_2
.LBB133_1:                              ;   in Loop: Header=BB133_2 Depth=1
	s_or_b32 exec_lo, exec_lo, s0
	v_lshrrev_b16 v11, 8, v6
	v_add_nc_u16 v9, v10, v9
	v_add_nc_u16 v6, v7, v6
	s_add_co_i32 s0, s1, s3
	s_add_co_i32 s2, s2, -1
	v_add_nc_u16 v10, v8, v11
	v_and_b32_e32 v11, 0xff, v9
	s_mul_hi_u32 s3, s0, 0xaaaaaaab
	s_delay_alu instid0(SALU_CYCLE_1) | instskip(NEXT) | instid1(VALU_DEP_2)
	s_lshr_b32 s3, s3, 9
	v_lshlrev_b16 v10, 8, v10
	s_delay_alu instid0(VALU_DEP_2)
	v_lshlrev_b32_e32 v11, 16, v11
	s_mulk_i32 s3, 0x300
	s_barrier_signal -1
	s_sub_co_i32 s3, s0, s3
	v_perm_b32 v6, v6, v10, 0xc0c0104
	s_cmp_lg_u32 s2, 0
	s_barrier_wait -1
	s_delay_alu instid0(VALU_DEP_1)
	v_or_b32_e32 v6, v6, v11
	s_cbranch_scc0 .LBB133_4
.LBB133_2:                              ; =>This Inner Loop Header: Depth=1
	s_delay_alu instid0(VALU_DEP_1) | instskip(NEXT) | instid1(VALU_DEP_2)
	v_dual_lshrrev_b32 v9, 16, v6 :: v_dual_lshrrev_b32 v10, 8, v6
	v_perm_b32 v7, v7, v8, 0xc0c0004
	v_and_b32_e32 v12, 0xffff0000, v6
	s_wait_kmcnt 0x0
	v_cmp_gt_u32_e64 s0, s3, v3
	ds_store_b8 v0, v9
	v_sub_nc_u16 v11, v9, v10
	v_sub_nc_u16 v8, v10, v6
	s_wait_dscnt 0x0
	s_barrier_signal -1
	s_barrier_wait -1
	v_perm_b32 v11, v11, v6, 0xc0c0304
	v_lshlrev_b16 v8, 8, v8
	s_delay_alu instid0(VALU_DEP_2) | instskip(NEXT) | instid1(VALU_DEP_2)
	v_lshlrev_b32_e32 v11, 16, v11
	v_and_b32_e32 v8, 0xffff, v8
	s_delay_alu instid0(VALU_DEP_2) | instskip(SKIP_1) | instid1(VALU_DEP_2)
	v_cndmask_b32_e64 v10, v12, v11, s0
	v_cmp_gt_u32_e64 s0, s3, v4
	v_or_b32_e32 v7, v7, v10
	s_delay_alu instid0(VALU_DEP_1) | instskip(NEXT) | instid1(VALU_DEP_1)
	v_perm_b32 v11, v7, v6, 0xc0c0104
	v_cndmask_b32_e64 v8, v11, v8, s0
	v_cmp_gt_u32_e64 s0, s3, v2
	s_delay_alu instid0(VALU_DEP_2) | instskip(SKIP_2) | instid1(VALU_DEP_2)
	v_and_or_b32 v7, 0xff0000, v7, v8
	v_lshrrev_b32_e32 v10, 16, v10
	s_and_b32 s6, vcc_lo, s0
	v_dual_mov_b32 v7, v6 :: v_dual_lshrrev_b32 v8, 8, v7
	s_and_saveexec_b32 s0, s6
	s_cbranch_execz .LBB133_1
; %bb.3:                                ;   in Loop: Header=BB133_2 Depth=1
	ds_load_u8 v7, v5
	s_wait_dscnt 0x0
	v_sub_nc_u16 v7, v6, v7
	s_branch .LBB133_1
.LBB133_4:
	s_add_nc_u64 s[0:1], s[4:5], s[8:9]
	s_delay_alu instid0(VALU_DEP_1)
	v_lshrrev_b32_e32 v2, 8, v6
	v_add_nc_u64_e32 v[0:1], s[0:1], v[0:1]
	s_clause 0x2
	global_store_b8 v[0:1], v6, off
	global_store_b8 v[0:1], v2, off offset:256
	global_store_b8 v[0:1], v9, off offset:512
	s_endpgm
	.section	.rodata,"a",@progbits
	.p2align	6, 0x0
	.amdhsa_kernel _Z6kernelI26subtract_left_partial_tileLj256ELj3ELb0EJPaPiS1_jEEvDpT3_
		.amdhsa_group_segment_fixed_size 512
		.amdhsa_private_segment_fixed_size 0
		.amdhsa_kernarg_size 28
		.amdhsa_user_sgpr_count 2
		.amdhsa_user_sgpr_dispatch_ptr 0
		.amdhsa_user_sgpr_queue_ptr 0
		.amdhsa_user_sgpr_kernarg_segment_ptr 1
		.amdhsa_user_sgpr_dispatch_id 0
		.amdhsa_user_sgpr_kernarg_preload_length 0
		.amdhsa_user_sgpr_kernarg_preload_offset 0
		.amdhsa_user_sgpr_private_segment_size 0
		.amdhsa_wavefront_size32 1
		.amdhsa_uses_dynamic_stack 0
		.amdhsa_enable_private_segment 0
		.amdhsa_system_sgpr_workgroup_id_x 1
		.amdhsa_system_sgpr_workgroup_id_y 0
		.amdhsa_system_sgpr_workgroup_id_z 0
		.amdhsa_system_sgpr_workgroup_info 0
		.amdhsa_system_vgpr_workitem_id 0
		.amdhsa_next_free_vgpr 13
		.amdhsa_next_free_sgpr 10
		.amdhsa_named_barrier_count 0
		.amdhsa_reserve_vcc 1
		.amdhsa_float_round_mode_32 0
		.amdhsa_float_round_mode_16_64 0
		.amdhsa_float_denorm_mode_32 3
		.amdhsa_float_denorm_mode_16_64 3
		.amdhsa_fp16_overflow 0
		.amdhsa_memory_ordered 1
		.amdhsa_forward_progress 1
		.amdhsa_inst_pref_size 6
		.amdhsa_round_robin_scheduling 0
		.amdhsa_exception_fp_ieee_invalid_op 0
		.amdhsa_exception_fp_denorm_src 0
		.amdhsa_exception_fp_ieee_div_zero 0
		.amdhsa_exception_fp_ieee_overflow 0
		.amdhsa_exception_fp_ieee_underflow 0
		.amdhsa_exception_fp_ieee_inexact 0
		.amdhsa_exception_int_div_zero 0
	.end_amdhsa_kernel
	.section	.text._Z6kernelI26subtract_left_partial_tileLj256ELj3ELb0EJPaPiS1_jEEvDpT3_,"axG",@progbits,_Z6kernelI26subtract_left_partial_tileLj256ELj3ELb0EJPaPiS1_jEEvDpT3_,comdat
.Lfunc_end133:
	.size	_Z6kernelI26subtract_left_partial_tileLj256ELj3ELb0EJPaPiS1_jEEvDpT3_, .Lfunc_end133-_Z6kernelI26subtract_left_partial_tileLj256ELj3ELb0EJPaPiS1_jEEvDpT3_
                                        ; -- End function
	.set _Z6kernelI26subtract_left_partial_tileLj256ELj3ELb0EJPaPiS1_jEEvDpT3_.num_vgpr, 13
	.set _Z6kernelI26subtract_left_partial_tileLj256ELj3ELb0EJPaPiS1_jEEvDpT3_.num_agpr, 0
	.set _Z6kernelI26subtract_left_partial_tileLj256ELj3ELb0EJPaPiS1_jEEvDpT3_.numbered_sgpr, 10
	.set _Z6kernelI26subtract_left_partial_tileLj256ELj3ELb0EJPaPiS1_jEEvDpT3_.num_named_barrier, 0
	.set _Z6kernelI26subtract_left_partial_tileLj256ELj3ELb0EJPaPiS1_jEEvDpT3_.private_seg_size, 0
	.set _Z6kernelI26subtract_left_partial_tileLj256ELj3ELb0EJPaPiS1_jEEvDpT3_.uses_vcc, 1
	.set _Z6kernelI26subtract_left_partial_tileLj256ELj3ELb0EJPaPiS1_jEEvDpT3_.uses_flat_scratch, 0
	.set _Z6kernelI26subtract_left_partial_tileLj256ELj3ELb0EJPaPiS1_jEEvDpT3_.has_dyn_sized_stack, 0
	.set _Z6kernelI26subtract_left_partial_tileLj256ELj3ELb0EJPaPiS1_jEEvDpT3_.has_recursion, 0
	.set _Z6kernelI26subtract_left_partial_tileLj256ELj3ELb0EJPaPiS1_jEEvDpT3_.has_indirect_call, 0
	.section	.AMDGPU.csdata,"",@progbits
; Kernel info:
; codeLenInByte = 756
; TotalNumSgprs: 12
; NumVgprs: 13
; ScratchSize: 0
; MemoryBound: 0
; FloatMode: 240
; IeeeMode: 1
; LDSByteSize: 512 bytes/workgroup (compile time only)
; SGPRBlocks: 0
; VGPRBlocks: 0
; NumSGPRsForWavesPerEU: 12
; NumVGPRsForWavesPerEU: 13
; NamedBarCnt: 0
; Occupancy: 16
; WaveLimiterHint : 1
; COMPUTE_PGM_RSRC2:SCRATCH_EN: 0
; COMPUTE_PGM_RSRC2:USER_SGPR: 2
; COMPUTE_PGM_RSRC2:TRAP_HANDLER: 0
; COMPUTE_PGM_RSRC2:TGID_X_EN: 1
; COMPUTE_PGM_RSRC2:TGID_Y_EN: 0
; COMPUTE_PGM_RSRC2:TGID_Z_EN: 0
; COMPUTE_PGM_RSRC2:TIDIG_COMP_CNT: 0
	.section	.text._Z6kernelI26subtract_left_partial_tileLj256ELj4ELb0EJPaPiS1_jEEvDpT3_,"axG",@progbits,_Z6kernelI26subtract_left_partial_tileLj256ELj4ELb0EJPaPiS1_jEEvDpT3_,comdat
	.protected	_Z6kernelI26subtract_left_partial_tileLj256ELj4ELb0EJPaPiS1_jEEvDpT3_ ; -- Begin function _Z6kernelI26subtract_left_partial_tileLj256ELj4ELb0EJPaPiS1_jEEvDpT3_
	.globl	_Z6kernelI26subtract_left_partial_tileLj256ELj4ELb0EJPaPiS1_jEEvDpT3_
	.p2align	8
	.type	_Z6kernelI26subtract_left_partial_tileLj256ELj4ELb0EJPaPiS1_jEEvDpT3_,@function
_Z6kernelI26subtract_left_partial_tileLj256ELj4ELb0EJPaPiS1_jEEvDpT3_: ; @_Z6kernelI26subtract_left_partial_tileLj256ELj4ELb0EJPaPiS1_jEEvDpT3_
; %bb.0:
	s_load_b128 s[4:7], s[0:1], 0x0
	s_bfe_u32 s2, ttmp6, 0x4000c
	s_and_b32 s3, ttmp6, 15
	s_add_co_i32 s2, s2, 1
	s_getreg_b32 s8, hwreg(HW_REG_IB_STS2, 6, 4)
	s_mul_i32 s2, ttmp9, s2
	s_mov_b32 s9, 0
	s_add_co_i32 s3, s3, s2
	s_cmp_eq_u32 s8, 0
	s_wait_xcnt 0x0
	s_load_b96 s[0:2], s[0:1], 0x10
	s_cselect_b32 s3, ttmp9, s3
	v_cmp_ne_u32_e32 vcc_lo, 0, v0
	s_lshl_b32 s8, s3, 10
	v_lshlrev_b32_e32 v2, 2, v0
	s_delay_alu instid0(VALU_DEP_1)
	v_or_b32_e32 v4, 3, v2
	v_or_b32_e32 v6, 1, v2
	s_wait_kmcnt 0x0
	s_add_nc_u64 s[4:5], s[4:5], s[8:9]
	s_clause 0x3
	global_load_u8 v7, v0, s[4:5] offset:256
	global_load_u8 v8, v0, s[4:5] offset:512
	global_load_u8 v11, v0, s[4:5]
	global_load_u8 v12, v0, s[4:5] offset:768
	s_load_b32 s3, s[6:7], s3 offset:0x0 scale_offset
	s_cvt_f32_u32 s4, s2
	s_sub_co_i32 s5, 0, s2
	s_delay_alu instid0(SALU_CYCLE_2) | instskip(SKIP_1) | instid1(TRANS32_DEP_1)
	v_rcp_iflag_f32_e32 v1, s4
	v_nop
	v_readfirstlane_b32 s4, v1
	v_dual_mov_b32 v1, 0 :: v_dual_add_nc_u32 v3, -1, v0
	v_or_b32_e32 v5, 2, v2
	s_mul_f32 s4, s4, 0x4f7ffffe
	s_delay_alu instid0(VALU_DEP_2) | instskip(NEXT) | instid1(SALU_CYCLE_2)
	v_dual_mov_b32 v10, v1 :: v_dual_mov_b32 v9, v1
	s_cvt_u32_f32 s4, s4
	s_delay_alu instid0(SALU_CYCLE_3) | instskip(NEXT) | instid1(SALU_CYCLE_1)
	s_mul_i32 s5, s5, s4
	s_mul_hi_u32 s5, s4, s5
	s_delay_alu instid0(SALU_CYCLE_1) | instskip(NEXT) | instid1(SALU_CYCLE_1)
	s_add_co_i32 s4, s4, s5
	s_lshr_b32 s5, s4, 22
	s_mov_b32 s4, s0
	s_wait_xcnt 0x0
	s_mul_i32 s6, s5, s2
	s_delay_alu instid0(SALU_CYCLE_1)
	s_sub_co_i32 s0, 0x400, s6
	s_add_co_i32 s6, s5, 1
	s_sub_co_i32 s7, s0, s2
	s_cmp_ge_u32 s0, s2
	s_cselect_b32 s5, s6, s5
	s_cselect_b32 s0, s7, s0
	s_add_co_i32 s6, s5, 1
	s_cmp_ge_u32 s0, s2
	s_cselect_b32 s0, s6, s5
	s_mov_b32 s5, s1
	s_add_co_i32 s1, s0, 1
	s_wait_loadcnt 0x1
	v_perm_b32 v7, v11, v7, 0xc0c0004
	s_wait_loadcnt 0x0
	v_perm_b32 v8, v8, v12, 0xc0c0004
	s_delay_alu instid0(VALU_DEP_1)
	v_lshl_or_b32 v7, v8, 16, v7
	v_mov_b32_e32 v8, v1
	s_branch .LBB134_2
.LBB134_1:                              ;   in Loop: Header=BB134_2 Depth=1
	s_or_b32 exec_lo, exec_lo, s0
	v_lshrrev_b16 v14, 8, v7
	v_add_nc_u16 v12, v13, v12
	v_add_nc_u16 v7, v10, v7
	;; [unrolled: 1-line block ×3, first 2 shown]
	s_add_co_i32 s0, s1, s3
	v_add_nc_u16 v13, v9, v14
	v_lshlrev_b16 v12, 8, v12
	s_add_co_i32 s2, s2, -1
	s_and_b32 s3, s0, 0x3ff
	s_cmp_lg_u32 s2, 0
	v_lshlrev_b16 v13, 8, v13
	v_bitop3_b16 v11, v11, v12, 0xff bitop3:0xec
	s_barrier_signal -1
	s_barrier_wait -1
	s_delay_alu instid0(VALU_DEP_2) | instskip(NEXT) | instid1(VALU_DEP_2)
	v_bitop3_b16 v7, v7, v13, 0xff bitop3:0xec
	v_lshlrev_b32_e32 v11, 16, v11
	s_delay_alu instid0(VALU_DEP_2) | instskip(NEXT) | instid1(VALU_DEP_1)
	v_and_b32_e32 v7, 0xffff, v7
	v_or_b32_e32 v7, v7, v11
	s_cbranch_scc0 .LBB134_4
.LBB134_2:                              ; =>This Inner Loop Header: Depth=1
	s_delay_alu instid0(VALU_DEP_1) | instskip(NEXT) | instid1(VALU_DEP_2)
	v_dual_lshrrev_b32 v11, 16, v7 :: v_dual_lshrrev_b32 v12, 24, v7
	v_perm_b32 v14, v8, v7, 0xc0c0304
	s_wait_kmcnt 0x0
	v_cmp_gt_u32_e64 s0, s3, v4
	v_perm_b32 v9, v10, v9, 0xc0c0004
	v_lshrrev_b32_e32 v10, 8, v7
	v_sub_nc_u16 v13, v12, v11
	ds_store_b8 v0, v12
	s_wait_dscnt 0x0
	s_barrier_signal -1
	s_barrier_wait -1
	v_lshlrev_b16 v13, 8, v13
	s_delay_alu instid0(VALU_DEP_1) | instskip(NEXT) | instid1(VALU_DEP_1)
	v_bitop3_b16 v8, v8, v13, 0xff bitop3:0xec
	v_cndmask_b32_e64 v8, v14, v8, s0
	v_cmp_gt_u32_e64 s0, s3, v5
	s_delay_alu instid0(VALU_DEP_2) | instskip(SKIP_2) | instid1(VALU_DEP_3)
	v_lshl_or_b32 v9, v8, 16, v9
	v_sub_nc_u16 v8, v11, v10
	v_sub_nc_u16 v10, v10, v7
	v_perm_b32 v13, v7, v9, 0xc0c0306
	s_delay_alu instid0(VALU_DEP_3) | instskip(NEXT) | instid1(VALU_DEP_3)
	v_perm_b32 v8, v8, v9, 0xc0c0304
	v_lshlrev_b16 v10, 8, v10
	s_delay_alu instid0(VALU_DEP_1) | instskip(NEXT) | instid1(VALU_DEP_3)
	v_and_b32_e32 v10, 0xffff, v10
	v_cndmask_b32_e64 v8, v13, v8, s0
	v_cmp_gt_u32_e64 s0, s3, v6
	s_delay_alu instid0(VALU_DEP_2) | instskip(NEXT) | instid1(VALU_DEP_1)
	v_lshlrev_b32_e32 v13, 16, v8
	v_and_or_b32 v9, 0xffff, v9, v13
	s_delay_alu instid0(VALU_DEP_1) | instskip(NEXT) | instid1(VALU_DEP_1)
	v_perm_b32 v13, v9, v7, 0xc0c0104
	v_cndmask_b32_e64 v10, v13, v10, s0
	v_cmp_gt_u32_e64 s0, s3, v2
	v_bfe_u32 v13, v8, 8, 8
	s_delay_alu instid0(VALU_DEP_3) | instskip(SKIP_2) | instid1(VALU_DEP_2)
	v_and_or_b32 v9, 0xff0000, v9, v10
	v_mov_b32_e32 v10, v7
	s_and_b32 s6, vcc_lo, s0
	v_lshrrev_b32_e32 v9, 8, v9
	s_and_saveexec_b32 s0, s6
	s_cbranch_execz .LBB134_1
; %bb.3:                                ;   in Loop: Header=BB134_2 Depth=1
	ds_load_u8 v10, v3
	s_wait_dscnt 0x0
	v_sub_nc_u16 v10, v7, v10
	s_branch .LBB134_1
.LBB134_4:
	s_add_nc_u64 s[0:1], s[4:5], s[8:9]
	s_delay_alu instid0(VALU_DEP_1)
	v_dual_lshrrev_b32 v2, 8, v7 :: v_dual_lshrrev_b32 v3, 24, v7
	v_add_nc_u64_e32 v[0:1], s[0:1], v[0:1]
	s_clause 0x3
	global_store_b8 v[0:1], v7, off
	global_store_b8 v[0:1], v2, off offset:256
	global_store_d16_hi_b8 v[0:1], v7, off offset:512
	global_store_b8 v[0:1], v3, off offset:768
	s_endpgm
	.section	.rodata,"a",@progbits
	.p2align	6, 0x0
	.amdhsa_kernel _Z6kernelI26subtract_left_partial_tileLj256ELj4ELb0EJPaPiS1_jEEvDpT3_
		.amdhsa_group_segment_fixed_size 512
		.amdhsa_private_segment_fixed_size 0
		.amdhsa_kernarg_size 28
		.amdhsa_user_sgpr_count 2
		.amdhsa_user_sgpr_dispatch_ptr 0
		.amdhsa_user_sgpr_queue_ptr 0
		.amdhsa_user_sgpr_kernarg_segment_ptr 1
		.amdhsa_user_sgpr_dispatch_id 0
		.amdhsa_user_sgpr_kernarg_preload_length 0
		.amdhsa_user_sgpr_kernarg_preload_offset 0
		.amdhsa_user_sgpr_private_segment_size 0
		.amdhsa_wavefront_size32 1
		.amdhsa_uses_dynamic_stack 0
		.amdhsa_enable_private_segment 0
		.amdhsa_system_sgpr_workgroup_id_x 1
		.amdhsa_system_sgpr_workgroup_id_y 0
		.amdhsa_system_sgpr_workgroup_id_z 0
		.amdhsa_system_sgpr_workgroup_info 0
		.amdhsa_system_vgpr_workitem_id 0
		.amdhsa_next_free_vgpr 15
		.amdhsa_next_free_sgpr 10
		.amdhsa_named_barrier_count 0
		.amdhsa_reserve_vcc 1
		.amdhsa_float_round_mode_32 0
		.amdhsa_float_round_mode_16_64 0
		.amdhsa_float_denorm_mode_32 3
		.amdhsa_float_denorm_mode_16_64 3
		.amdhsa_fp16_overflow 0
		.amdhsa_memory_ordered 1
		.amdhsa_forward_progress 1
		.amdhsa_inst_pref_size 8
		.amdhsa_round_robin_scheduling 0
		.amdhsa_exception_fp_ieee_invalid_op 0
		.amdhsa_exception_fp_denorm_src 0
		.amdhsa_exception_fp_ieee_div_zero 0
		.amdhsa_exception_fp_ieee_overflow 0
		.amdhsa_exception_fp_ieee_underflow 0
		.amdhsa_exception_fp_ieee_inexact 0
		.amdhsa_exception_int_div_zero 0
	.end_amdhsa_kernel
	.section	.text._Z6kernelI26subtract_left_partial_tileLj256ELj4ELb0EJPaPiS1_jEEvDpT3_,"axG",@progbits,_Z6kernelI26subtract_left_partial_tileLj256ELj4ELb0EJPaPiS1_jEEvDpT3_,comdat
.Lfunc_end134:
	.size	_Z6kernelI26subtract_left_partial_tileLj256ELj4ELb0EJPaPiS1_jEEvDpT3_, .Lfunc_end134-_Z6kernelI26subtract_left_partial_tileLj256ELj4ELb0EJPaPiS1_jEEvDpT3_
                                        ; -- End function
	.set _Z6kernelI26subtract_left_partial_tileLj256ELj4ELb0EJPaPiS1_jEEvDpT3_.num_vgpr, 15
	.set _Z6kernelI26subtract_left_partial_tileLj256ELj4ELb0EJPaPiS1_jEEvDpT3_.num_agpr, 0
	.set _Z6kernelI26subtract_left_partial_tileLj256ELj4ELb0EJPaPiS1_jEEvDpT3_.numbered_sgpr, 10
	.set _Z6kernelI26subtract_left_partial_tileLj256ELj4ELb0EJPaPiS1_jEEvDpT3_.num_named_barrier, 0
	.set _Z6kernelI26subtract_left_partial_tileLj256ELj4ELb0EJPaPiS1_jEEvDpT3_.private_seg_size, 0
	.set _Z6kernelI26subtract_left_partial_tileLj256ELj4ELb0EJPaPiS1_jEEvDpT3_.uses_vcc, 1
	.set _Z6kernelI26subtract_left_partial_tileLj256ELj4ELb0EJPaPiS1_jEEvDpT3_.uses_flat_scratch, 0
	.set _Z6kernelI26subtract_left_partial_tileLj256ELj4ELb0EJPaPiS1_jEEvDpT3_.has_dyn_sized_stack, 0
	.set _Z6kernelI26subtract_left_partial_tileLj256ELj4ELb0EJPaPiS1_jEEvDpT3_.has_recursion, 0
	.set _Z6kernelI26subtract_left_partial_tileLj256ELj4ELb0EJPaPiS1_jEEvDpT3_.has_indirect_call, 0
	.section	.AMDGPU.csdata,"",@progbits
; Kernel info:
; codeLenInByte = 912
; TotalNumSgprs: 12
; NumVgprs: 15
; ScratchSize: 0
; MemoryBound: 0
; FloatMode: 240
; IeeeMode: 1
; LDSByteSize: 512 bytes/workgroup (compile time only)
; SGPRBlocks: 0
; VGPRBlocks: 0
; NumSGPRsForWavesPerEU: 12
; NumVGPRsForWavesPerEU: 15
; NamedBarCnt: 0
; Occupancy: 16
; WaveLimiterHint : 1
; COMPUTE_PGM_RSRC2:SCRATCH_EN: 0
; COMPUTE_PGM_RSRC2:USER_SGPR: 2
; COMPUTE_PGM_RSRC2:TRAP_HANDLER: 0
; COMPUTE_PGM_RSRC2:TGID_X_EN: 1
; COMPUTE_PGM_RSRC2:TGID_Y_EN: 0
; COMPUTE_PGM_RSRC2:TGID_Z_EN: 0
; COMPUTE_PGM_RSRC2:TIDIG_COMP_CNT: 0
	.section	.text._Z6kernelI26subtract_left_partial_tileLj256ELj8ELb0EJPaPiS1_jEEvDpT3_,"axG",@progbits,_Z6kernelI26subtract_left_partial_tileLj256ELj8ELb0EJPaPiS1_jEEvDpT3_,comdat
	.protected	_Z6kernelI26subtract_left_partial_tileLj256ELj8ELb0EJPaPiS1_jEEvDpT3_ ; -- Begin function _Z6kernelI26subtract_left_partial_tileLj256ELj8ELb0EJPaPiS1_jEEvDpT3_
	.globl	_Z6kernelI26subtract_left_partial_tileLj256ELj8ELb0EJPaPiS1_jEEvDpT3_
	.p2align	8
	.type	_Z6kernelI26subtract_left_partial_tileLj256ELj8ELb0EJPaPiS1_jEEvDpT3_,@function
_Z6kernelI26subtract_left_partial_tileLj256ELj8ELb0EJPaPiS1_jEEvDpT3_: ; @_Z6kernelI26subtract_left_partial_tileLj256ELj8ELb0EJPaPiS1_jEEvDpT3_
; %bb.0:
	s_load_b128 s[4:7], s[0:1], 0x0
	s_bfe_u32 s2, ttmp6, 0x4000c
	s_and_b32 s3, ttmp6, 15
	s_add_co_i32 s2, s2, 1
	s_getreg_b32 s8, hwreg(HW_REG_IB_STS2, 6, 4)
	s_mul_i32 s2, ttmp9, s2
	s_mov_b32 s9, 0
	s_add_co_i32 s3, s3, s2
	s_cmp_eq_u32 s8, 0
	s_wait_xcnt 0x0
	s_load_b96 s[0:2], s[0:1], 0x10
	s_cselect_b32 s3, ttmp9, s3
	v_cmp_ne_u32_e32 vcc_lo, 0, v0
	s_lshl_b32 s8, s3, 11
	v_lshlrev_b32_e32 v2, 3, v0
	s_delay_alu instid0(VALU_DEP_1)
	v_or_b32_e32 v5, 6, v2
	v_or_b32_e32 v6, 5, v2
	s_wait_kmcnt 0x0
	s_add_nc_u64 s[4:5], s[4:5], s[8:9]
	s_clause 0x7
	global_load_u8 v12, v0, s[4:5] offset:256
	global_load_u8 v13, v0, s[4:5] offset:1536
	;; [unrolled: 1-line block ×4, first 2 shown]
	global_load_u8 v16, v0, s[4:5]
	global_load_u8 v17, v0, s[4:5] offset:768
	global_load_u8 v18, v0, s[4:5] offset:1280
	;; [unrolled: 1-line block ×3, first 2 shown]
	s_load_b32 s3, s[6:7], s3 offset:0x0 scale_offset
	v_or_b32_e32 v7, 4, v2
	v_or_b32_e32 v8, 3, v2
	;; [unrolled: 1-line block ×4, first 2 shown]
	s_cvt_f32_u32 s4, s2
	s_sub_co_i32 s5, 0, s2
	s_delay_alu instid0(SALU_CYCLE_2) | instskip(SKIP_1) | instid1(TRANS32_DEP_1)
	v_rcp_iflag_f32_e32 v1, s4
	v_nop
	v_readfirstlane_b32 s4, v1
	v_dual_mov_b32 v1, 0 :: v_dual_add_nc_u32 v3, -1, v0
	v_or_b32_e32 v4, 7, v2
	s_mul_f32 s4, s4, 0x4f7ffffe
	s_delay_alu instid0(VALU_DEP_2) | instskip(NEXT) | instid1(SALU_CYCLE_2)
	v_mov_b32_e32 v11, v1
	s_cvt_u32_f32 s4, s4
	s_delay_alu instid0(SALU_CYCLE_3) | instskip(NEXT) | instid1(SALU_CYCLE_1)
	s_mul_i32 s5, s5, s4
	s_mul_hi_u32 s5, s4, s5
	s_delay_alu instid0(SALU_CYCLE_1) | instskip(NEXT) | instid1(SALU_CYCLE_1)
	s_add_co_i32 s4, s4, s5
	s_lshr_b32 s5, s4, 21
	s_delay_alu instid0(SALU_CYCLE_1)
	s_mul_i32 s4, s5, s2
	s_wait_xcnt 0x0
	s_add_co_i32 s7, s5, 1
	s_sub_co_i32 s6, 0x800, s4
	s_mov_b32 s4, s0
	s_sub_co_i32 s10, s6, s2
	s_cmp_ge_u32 s6, s2
	s_cselect_b32 s0, s7, s5
	s_cselect_b32 s5, s10, s6
	s_add_co_i32 s6, s0, 1
	s_cmp_ge_u32 s5, s2
	s_mov_b32 s5, s1
	s_cselect_b32 s0, s6, s0
	s_delay_alu instid0(SALU_CYCLE_1)
	s_add_co_i32 s1, s0, 1
	s_wait_loadcnt 0x3
	v_perm_b32 v12, v16, v12, 0xc0c0004
	s_wait_loadcnt 0x2
	v_perm_b32 v15, v15, v17, 0xc0c0004
	;; [unrolled: 2-line block ×4, first 2 shown]
	v_lshl_or_b32 v12, v15, 16, v12
	s_delay_alu instid0(VALU_DEP_2)
	v_lshl_or_b32 v13, v13, 16, v14
	v_mov_b32_e32 v14, v1
	s_branch .LBB135_2
.LBB135_1:                              ;   in Loop: Header=BB135_2 Depth=1
	s_or_b32 exec_lo, exec_lo, s0
	v_lshrrev_b16 v19, 8, v12
	v_lshrrev_b16 v20, 8, v13
	;; [unrolled: 1-line block ×4, first 2 shown]
	v_lshrrev_b32_e32 v23, 24, v14
	v_add_nc_u16 v12, v11, v12
	v_add_nc_u16 v13, v14, v13
	;; [unrolled: 1-line block ×4, first 2 shown]
	v_dual_lshrrev_b32 v21, 24, v11 :: v_dual_lshrrev_b32 v22, 16, v14
	v_add_nc_u16 v17, v23, v17
	s_delay_alu instid0(VALU_DEP_4) | instskip(NEXT) | instid1(VALU_DEP_4)
	v_lshlrev_b16 v20, 8, v20
	v_lshlrev_b16 v19, 8, v19
	s_delay_alu instid0(VALU_DEP_4)
	v_add_nc_u16 v18, v21, v18
	s_add_co_i32 s0, s1, s3
	v_lshlrev_b16 v21, 8, v17
	v_bitop3_b16 v13, v13, v20, 0xff bitop3:0xec
	v_bitop3_b16 v12, v12, v19, 0xff bitop3:0xec
	v_lshrrev_b32_e32 v19, 16, v11
	v_add_nc_u16 v16, v22, v16
	v_lshlrev_b16 v20, 8, v18
	s_add_co_i32 s2, s2, -1
	v_and_b32_e32 v17, 0xffff, v12
	v_add_nc_u16 v15, v19, v15
	v_bitop3_b16 v18, v16, v21, 0xff bitop3:0xec
	v_and_b32_e32 v16, 0xffff, v13
	v_dual_lshrrev_b32 v19, 8, v20 :: v_dual_lshrrev_b32 v21, 8, v21
	v_lshrrev_b32_e32 v22, 8, v17
	v_bitop3_b16 v15, v15, v20, 0xff bitop3:0xec
	s_delay_alu instid0(VALU_DEP_4) | instskip(NEXT) | instid1(VALU_DEP_4)
	v_lshrrev_b32_e32 v23, 8, v16
	v_lshlrev_b16 v19, 8, v19
	v_lshlrev_b16 v20, 8, v21
	;; [unrolled: 1-line block ×3, first 2 shown]
	s_and_b32 s3, s0, 0x7ff
	v_lshlrev_b16 v22, 8, v23
	v_bitop3_b16 v19, v15, v19, 0xff bitop3:0xec
	v_bitop3_b16 v20, v18, v20, 0xff bitop3:0xec
	;; [unrolled: 1-line block ×3, first 2 shown]
	s_cmp_lg_u32 s2, 0
	v_bitop3_b16 v13, v13, v22, 0xff bitop3:0xec
	s_delay_alu instid0(VALU_DEP_3) | instskip(NEXT) | instid1(VALU_DEP_3)
	v_dual_lshlrev_b32 v19, 16, v19 :: v_dual_lshlrev_b32 v20, 16, v20
	v_and_b32_e32 v12, 0xffff, v12
	s_delay_alu instid0(VALU_DEP_3) | instskip(SKIP_2) | instid1(VALU_DEP_2)
	v_and_b32_e32 v13, 0xffff, v13
	s_barrier_signal -1
	s_barrier_wait -1
	v_or_b32_e32 v12, v12, v19
	s_delay_alu instid0(VALU_DEP_2)
	v_or_b32_e32 v13, v13, v20
	s_cbranch_scc0 .LBB135_4
.LBB135_2:                              ; =>This Inner Loop Header: Depth=1
	s_delay_alu instid0(VALU_DEP_1) | instskip(NEXT) | instid1(VALU_DEP_3)
	v_dual_lshrrev_b32 v16, 16, v13 :: v_dual_lshrrev_b32 v17, 24, v13
	v_dual_lshrrev_b32 v15, 16, v12 :: v_dual_lshrrev_b32 v18, 24, v12
	s_delay_alu instid0(VALU_DEP_3) | instskip(NEXT) | instid1(VALU_DEP_3)
	v_dual_lshrrev_b32 v21, 16, v14 :: v_dual_lshrrev_b32 v22, 16, v11
	v_sub_nc_u16 v19, v17, v16
	v_perm_b32 v24, v11, v12, 0xc0c0306
	s_delay_alu instid0(VALU_DEP_4)
	v_sub_nc_u16 v20, v18, v15
	s_wait_kmcnt 0x0
	v_cmp_gt_u32_e64 s0, s3, v8
	v_and_b32_e32 v23, 0xffffff00, v13
	v_lshlrev_b16 v19, 8, v19
	ds_store_b8 v0, v17
	v_lshlrev_b16 v20, 8, v20
	s_wait_dscnt 0x0
	s_barrier_signal -1
	v_bitop3_b16 v19, v21, v19, 0xff bitop3:0xec
	v_and_b32_e32 v21, 0xffff, v14
	v_bitop3_b16 v20, v22, v20, 0xff bitop3:0xec
	v_perm_b32 v14, v14, v13, 0xc0c0306
	s_delay_alu instid0(VALU_DEP_4) | instskip(SKIP_1) | instid1(VALU_DEP_3)
	v_dual_lshrrev_b32 v22, 8, v13 :: v_dual_lshlrev_b32 v19, 16, v19
	s_barrier_wait -1
	v_cndmask_b32_e64 v20, v24, v20, s0
	s_delay_alu instid0(VALU_DEP_3)
	v_lshl_or_b32 v14, v14, 16, v21
	v_cmp_gt_u32_e64 s0, s3, v4
	v_or_b32_e32 v19, v21, v19
	v_sub_nc_u16 v21, v22, v13
	v_lshrrev_b32_e32 v24, 8, v12
	v_sub_nc_u16 v22, v16, v22
	s_delay_alu instid0(VALU_DEP_4)
	v_cndmask_b32_e64 v14, v14, v19, s0
	v_cmp_gt_u32_e64 s0, s3, v9
	v_lshlrev_b32_e32 v20, 16, v20
	v_lshlrev_b16 v19, 8, v21
	v_sub_nc_u16 v21, v15, v24
	v_sub_nc_u16 v24, v24, v12
	v_bitop3_b16 v23, v14, v23, 0xff bitop3:0xec
	v_and_or_b32 v20, 0xffff, v11, v20
	v_bitop3_b16 v19, v14, v19, 0xff bitop3:0xec
	v_lshrrev_b32_e32 v14, 16, v14
	v_lshlrev_b16 v24, 8, v24
	v_and_b32_e32 v23, 0xffff, v23
	v_perm_b32 v25, v12, v20, 0xc0c0306
	v_perm_b32 v21, v21, v20, 0xc0c0304
	v_and_b32_e32 v19, 0xffff, v19
	v_bitop3_b16 v11, v11, v24, 0xff bitop3:0xec
	v_and_b32_e32 v14, 0xffffff00, v14
	s_delay_alu instid0(VALU_DEP_4) | instskip(SKIP_1) | instid1(VALU_DEP_4)
	v_cndmask_b32_e64 v21, v25, v21, s0
	v_cmp_gt_u32_e64 s0, s3, v6
	v_and_b32_e32 v11, 0xffff, v11
	s_delay_alu instid0(VALU_DEP_4) | instskip(SKIP_1) | instid1(VALU_DEP_4)
	v_bitop3_b16 v22, v22, v14, 0xff bitop3:0xec
	v_bitop3_b16 v14, v16, v14, 0xff bitop3:0xec
	v_cndmask_b32_e64 v19, v23, v19, s0
	v_cmp_gt_u32_e64 s0, s3, v10
	v_lshlrev_b32_e32 v21, 16, v21
	v_sub_nc_u16 v23, v13, v18
	s_delay_alu instid0(VALU_DEP_4) | instskip(NEXT) | instid1(VALU_DEP_3)
	v_and_b32_e32 v19, 0xffffff00, v19
	v_and_or_b32 v20, 0xffff, v20, v21
	s_delay_alu instid0(VALU_DEP_2) | instskip(NEXT) | instid1(VALU_DEP_4)
	v_bitop3_b16 v21, v13, v19, 0xff bitop3:0xec
	v_bitop3_b16 v19, v23, v19, 0xff bitop3:0xec
	s_delay_alu instid0(VALU_DEP_3) | instskip(NEXT) | instid1(VALU_DEP_3)
	v_perm_b32 v23, v20, v12, 0xc0c0104
	v_and_b32_e32 v21, 0xffff, v21
	s_delay_alu instid0(VALU_DEP_3) | instskip(NEXT) | instid1(VALU_DEP_3)
	v_and_b32_e32 v19, 0xffff, v19
	v_cndmask_b32_e64 v11, v23, v11, s0
	v_cmp_gt_u32_e64 s0, s3, v5
	s_delay_alu instid0(VALU_DEP_2) | instskip(NEXT) | instid1(VALU_DEP_2)
	v_and_or_b32 v11, 0xffff0000, v20, v11
	v_cndmask_b32_e64 v14, v14, v22, s0
	v_cmp_gt_u32_e64 s0, s3, v7
	s_delay_alu instid0(VALU_DEP_3) | instskip(NEXT) | instid1(VALU_DEP_2)
	v_perm_b32 v11, v12, v11, 0x3020104
	v_cndmask_b32_e64 v19, v21, v19, s0
	v_cmp_gt_u32_e64 s0, s3, v2
	s_delay_alu instid0(VALU_DEP_2) | instskip(SKIP_1) | instid1(SALU_CYCLE_1)
	v_lshl_or_b32 v14, v14, 16, v19
	s_and_b32 s6, vcc_lo, s0
	s_and_saveexec_b32 s0, s6
	s_cbranch_execz .LBB135_1
; %bb.3:                                ;   in Loop: Header=BB135_2 Depth=1
	ds_load_u8 v19, v3
	s_wait_dscnt 0x0
	v_sub_nc_u16 v19, v12, v19
	s_delay_alu instid0(VALU_DEP_1)
	v_perm_b32 v11, v19, v11, 0x3020104
	s_branch .LBB135_1
.LBB135_4:
	v_dual_lshlrev_b32 v2, 16, v15 :: v_dual_lshlrev_b32 v3, 16, v18
	s_add_nc_u64 s[0:1], s[4:5], s[8:9]
	s_delay_alu instid0(SALU_CYCLE_1) | instskip(NEXT) | instid1(VALU_DEP_2)
	v_add_nc_u64_e32 v[0:1], s[0:1], v[0:1]
	v_or_b32_e32 v3, v16, v3
	s_delay_alu instid0(VALU_DEP_1) | instskip(NEXT) | instid1(VALU_DEP_1)
	v_dual_lshrrev_b32 v6, 8, v3 :: v_dual_bitop2_b32 v2, v17, v2 bitop3:0x54
	v_dual_lshrrev_b32 v4, 8, v2 :: v_dual_lshrrev_b32 v5, 24, v2
	v_lshrrev_b32_e32 v7, 24, v3
	s_clause 0x7
	global_store_b8 v[0:1], v2, off
	global_store_b8 v[0:1], v4, off offset:256
	global_store_d16_hi_b8 v[0:1], v2, off offset:512
	global_store_b8 v[0:1], v5, off offset:768
	global_store_b8 v[0:1], v3, off offset:1024
	;; [unrolled: 1-line block ×3, first 2 shown]
	global_store_d16_hi_b8 v[0:1], v3, off offset:1536
	global_store_b8 v[0:1], v7, off offset:1792
	s_endpgm
	.section	.rodata,"a",@progbits
	.p2align	6, 0x0
	.amdhsa_kernel _Z6kernelI26subtract_left_partial_tileLj256ELj8ELb0EJPaPiS1_jEEvDpT3_
		.amdhsa_group_segment_fixed_size 512
		.amdhsa_private_segment_fixed_size 0
		.amdhsa_kernarg_size 28
		.amdhsa_user_sgpr_count 2
		.amdhsa_user_sgpr_dispatch_ptr 0
		.amdhsa_user_sgpr_queue_ptr 0
		.amdhsa_user_sgpr_kernarg_segment_ptr 1
		.amdhsa_user_sgpr_dispatch_id 0
		.amdhsa_user_sgpr_kernarg_preload_length 0
		.amdhsa_user_sgpr_kernarg_preload_offset 0
		.amdhsa_user_sgpr_private_segment_size 0
		.amdhsa_wavefront_size32 1
		.amdhsa_uses_dynamic_stack 0
		.amdhsa_enable_private_segment 0
		.amdhsa_system_sgpr_workgroup_id_x 1
		.amdhsa_system_sgpr_workgroup_id_y 0
		.amdhsa_system_sgpr_workgroup_id_z 0
		.amdhsa_system_sgpr_workgroup_info 0
		.amdhsa_system_vgpr_workitem_id 0
		.amdhsa_next_free_vgpr 26
		.amdhsa_next_free_sgpr 11
		.amdhsa_named_barrier_count 0
		.amdhsa_reserve_vcc 1
		.amdhsa_float_round_mode_32 0
		.amdhsa_float_round_mode_16_64 0
		.amdhsa_float_denorm_mode_32 3
		.amdhsa_float_denorm_mode_16_64 3
		.amdhsa_fp16_overflow 0
		.amdhsa_memory_ordered 1
		.amdhsa_forward_progress 1
		.amdhsa_inst_pref_size 14
		.amdhsa_round_robin_scheduling 0
		.amdhsa_exception_fp_ieee_invalid_op 0
		.amdhsa_exception_fp_denorm_src 0
		.amdhsa_exception_fp_ieee_div_zero 0
		.amdhsa_exception_fp_ieee_overflow 0
		.amdhsa_exception_fp_ieee_underflow 0
		.amdhsa_exception_fp_ieee_inexact 0
		.amdhsa_exception_int_div_zero 0
	.end_amdhsa_kernel
	.section	.text._Z6kernelI26subtract_left_partial_tileLj256ELj8ELb0EJPaPiS1_jEEvDpT3_,"axG",@progbits,_Z6kernelI26subtract_left_partial_tileLj256ELj8ELb0EJPaPiS1_jEEvDpT3_,comdat
.Lfunc_end135:
	.size	_Z6kernelI26subtract_left_partial_tileLj256ELj8ELb0EJPaPiS1_jEEvDpT3_, .Lfunc_end135-_Z6kernelI26subtract_left_partial_tileLj256ELj8ELb0EJPaPiS1_jEEvDpT3_
                                        ; -- End function
	.set _Z6kernelI26subtract_left_partial_tileLj256ELj8ELb0EJPaPiS1_jEEvDpT3_.num_vgpr, 26
	.set _Z6kernelI26subtract_left_partial_tileLj256ELj8ELb0EJPaPiS1_jEEvDpT3_.num_agpr, 0
	.set _Z6kernelI26subtract_left_partial_tileLj256ELj8ELb0EJPaPiS1_jEEvDpT3_.numbered_sgpr, 11
	.set _Z6kernelI26subtract_left_partial_tileLj256ELj8ELb0EJPaPiS1_jEEvDpT3_.num_named_barrier, 0
	.set _Z6kernelI26subtract_left_partial_tileLj256ELj8ELb0EJPaPiS1_jEEvDpT3_.private_seg_size, 0
	.set _Z6kernelI26subtract_left_partial_tileLj256ELj8ELb0EJPaPiS1_jEEvDpT3_.uses_vcc, 1
	.set _Z6kernelI26subtract_left_partial_tileLj256ELj8ELb0EJPaPiS1_jEEvDpT3_.uses_flat_scratch, 0
	.set _Z6kernelI26subtract_left_partial_tileLj256ELj8ELb0EJPaPiS1_jEEvDpT3_.has_dyn_sized_stack, 0
	.set _Z6kernelI26subtract_left_partial_tileLj256ELj8ELb0EJPaPiS1_jEEvDpT3_.has_recursion, 0
	.set _Z6kernelI26subtract_left_partial_tileLj256ELj8ELb0EJPaPiS1_jEEvDpT3_.has_indirect_call, 0
	.section	.AMDGPU.csdata,"",@progbits
; Kernel info:
; codeLenInByte = 1748
; TotalNumSgprs: 13
; NumVgprs: 26
; ScratchSize: 0
; MemoryBound: 0
; FloatMode: 240
; IeeeMode: 1
; LDSByteSize: 512 bytes/workgroup (compile time only)
; SGPRBlocks: 0
; VGPRBlocks: 1
; NumSGPRsForWavesPerEU: 13
; NumVGPRsForWavesPerEU: 26
; NamedBarCnt: 0
; Occupancy: 16
; WaveLimiterHint : 1
; COMPUTE_PGM_RSRC2:SCRATCH_EN: 0
; COMPUTE_PGM_RSRC2:USER_SGPR: 2
; COMPUTE_PGM_RSRC2:TRAP_HANDLER: 0
; COMPUTE_PGM_RSRC2:TGID_X_EN: 1
; COMPUTE_PGM_RSRC2:TGID_Y_EN: 0
; COMPUTE_PGM_RSRC2:TGID_Z_EN: 0
; COMPUTE_PGM_RSRC2:TIDIG_COMP_CNT: 0
	.section	.text._Z6kernelI26subtract_left_partial_tileLj256ELj16ELb0EJPaPiS1_jEEvDpT3_,"axG",@progbits,_Z6kernelI26subtract_left_partial_tileLj256ELj16ELb0EJPaPiS1_jEEvDpT3_,comdat
	.protected	_Z6kernelI26subtract_left_partial_tileLj256ELj16ELb0EJPaPiS1_jEEvDpT3_ ; -- Begin function _Z6kernelI26subtract_left_partial_tileLj256ELj16ELb0EJPaPiS1_jEEvDpT3_
	.globl	_Z6kernelI26subtract_left_partial_tileLj256ELj16ELb0EJPaPiS1_jEEvDpT3_
	.p2align	8
	.type	_Z6kernelI26subtract_left_partial_tileLj256ELj16ELb0EJPaPiS1_jEEvDpT3_,@function
_Z6kernelI26subtract_left_partial_tileLj256ELj16ELb0EJPaPiS1_jEEvDpT3_: ; @_Z6kernelI26subtract_left_partial_tileLj256ELj16ELb0EJPaPiS1_jEEvDpT3_
; %bb.0:
	s_load_b128 s[4:7], s[0:1], 0x0
	s_bfe_u32 s2, ttmp6, 0x4000c
	s_and_b32 s3, ttmp6, 15
	s_add_co_i32 s2, s2, 1
	s_getreg_b32 s8, hwreg(HW_REG_IB_STS2, 6, 4)
	s_mul_i32 s2, ttmp9, s2
	s_mov_b32 s9, 0
	s_add_co_i32 s3, s3, s2
	s_cmp_eq_u32 s8, 0
	s_wait_xcnt 0x0
	s_load_b96 s[0:2], s[0:1], 0x10
	s_cselect_b32 s3, ttmp9, s3
	v_dual_mov_b32 v1, 0 :: v_dual_lshlrev_b32 v2, 4, v0
	s_lshl_b32 s8, s3, 12
	v_add_nc_u32_e32 v3, -1, v0
	v_cmp_ne_u32_e32 vcc_lo, 0, v0
	s_delay_alu instid0(VALU_DEP_3)
	v_dual_mov_b32 v16, v1 :: v_dual_mov_b32 v29, v1
	v_dual_mov_b32 v20, v1 :: v_dual_bitop2_b32 v4, 15, v2 bitop3:0x54
	s_wait_kmcnt 0x0
	s_add_nc_u64 s[4:5], s[4:5], s[8:9]
	v_or_b32_e32 v5, 14, v2
	s_clause 0xf
	global_load_u8 v21, v0, s[4:5] offset:256
	global_load_u8 v22, v0, s[4:5] offset:768
	;; [unrolled: 1-line block ×7, first 2 shown]
	global_load_u8 v28, v0, s[4:5]
	global_load_u8 v30, v0, s[4:5] offset:2304
	global_load_u8 v31, v0, s[4:5] offset:3584
	global_load_u8 v32, v0, s[4:5] offset:3072
	global_load_u8 v33, v0, s[4:5] offset:2560
	global_load_u8 v34, v0, s[4:5] offset:2048
	global_load_u8 v35, v0, s[4:5] offset:2816
	global_load_u8 v36, v0, s[4:5] offset:3328
	global_load_u8 v37, v0, s[4:5] offset:3840
	s_load_b32 s3, s[6:7], s3 offset:0x0 scale_offset
	v_or_b32_e32 v7, 12, v2
	v_or_b32_e32 v8, 11, v2
	;; [unrolled: 1-line block ×5, first 2 shown]
	s_cvt_f32_u32 s4, s2
	s_sub_co_i32 s5, 0, s2
	v_or_b32_e32 v12, 7, v2
	v_or_b32_e32 v13, 6, v2
	v_rcp_iflag_f32_e32 v6, s4
	v_or_b32_e32 v14, 5, v2
	v_or_b32_e32 v15, 4, v2
	v_or_b32_e32 v17, 3, v2
	v_or_b32_e32 v18, 2, v2
	v_or_b32_e32 v19, 1, v2
	s_delay_alu instid0(TRANS32_DEP_1) | instskip(SKIP_2) | instid1(SALU_CYCLE_3)
	v_readfirstlane_b32 s4, v6
	v_or_b32_e32 v6, 13, v2
	s_mul_f32 s4, s4, 0x4f7ffffe
	s_cvt_u32_f32 s4, s4
	s_delay_alu instid0(SALU_CYCLE_3) | instskip(NEXT) | instid1(SALU_CYCLE_1)
	s_mul_i32 s5, s5, s4
	s_mul_hi_u32 s5, s4, s5
	s_delay_alu instid0(SALU_CYCLE_1) | instskip(NEXT) | instid1(SALU_CYCLE_1)
	s_add_co_i32 s4, s4, s5
	s_lshr_b32 s5, s4, 20
	s_mov_b32 s4, s0
	s_mul_i32 s10, s5, s2
	s_delay_alu instid0(SALU_CYCLE_1)
	s_sub_co_i32 s0, 0x1000, s10
	s_add_co_i32 s10, s5, 1
	s_sub_co_i32 s11, s0, s2
	s_cmp_ge_u32 s0, s2
	s_cselect_b32 s5, s10, s5
	s_cselect_b32 s0, s11, s0
	s_wait_xcnt 0x0
	s_add_co_i32 s6, s5, 1
	s_cmp_ge_u32 s0, s2
	s_cselect_b32 s0, s6, s5
	s_mov_b32 s5, s1
	s_add_co_i32 s1, s0, 1
	s_wait_loadcnt 0xb
	v_perm_b32 v24, v25, v24, 0xc0c0004
	s_wait_loadcnt 0xa
	v_perm_b32 v23, v26, v23, 0xc0c0004
	;; [unrolled: 2-line block ×8, first 2 shown]
	v_lshl_or_b32 v21, v22, 16, v21
	v_lshl_or_b32 v22, v24, 16, v23
	;; [unrolled: 1-line block ×3, first 2 shown]
	v_mov_b32_e32 v31, v1
	v_lshl_or_b32 v24, v28, 16, v27
	s_branch .LBB136_2
.LBB136_1:                              ;   in Loop: Header=BB136_2 Depth=1
	s_or_b32 exec_lo, exec_lo, s0
	s_delay_alu instid0(VALU_DEP_1)
	v_dual_lshrrev_b32 v43, 24, v29 :: v_dual_lshrrev_b32 v44, 24, v20
	v_lshrrev_b16 v36, 8, v22
	v_lshrrev_b16 v37, 8, v23
	;; [unrolled: 1-line block ×4, first 2 shown]
	v_add_nc_u16 v33, v44, v33
	v_dual_lshrrev_b32 v44, 24, v31 :: v_dual_lshrrev_b32 v49, 16, v31
	v_lshrrev_b16 v38, 8, v24
	v_lshrrev_b16 v47, 8, v31
	v_add_nc_u16 v37, v46, v37
	s_delay_alu instid0(VALU_DEP_4) | instskip(SKIP_3) | instid1(VALU_DEP_4)
	v_add_nc_u16 v30, v44, v30
	v_lshrrev_b16 v35, 8, v21
	v_lshrrev_b16 v39, 8, v16
	v_dual_lshrrev_b32 v45, 16, v29 :: v_dual_lshrrev_b32 v48, 16, v20
	v_lshlrev_b16 v44, 8, v30
	v_add_nc_u16 v30, v42, v36
	v_add_nc_u16 v38, v47, v38
	v_lshlrev_b16 v37, 8, v37
	v_add_nc_u16 v23, v20, v23
	v_add_nc_u16 v22, v29, v22
	v_lshlrev_b16 v36, 8, v30
	v_dual_lshrrev_b32 v40, 24, v16 :: v_dual_lshrrev_b32 v41, 16, v16
	v_lshlrev_b16 v38, 8, v38
	v_add_nc_u16 v24, v31, v24
	v_bitop3_b16 v23, v23, v37, 0xff bitop3:0xec
	v_add_nc_u16 v35, v39, v35
	v_add_nc_u16 v37, v45, v25
	;; [unrolled: 1-line block ×3, first 2 shown]
	v_bitop3_b16 v22, v22, v36, 0xff bitop3:0xec
	v_add_nc_u16 v32, v48, v32
	v_lshlrev_b16 v33, 8, v33
	v_add_nc_u16 v28, v49, v28
	v_bitop3_b16 v24, v24, v38, 0xff bitop3:0xec
	v_add_nc_u16 v26, v40, v34
	v_lshlrev_b16 v34, 8, v35
	v_add_nc_u16 v21, v16, v21
	v_lshlrev_b16 v35, 8, v25
	v_and_b32_e32 v25, 0xffff, v22
	v_bitop3_b16 v32, v32, v33, 0xff bitop3:0xec
	v_bitop3_b16 v33, v28, v44, 0xff bitop3:0xec
	v_and_b32_e32 v28, 0xffff, v24
	v_add_nc_u16 v36, v41, v27
	v_lshlrev_b16 v38, 8, v26
	v_bitop3_b16 v21, v21, v34, 0xff bitop3:0xec
	v_dual_lshrrev_b32 v39, 8, v35 :: v_dual_lshrrev_b32 v40, 8, v25
	v_bitop3_b16 v27, v37, v35, 0xff bitop3:0xec
	s_delay_alu instid0(VALU_DEP_4) | instskip(NEXT) | instid1(VALU_DEP_4)
	v_bitop3_b16 v34, v36, v38, 0xff bitop3:0xec
	v_and_b32_e32 v26, 0xffff, v21
	s_delay_alu instid0(VALU_DEP_4) | instskip(SKIP_2) | instid1(VALU_DEP_4)
	v_lshlrev_b16 v35, 8, v39
	v_lshlrev_b16 v36, 8, v40
	v_lshrrev_b32_e32 v37, 8, v28
	v_dual_lshrrev_b32 v39, 8, v44 :: v_dual_lshrrev_b32 v41, 8, v26
	s_delay_alu instid0(VALU_DEP_3) | instskip(SKIP_1) | instid1(VALU_DEP_3)
	v_dual_lshrrev_b32 v35, 8, v35 :: v_dual_lshrrev_b32 v36, 8, v36
	v_lshrrev_b32_e32 v38, 8, v38
	v_lshlrev_b16 v39, 8, v39
	v_lshlrev_b16 v37, 8, v37
	v_and_b32_e32 v30, 0xffff, v23
	v_lshlrev_b16 v36, 8, v36
	s_delay_alu instid0(VALU_DEP_4) | instskip(NEXT) | instid1(VALU_DEP_3)
	v_dual_lshrrev_b32 v40, 8, v32 :: v_dual_lshrrev_b32 v39, 8, v39
	v_dual_lshrrev_b32 v37, 8, v37 :: v_dual_lshrrev_b32 v42, 8, v30
	v_lshlrev_b16 v41, 8, v41
	v_lshlrev_b16 v38, 8, v38
	;; [unrolled: 1-line block ×3, first 2 shown]
	v_bitop3_b16 v22, v22, v36, 0xff bitop3:0xec
	v_lshlrev_b16 v36, 8, v37
	v_lshlrev_b16 v37, 8, v39
	;; [unrolled: 1-line block ×4, first 2 shown]
	v_bitop3_b16 v21, v21, v41, 0xff bitop3:0xec
	v_bitop3_b16 v38, v34, v38, 0xff bitop3:0xec
	;; [unrolled: 1-line block ×5, first 2 shown]
	v_and_b32_e32 v21, 0xffff, v21
	s_delay_alu instid0(VALU_DEP_4)
	v_dual_lshlrev_b32 v38, 16, v38 :: v_dual_lshlrev_b32 v35, 16, v35
	v_and_b32_e32 v22, 0xffff, v22
	v_perm_b32 v37, v32, v40, 0xc0c0104
	v_perm_b32 v23, v23, v42, 0xc0c0104
	v_and_b32_e32 v24, 0xffff, v24
	v_dual_lshlrev_b32 v36, 16, v36 :: v_dual_bitop2_b32 v21, v21, v38 bitop3:0x54
	s_add_co_i32 s0, s1, s3
	v_or_b32_e32 v22, v22, v35
	v_lshl_or_b32 v23, v37, 16, v23
	s_delay_alu instid0(VALU_DEP_3)
	v_or_b32_e32 v24, v24, v36
	s_add_co_i32 s2, s2, -1
	s_and_b32 s3, s0, 0xfff
	s_cmp_lg_u32 s2, 0
	s_barrier_signal -1
	s_barrier_wait -1
	s_cbranch_scc0 .LBB136_4
.LBB136_2:                              ; =>This Inner Loop Header: Depth=1
	v_dual_lshrrev_b32 v25, 16, v22 :: v_dual_lshrrev_b32 v26, 24, v22
	s_delay_alu instid0(VALU_DEP_2) | instskip(SKIP_2) | instid1(VALU_DEP_4)
	v_dual_lshrrev_b32 v28, 16, v24 :: v_dual_lshrrev_b32 v30, 24, v24
	v_lshrrev_b32_e32 v33, 16, v29
	v_dual_lshrrev_b32 v27, 16, v21 :: v_dual_lshrrev_b32 v38, 16, v31
	v_sub_nc_u16 v32, v26, v25
	s_delay_alu instid0(VALU_DEP_4)
	v_sub_nc_u16 v35, v30, v28
	v_and_b32_e32 v36, 0xffff, v29
	v_perm_b32 v29, v29, v22, 0xc0c0306
	s_wait_kmcnt 0x0
	v_cmp_gt_u32_e64 s0, s3, v12
	v_lshlrev_b16 v37, 8, v32
	v_lshlrev_b16 v35, 8, v35
	v_lshrrev_b32_e32 v32, 16, v23
	v_lshl_or_b32 v29, v29, 16, v36
	v_and_b32_e32 v34, 0xffffff00, v22
	v_bitop3_b16 v33, v33, v37, 0xff bitop3:0xec
	v_bitop3_b16 v35, v38, v35, 0xff bitop3:0xec
	v_lshrrev_b32_e32 v38, 8, v24
	v_and_b32_e32 v37, 0xffff, v31
	v_perm_b32 v31, v31, v24, 0xc0c0306
	v_dual_lshlrev_b32 v39, 16, v33 :: v_dual_lshrrev_b32 v33, 24, v23
	v_lshrrev_b32_e32 v40, 16, v20
	v_perm_b32 v43, v16, v21, 0xc0c0306
	s_delay_alu instid0(VALU_DEP_4) | instskip(NEXT) | instid1(VALU_DEP_4)
	v_lshl_or_b32 v31, v31, 16, v37
	v_or_b32_e32 v36, v36, v39
	v_lshlrev_b32_e32 v35, 16, v35
	v_sub_nc_u16 v39, v33, v32
	ds_store_b8 v0, v30
	s_wait_dscnt 0x0
	v_cndmask_b32_e64 v29, v29, v36, s0
	v_or_b32_e32 v35, v37, v35
	v_lshlrev_b16 v36, 8, v39
	v_cmp_gt_u32_e64 s0, s3, v4
	s_barrier_signal -1
	v_bitop3_b16 v37, v29, v34, 0xff bitop3:0xec
	s_barrier_wait -1
	v_bitop3_b16 v34, v40, v36, 0xff bitop3:0xec
	v_dual_lshrrev_b32 v36, 8, v22 :: v_dual_cndmask_b32 v31, v31, v35, s0
	v_perm_b32 v35, v20, v23, 0xc0c0306
	v_cmp_gt_u32_e64 s0, s3, v8
	v_sub_nc_u16 v40, v38, v24
	v_sub_nc_u16 v38, v28, v38
	v_and_b32_e32 v37, 0xffff, v37
	s_delay_alu instid0(VALU_DEP_4) | instskip(SKIP_3) | instid1(VALU_DEP_4)
	v_cndmask_b32_e64 v34, v35, v34, s0
	v_and_b32_e32 v35, 0xffffff00, v24
	v_lshlrev_b16 v40, 8, v40
	v_cmp_gt_u32_e64 s0, s3, v6
	v_lshlrev_b32_e32 v34, 16, v34
	s_delay_alu instid0(VALU_DEP_4) | instskip(NEXT) | instid1(VALU_DEP_1)
	v_bitop3_b16 v35, v31, v35, 0xff bitop3:0xec
	v_and_b32_e32 v35, 0xffff, v35
	v_lshrrev_b32_e32 v39, 16, v31
	v_bitop3_b16 v31, v31, v40, 0xff bitop3:0xec
	v_and_or_b32 v40, 0xffff, v20, v34
	s_delay_alu instid0(VALU_DEP_2) | instskip(NEXT) | instid1(VALU_DEP_2)
	v_and_b32_e32 v31, 0xffff, v31
	v_perm_b32 v42, v23, v40, 0xc0c0306
	s_delay_alu instid0(VALU_DEP_2) | instskip(SKIP_2) | instid1(VALU_DEP_3)
	v_cndmask_b32_e64 v31, v35, v31, s0
	v_and_b32_e32 v39, 0xffffff00, v39
	v_cmp_gt_u32_e64 s0, s3, v5
	v_and_b32_e32 v31, 0xffffff00, v31
	s_delay_alu instid0(VALU_DEP_3) | instskip(SKIP_1) | instid1(VALU_DEP_1)
	v_bitop3_b16 v38, v38, v39, 0xff bitop3:0xec
	v_bitop3_b16 v39, v28, v39, 0xff bitop3:0xec
	v_dual_lshrrev_b32 v41, 8, v23 :: v_dual_cndmask_b32 v35, v39, v38, s0
	s_delay_alu instid0(VALU_DEP_1) | instskip(SKIP_3) | instid1(VALU_DEP_4)
	v_sub_nc_u16 v34, v32, v41
	v_cmp_gt_u32_e64 s0, s3, v9
	v_sub_nc_u16 v39, v41, v23
	v_sub_nc_u16 v41, v24, v33
	v_perm_b32 v34, v34, v40, 0xc0c0304
	s_delay_alu instid0(VALU_DEP_3) | instskip(NEXT) | instid1(VALU_DEP_2)
	v_lshlrev_b16 v39, 8, v39
	v_dual_cndmask_b32 v38, v42, v34, s0 :: v_dual_lshrrev_b32 v34, 24, v21
	v_bitop3_b16 v42, v24, v31, 0xff bitop3:0xec
	v_bitop3_b16 v31, v41, v31, 0xff bitop3:0xec
	s_delay_alu instid0(VALU_DEP_4) | instskip(NEXT) | instid1(VALU_DEP_4)
	v_bitop3_b16 v20, v20, v39, 0xff bitop3:0xec
	v_lshlrev_b32_e32 v38, 16, v38
	v_sub_nc_u16 v41, v34, v27
	v_and_b32_e32 v39, 0xffff, v42
	v_cmp_gt_u32_e64 s0, s3, v10
	v_and_b32_e32 v20, 0xffff, v20
	v_and_or_b32 v38, 0xffff, v40, v38
	v_lshrrev_b32_e32 v40, 16, v16
	v_lshlrev_b16 v41, 8, v41
	v_and_b32_e32 v31, 0xffff, v31
	s_delay_alu instid0(VALU_DEP_4) | instskip(NEXT) | instid1(VALU_DEP_3)
	v_perm_b32 v42, v38, v23, 0xc0c0104
	v_bitop3_b16 v40, v40, v41, 0xff bitop3:0xec
	v_sub_nc_u16 v41, v36, v22
	v_sub_nc_u16 v36, v25, v36
	s_delay_alu instid0(VALU_DEP_4) | instskip(SKIP_1) | instid1(VALU_DEP_1)
	v_cndmask_b32_e64 v20, v42, v20, s0
	v_cmp_gt_u32_e64 s0, s3, v17
	v_cndmask_b32_e64 v40, v43, v40, s0
	v_cmp_gt_u32_e64 s0, s3, v7
	s_delay_alu instid0(VALU_DEP_1)
	v_cndmask_b32_e64 v31, v39, v31, s0
	v_and_or_b32 v20, 0xffff0000, v38, v20
	v_lshlrev_b16 v38, 8, v41
	v_cmp_gt_u32_e64 s0, s3, v14
	v_sub_nc_u16 v41, v23, v26
	v_lshl_or_b32 v31, v35, 16, v31
	v_perm_b32 v42, v23, v20, 0xc0c0104
	v_bitop3_b16 v38, v29, v38, 0xff bitop3:0xec
	v_dual_lshrrev_b32 v29, 16, v29 :: v_dual_lshlrev_b32 v39, 16, v40
	v_lshrrev_b32_e32 v40, 8, v21
	v_perm_b32 v41, v41, v20, 0xc0c0104
	s_delay_alu instid0(VALU_DEP_4) | instskip(NEXT) | instid1(VALU_DEP_4)
	v_and_b32_e32 v38, 0xffff, v38
	v_and_b32_e32 v29, 0xffffff00, v29
	v_and_or_b32 v39, 0xffff, v16, v39
	v_sub_nc_u16 v43, v27, v40
	v_sub_nc_u16 v40, v40, v21
	s_delay_alu instid0(VALU_DEP_4) | instskip(NEXT) | instid1(VALU_DEP_4)
	v_bitop3_b16 v36, v36, v29, 0xff bitop3:0xec
	v_perm_b32 v44, v21, v39, 0xc0c0306
	s_delay_alu instid0(VALU_DEP_4) | instskip(SKIP_4) | instid1(VALU_DEP_3)
	v_perm_b32 v43, v43, v39, 0xc0c0304
	v_cndmask_b32_e64 v37, v37, v38, s0
	v_cmp_gt_u32_e64 s0, s3, v18
	v_lshlrev_b16 v40, 8, v40
	v_bitop3_b16 v29, v25, v29, 0xff bitop3:0xec
	v_cndmask_b32_e64 v38, v44, v43, s0
	v_cmp_gt_u32_e64 s0, s3, v13
	v_and_b32_e32 v37, 0xffffff00, v37
	v_sub_nc_u16 v43, v22, v34
	v_bitop3_b16 v16, v16, v40, 0xff bitop3:0xec
	s_delay_alu instid0(VALU_DEP_4) | instskip(NEXT) | instid1(VALU_DEP_4)
	v_dual_lshlrev_b32 v38, 16, v38 :: v_dual_cndmask_b32 v29, v29, v36, s0
	v_bitop3_b16 v44, v22, v37, 0xff bitop3:0xec
	s_delay_alu instid0(VALU_DEP_4) | instskip(NEXT) | instid1(VALU_DEP_4)
	v_bitop3_b16 v37, v43, v37, 0xff bitop3:0xec
	v_and_b32_e32 v16, 0xffff, v16
	s_delay_alu instid0(VALU_DEP_4) | instskip(SKIP_3) | instid1(VALU_DEP_4)
	v_and_or_b32 v38, 0xffff, v39, v38
	v_cmp_gt_u32_e64 s0, s3, v19
	v_and_b32_e32 v39, 0xffff, v44
	v_and_b32_e32 v37, 0xffff, v37
	v_perm_b32 v40, v38, v21, 0xc0c0104
	s_delay_alu instid0(VALU_DEP_1) | instskip(SKIP_1) | instid1(VALU_DEP_1)
	v_cndmask_b32_e64 v16, v40, v16, s0
	v_cmp_gt_u32_e64 s0, s3, v15
	v_cndmask_b32_e64 v36, v39, v37, s0
	v_cmp_gt_u32_e64 s0, s3, v11
	s_delay_alu instid0(VALU_DEP_4) | instskip(NEXT) | instid1(VALU_DEP_3)
	v_and_or_b32 v16, 0xffff0000, v38, v16
	v_lshl_or_b32 v36, v29, 16, v36
	s_delay_alu instid0(VALU_DEP_3) | instskip(SKIP_1) | instid1(VALU_DEP_4)
	v_cndmask_b32_e64 v37, v42, v41, s0
	v_cmp_gt_u32_e64 s0, s3, v2
	v_perm_b32 v16, v21, v16, 0x3020104
	s_delay_alu instid0(VALU_DEP_4) | instskip(NEXT) | instid1(VALU_DEP_4)
	v_perm_b32 v29, v36, v36, 0x3060504
	v_and_or_b32 v35, 0xffff0000, v20, v37
	s_and_b32 s6, vcc_lo, s0
	s_delay_alu instid0(VALU_DEP_1)
	v_perm_b32 v20, v35, v35, 0x3020104
	s_and_saveexec_b32 s0, s6
	s_cbranch_execz .LBB136_1
; %bb.3:                                ;   in Loop: Header=BB136_2 Depth=1
	ds_load_u8 v20, v3
	v_mov_b32_e32 v29, v36
	s_wait_dscnt 0x0
	v_sub_nc_u16 v20, v21, v20
	s_delay_alu instid0(VALU_DEP_1)
	v_perm_b32 v16, v20, v16, 0x3020104
	v_mov_b32_e32 v20, v35
	s_branch .LBB136_1
.LBB136_4:
	v_dual_lshlrev_b32 v2, 16, v34 :: v_dual_lshlrev_b32 v3, 16, v33
	v_dual_lshlrev_b32 v4, 16, v27 :: v_dual_lshlrev_b32 v5, 16, v32
	s_add_nc_u64 s[0:1], s[4:5], s[8:9]
	s_delay_alu instid0(SALU_CYCLE_1) | instskip(NEXT) | instid1(VALU_DEP_2)
	v_add_nc_u64_e32 v[0:1], s[0:1], v[0:1]
	v_or_b32_e32 v4, v25, v4
	s_delay_alu instid0(VALU_DEP_1) | instskip(NEXT) | instid1(VALU_DEP_1)
	v_dual_lshrrev_b32 v8, 8, v4 :: v_dual_bitop2_b32 v2, v26, v2 bitop3:0x54
	v_dual_lshrrev_b32 v6, 8, v2 :: v_dual_bitop2_b32 v5, v30, v5 bitop3:0x54
	;; [unrolled: 1-line block ×3, first 2 shown]
	v_lshrrev_b32_e32 v7, 24, v2
	s_clause 0x7
	global_store_b8 v[0:1], v2, off
	global_store_b8 v[0:1], v6, off offset:256
	global_store_d16_hi_b8 v[0:1], v2, off offset:512
	global_store_b8 v[0:1], v7, off offset:768
	global_store_b8 v[0:1], v4, off offset:1024
	;; [unrolled: 1-line block ×3, first 2 shown]
	global_store_d16_hi_b8 v[0:1], v4, off offset:1536
	global_store_b8 v[0:1], v9, off offset:1792
	s_wait_xcnt 0x1
	v_dual_lshrrev_b32 v2, 8, v5 :: v_dual_lshrrev_b32 v4, 24, v5
	v_dual_lshrrev_b32 v6, 8, v3 :: v_dual_lshrrev_b32 v7, 24, v3
	s_clause 0x7
	global_store_b8 v[0:1], v5, off offset:2048
	global_store_b8 v[0:1], v2, off offset:2304
	global_store_d16_hi_b8 v[0:1], v5, off offset:2560
	global_store_b8 v[0:1], v4, off offset:2816
	global_store_b8 v[0:1], v3, off offset:3072
	;; [unrolled: 1-line block ×3, first 2 shown]
	global_store_d16_hi_b8 v[0:1], v3, off offset:3584
	global_store_b8 v[0:1], v7, off offset:3840
	s_endpgm
	.section	.rodata,"a",@progbits
	.p2align	6, 0x0
	.amdhsa_kernel _Z6kernelI26subtract_left_partial_tileLj256ELj16ELb0EJPaPiS1_jEEvDpT3_
		.amdhsa_group_segment_fixed_size 512
		.amdhsa_private_segment_fixed_size 0
		.amdhsa_kernarg_size 28
		.amdhsa_user_sgpr_count 2
		.amdhsa_user_sgpr_dispatch_ptr 0
		.amdhsa_user_sgpr_queue_ptr 0
		.amdhsa_user_sgpr_kernarg_segment_ptr 1
		.amdhsa_user_sgpr_dispatch_id 0
		.amdhsa_user_sgpr_kernarg_preload_length 0
		.amdhsa_user_sgpr_kernarg_preload_offset 0
		.amdhsa_user_sgpr_private_segment_size 0
		.amdhsa_wavefront_size32 1
		.amdhsa_uses_dynamic_stack 0
		.amdhsa_enable_private_segment 0
		.amdhsa_system_sgpr_workgroup_id_x 1
		.amdhsa_system_sgpr_workgroup_id_y 0
		.amdhsa_system_sgpr_workgroup_id_z 0
		.amdhsa_system_sgpr_workgroup_info 0
		.amdhsa_system_vgpr_workitem_id 0
		.amdhsa_next_free_vgpr 50
		.amdhsa_next_free_sgpr 12
		.amdhsa_named_barrier_count 0
		.amdhsa_reserve_vcc 1
		.amdhsa_float_round_mode_32 0
		.amdhsa_float_round_mode_16_64 0
		.amdhsa_float_denorm_mode_32 3
		.amdhsa_float_denorm_mode_16_64 3
		.amdhsa_fp16_overflow 0
		.amdhsa_memory_ordered 1
		.amdhsa_forward_progress 1
		.amdhsa_inst_pref_size 25
		.amdhsa_round_robin_scheduling 0
		.amdhsa_exception_fp_ieee_invalid_op 0
		.amdhsa_exception_fp_denorm_src 0
		.amdhsa_exception_fp_ieee_div_zero 0
		.amdhsa_exception_fp_ieee_overflow 0
		.amdhsa_exception_fp_ieee_underflow 0
		.amdhsa_exception_fp_ieee_inexact 0
		.amdhsa_exception_int_div_zero 0
	.end_amdhsa_kernel
	.section	.text._Z6kernelI26subtract_left_partial_tileLj256ELj16ELb0EJPaPiS1_jEEvDpT3_,"axG",@progbits,_Z6kernelI26subtract_left_partial_tileLj256ELj16ELb0EJPaPiS1_jEEvDpT3_,comdat
.Lfunc_end136:
	.size	_Z6kernelI26subtract_left_partial_tileLj256ELj16ELb0EJPaPiS1_jEEvDpT3_, .Lfunc_end136-_Z6kernelI26subtract_left_partial_tileLj256ELj16ELb0EJPaPiS1_jEEvDpT3_
                                        ; -- End function
	.set _Z6kernelI26subtract_left_partial_tileLj256ELj16ELb0EJPaPiS1_jEEvDpT3_.num_vgpr, 50
	.set _Z6kernelI26subtract_left_partial_tileLj256ELj16ELb0EJPaPiS1_jEEvDpT3_.num_agpr, 0
	.set _Z6kernelI26subtract_left_partial_tileLj256ELj16ELb0EJPaPiS1_jEEvDpT3_.numbered_sgpr, 12
	.set _Z6kernelI26subtract_left_partial_tileLj256ELj16ELb0EJPaPiS1_jEEvDpT3_.num_named_barrier, 0
	.set _Z6kernelI26subtract_left_partial_tileLj256ELj16ELb0EJPaPiS1_jEEvDpT3_.private_seg_size, 0
	.set _Z6kernelI26subtract_left_partial_tileLj256ELj16ELb0EJPaPiS1_jEEvDpT3_.uses_vcc, 1
	.set _Z6kernelI26subtract_left_partial_tileLj256ELj16ELb0EJPaPiS1_jEEvDpT3_.uses_flat_scratch, 0
	.set _Z6kernelI26subtract_left_partial_tileLj256ELj16ELb0EJPaPiS1_jEEvDpT3_.has_dyn_sized_stack, 0
	.set _Z6kernelI26subtract_left_partial_tileLj256ELj16ELb0EJPaPiS1_jEEvDpT3_.has_recursion, 0
	.set _Z6kernelI26subtract_left_partial_tileLj256ELj16ELb0EJPaPiS1_jEEvDpT3_.has_indirect_call, 0
	.section	.AMDGPU.csdata,"",@progbits
; Kernel info:
; codeLenInByte = 3196
; TotalNumSgprs: 14
; NumVgprs: 50
; ScratchSize: 0
; MemoryBound: 0
; FloatMode: 240
; IeeeMode: 1
; LDSByteSize: 512 bytes/workgroup (compile time only)
; SGPRBlocks: 0
; VGPRBlocks: 3
; NumSGPRsForWavesPerEU: 14
; NumVGPRsForWavesPerEU: 50
; NamedBarCnt: 0
; Occupancy: 16
; WaveLimiterHint : 1
; COMPUTE_PGM_RSRC2:SCRATCH_EN: 0
; COMPUTE_PGM_RSRC2:USER_SGPR: 2
; COMPUTE_PGM_RSRC2:TRAP_HANDLER: 0
; COMPUTE_PGM_RSRC2:TGID_X_EN: 1
; COMPUTE_PGM_RSRC2:TGID_Y_EN: 0
; COMPUTE_PGM_RSRC2:TGID_Z_EN: 0
; COMPUTE_PGM_RSRC2:TIDIG_COMP_CNT: 0
	.section	.text._Z6kernelI26subtract_left_partial_tileLj256ELj32ELb0EJPaPiS1_jEEvDpT3_,"axG",@progbits,_Z6kernelI26subtract_left_partial_tileLj256ELj32ELb0EJPaPiS1_jEEvDpT3_,comdat
	.protected	_Z6kernelI26subtract_left_partial_tileLj256ELj32ELb0EJPaPiS1_jEEvDpT3_ ; -- Begin function _Z6kernelI26subtract_left_partial_tileLj256ELj32ELb0EJPaPiS1_jEEvDpT3_
	.globl	_Z6kernelI26subtract_left_partial_tileLj256ELj32ELb0EJPaPiS1_jEEvDpT3_
	.p2align	8
	.type	_Z6kernelI26subtract_left_partial_tileLj256ELj32ELb0EJPaPiS1_jEEvDpT3_,@function
_Z6kernelI26subtract_left_partial_tileLj256ELj32ELb0EJPaPiS1_jEEvDpT3_: ; @_Z6kernelI26subtract_left_partial_tileLj256ELj32ELb0EJPaPiS1_jEEvDpT3_
; %bb.0:
	s_load_b128 s[4:7], s[0:1], 0x0
	s_bfe_u32 s2, ttmp6, 0x4000c
	s_and_b32 s3, ttmp6, 15
	s_add_co_i32 s2, s2, 1
	s_getreg_b32 s8, hwreg(HW_REG_IB_STS2, 6, 4)
	s_mul_i32 s2, ttmp9, s2
	s_mov_b32 s9, 0
	s_add_co_i32 s3, s3, s2
	s_cmp_eq_u32 s8, 0
	s_wait_xcnt 0x0
	s_load_b96 s[0:2], s[0:1], 0x10
	s_cselect_b32 s3, ttmp9, s3
	v_dual_mov_b32 v1, 0 :: v_dual_lshlrev_b32 v10, 5, v0
	s_lshl_b32 s8, s3, 13
	v_cmp_ne_u32_e32 vcc_lo, 0, v0
	s_delay_alu instid0(VALU_DEP_2)
	v_or_b32_e32 v11, 31, v10
	v_or_b32_e32 v12, 30, v10
	v_or_b32_e32 v13, 29, v10
	v_or_b32_e32 v14, 28, v10
	s_wait_kmcnt 0x0
	s_add_nc_u64 s[4:5], s[4:5], s[8:9]
	v_or_b32_e32 v15, 27, v10
	s_clause 0x1f
	global_load_u8 v2, v0, s[4:5] offset:256
	global_load_u8 v3, v0, s[4:5] offset:1536
	global_load_u8 v4, v0, s[4:5] offset:1024
	global_load_u8 v5, v0, s[4:5] offset:512
	global_load_u8 v6, v0, s[4:5] offset:1792
	global_load_u8 v7, v0, s[4:5] offset:1280
	global_load_u8 v8, v0, s[4:5] offset:768
	global_load_u8 v9, v0, s[4:5]
	global_load_u8 v42, v0, s[4:5] offset:2304
	global_load_u8 v43, v0, s[4:5] offset:3584
	;; [unrolled: 1-line block ×24, first 2 shown]
	s_load_b32 s3, s[6:7], s3 offset:0x0 scale_offset
	v_or_b32_e32 v16, 26, v10
	v_or_b32_e32 v17, 25, v10
	;; [unrolled: 1-line block ×5, first 2 shown]
	s_cvt_f32_u32 s4, s2
	s_sub_co_i32 s5, 0, s2
	v_or_b32_e32 v21, 21, v10
	v_or_b32_e32 v22, 20, v10
	v_rcp_iflag_f32_e32 v29, s4
	v_or_b32_e32 v23, 19, v10
	v_or_b32_e32 v24, 18, v10
	;; [unrolled: 1-line block ×6, first 2 shown]
	v_readfirstlane_b32 s4, v29
	v_or_b32_e32 v29, 13, v10
	v_or_b32_e32 v30, 12, v10
	v_or_b32_e32 v31, 11, v10
	v_or_b32_e32 v32, 10, v10
	s_mul_f32 s4, s4, 0x4f7ffffe
	v_or_b32_e32 v33, 9, v10
	v_or_b32_e32 v34, 8, v10
	;; [unrolled: 1-line block ×3, first 2 shown]
	s_cvt_u32_f32 s4, s4
	v_or_b32_e32 v36, 6, v10
	v_or_b32_e32 v37, 5, v10
	;; [unrolled: 1-line block ×3, first 2 shown]
	s_mul_i32 s5, s5, s4
	v_or_b32_e32 v39, 3, v10
	s_mul_hi_u32 s5, s4, s5
	v_or_b32_e32 v40, 2, v10
	s_add_co_i32 s4, s4, s5
	v_or_b32_e32 v41, 1, v10
	s_lshr_b32 s5, s4, 19
	s_mov_b32 s4, s0
	s_mul_i32 s10, s5, s2
	s_delay_alu instid0(SALU_CYCLE_1)
	s_sub_co_i32 s0, 0x2000, s10
	s_add_co_i32 s10, s5, 1
	s_sub_co_i32 s11, s0, s2
	s_cmp_ge_u32 s0, s2
	s_cselect_b32 s5, s10, s5
	s_cselect_b32 s0, s11, s0
	s_wait_xcnt 0x0
	s_add_co_i32 s6, s5, 1
	s_cmp_ge_u32 s0, s2
	s_cselect_b32 s0, s6, s5
	s_mov_b32 s5, s1
	s_add_co_i32 s1, s0, 1
	s_wait_loadcnt 0x1b
	v_perm_b32 v3, v3, v6, 0xc0c0004
	s_wait_loadcnt 0x1a
	v_perm_b32 v4, v4, v7, 0xc0c0004
	;; [unrolled: 2-line block ×4, first 2 shown]
	v_lshl_or_b32 v7, v3, 16, v4
	s_wait_loadcnt 0x13
	v_perm_b32 v43, v43, v46, 0xc0c0004
	s_delay_alu instid0(VALU_DEP_3)
	v_lshl_or_b32 v6, v5, 16, v2
	s_wait_loadcnt 0x11
	v_perm_b32 v9, v45, v48, 0xc0c0004
	s_wait_loadcnt 0x10
	v_perm_b32 v8, v49, v42, 0xc0c0004
	v_perm_b32 v42, v44, v47, 0xc0c0004
	s_wait_loadcnt 0xb
	v_perm_b32 v47, v54, v53, 0xc0c0004
	s_wait_loadcnt 0xa
	;; [unrolled: 2-line block ×4, first 2 shown]
	v_perm_b32 v44, v57, v50, 0xc0c0004
	v_lshl_or_b32 v4, v9, 16, v8
	v_lshl_or_b32 v5, v43, 16, v42
	s_wait_loadcnt 0x5
	v_perm_b32 v49, v59, v60, 0xc0c0004
	v_lshl_or_b32 v9, v47, 16, v46
	v_lshl_or_b32 v8, v45, 16, v44
	s_wait_loadcnt 0x2
	v_perm_b32 v48, v63, v58, 0xc0c0004
	s_wait_loadcnt 0x1
	v_perm_b32 v50, v62, v64, 0xc0c0004
	;; [unrolled: 2-line block ×3, first 2 shown]
	v_lshl_or_b32 v2, v49, 16, v48
	s_delay_alu instid0(VALU_DEP_2)
	v_lshl_or_b32 v3, v51, 16, v50
	s_branch .LBB137_2
.LBB137_1:                              ;   in Loop: Header=BB137_2 Depth=1
	s_or_b32 exec_lo, exec_lo, s0
	v_dual_lshrrev_b32 v48, 16, v6 :: v_dual_lshrrev_b32 v49, 8, v7
	v_cmp_gt_u32_e64 s0, s3, v39
	v_lshrrev_b64 v[46:47], 24, v[6:7]
	v_dual_lshrrev_b32 v47, 8, v6 :: v_dual_lshrrev_b32 v51, 24, v7
	s_delay_alu instid0(VALU_DEP_3) | instskip(SKIP_3) | instid1(VALU_DEP_4)
	v_dual_lshrrev_b32 v50, 16, v7 :: v_dual_cndmask_b32 v43, 0, v48, s0
	v_cmp_gt_u32_e64 s0, s3, v38
	v_add_nc_u16 v44, v44, v6
	v_dual_lshrrev_b32 v61, 16, v5 :: v_dual_lshrrev_b32 v62, 24, v5
	v_sub_nc_u16 v43, v46, v43
	s_delay_alu instid0(VALU_DEP_4)
	v_cndmask_b32_e64 v45, 0, v46, s0
	v_cmp_gt_u32_e64 s0, s3, v41
	s_add_co_i32 s2, s2, -1
	v_add_nc_u16 v43, v43, v46
	s_barrier_signal -1
	v_cndmask_b32_e64 v52, 0, v6, s0
	v_cmp_gt_u32_e64 s0, s3, v40
	s_barrier_wait -1
	s_delay_alu instid0(VALU_DEP_1) | instskip(SKIP_2) | instid1(VALU_DEP_2)
	v_cndmask_b32_e64 v46, 0, v47, s0
	v_cmp_gt_u32_e64 s0, s3, v37
	v_sub_nc_u16 v45, v7, v45
	v_cndmask_b32_e64 v6, 0, v7, s0
	v_cmp_gt_u32_e64 s0, s3, v35
	s_delay_alu instid0(VALU_DEP_3)
	v_add_nc_u16 v45, v45, v7
	v_sub_nc_u16 v7, v48, v46
	v_sub_nc_u16 v52, v47, v52
	;; [unrolled: 1-line block ×3, first 2 shown]
	v_cndmask_b32_e64 v53, 0, v50, s0
	v_cmp_gt_u32_e64 s0, s3, v36
	v_add_nc_u16 v48, v7, v48
	v_lshlrev_b16 v7, 8, v43
	v_add_nc_u16 v46, v6, v49
	v_add_nc_u16 v47, v52, v47
	v_cndmask_b32_e64 v54, 0, v49, s0
	v_sub_nc_u16 v53, v51, v53
	v_bitop3_b16 v7, v48, v7, 0xff bitop3:0xec
	v_lshlrev_b16 v52, 8, v46
	v_lshrrev_b32_e32 v56, 16, v4
	v_sub_nc_u16 v54, v50, v54
	v_add_nc_u16 v49, v53, v51
	v_cmp_gt_u32_e64 s0, s3, v31
	v_lshlrev_b16 v6, 8, v47
	v_lshlrev_b32_e32 v7, 16, v7
	v_add_nc_u16 v50, v54, v50
	v_lshlrev_b16 v53, 8, v49
	v_bitop3_b16 v54, v45, v52, 0xff bitop3:0xec
	v_bitop3_b16 v6, v44, v6, 0xff bitop3:0xec
	s_delay_alu instid0(VALU_DEP_3)
	v_bitop3_b16 v55, v50, v53, 0xff bitop3:0xec
	v_lshrrev_b64 v[52:53], 24, v[4:5]
	v_cndmask_b32_e64 v53, 0, v56, s0
	v_cmp_gt_u32_e64 s0, s3, v34
	v_and_b32_e32 v6, 0xffff, v6
	v_and_b32_e32 v59, 0xffff, v54
	v_lshlrev_b32_e32 v60, 16, v55
	s_delay_alu instid0(VALU_DEP_4) | instskip(SKIP_3) | instid1(VALU_DEP_4)
	v_cndmask_b32_e64 v51, 0, v51, s0
	v_cmp_gt_u32_e64 s0, s3, v30
	v_sub_nc_u16 v53, v52, v53
	v_dual_lshrrev_b32 v7, 8, v4 :: v_dual_bitop2_b32 v6, v6, v7 bitop3:0x54
	v_sub_nc_u16 v54, v4, v51
	s_delay_alu instid0(VALU_DEP_4) | instskip(SKIP_2) | instid1(VALU_DEP_4)
	v_cndmask_b32_e64 v57, 0, v52, s0
	v_cmp_gt_u32_e64 s0, s3, v33
	v_add_nc_u16 v51, v53, v52
	v_add_nc_u16 v53, v54, v4
	s_delay_alu instid0(VALU_DEP_4) | instskip(NEXT) | instid1(VALU_DEP_4)
	v_sub_nc_u16 v55, v5, v57
	v_dual_cndmask_b32 v4, 0, v4, s0 :: v_dual_lshrrev_b32 v54, 8, v5
	v_cmp_gt_u32_e64 s0, s3, v29
	s_delay_alu instid0(VALU_DEP_3) | instskip(NEXT) | instid1(VALU_DEP_3)
	v_add_nc_u16 v52, v55, v5
	v_sub_nc_u16 v4, v7, v4
	s_delay_alu instid0(VALU_DEP_3) | instskip(SKIP_1) | instid1(VALU_DEP_1)
	v_cndmask_b32_e64 v5, 0, v5, s0
	v_cmp_gt_u32_e64 s0, s3, v32
	v_cndmask_b32_e64 v55, 0, v7, s0
	v_cmp_gt_u32_e64 s0, s3, v27
	s_delay_alu instid0(VALU_DEP_4) | instskip(NEXT) | instid1(VALU_DEP_3)
	v_sub_nc_u16 v5, v54, v5
	v_sub_nc_u16 v55, v56, v55
	s_delay_alu instid0(VALU_DEP_3) | instskip(SKIP_1) | instid1(VALU_DEP_1)
	v_cndmask_b32_e64 v57, 0, v61, s0
	v_cmp_gt_u32_e64 s0, s3, v28
	v_cndmask_b32_e64 v58, 0, v54, s0
	s_delay_alu instid0(VALU_DEP_3) | instskip(SKIP_2) | instid1(VALU_DEP_4)
	v_sub_nc_u16 v63, v62, v57
	v_add_nc_u16 v57, v4, v7
	v_cmp_gt_u32_e64 s0, s3, v23
	v_sub_nc_u16 v64, v61, v58
	v_add_nc_u16 v58, v55, v56
	v_add_nc_u16 v55, v5, v54
	;; [unrolled: 1-line block ×3, first 2 shown]
	v_lshlrev_b16 v5, 8, v51
	v_add_nc_u16 v56, v64, v61
	v_lshrrev_b32_e32 v64, 16, v8
	v_lshlrev_b16 v61, 8, v55
	v_lshlrev_b16 v63, 8, v54
	v_bitop3_b16 v5, v58, v5, 0xff bitop3:0xec
	v_or_b32_e32 v7, v59, v60
	v_lshlrev_b16 v4, 8, v57
	v_bitop3_b16 v59, v52, v61, 0xff bitop3:0xec
	v_lshrrev_b64 v[60:61], 24, v[8:9]
	v_bitop3_b16 v63, v56, v63, 0xff bitop3:0xec
	v_cndmask_b32_e64 v61, 0, v64, s0
	v_cmp_gt_u32_e64 s0, s3, v26
	v_bitop3_b16 v4, v53, v4, 0xff bitop3:0xec
	v_lshlrev_b32_e32 v5, 16, v5
	v_and_b32_e32 v59, 0xffff, v59
	s_delay_alu instid0(VALU_DEP_4) | instskip(SKIP_3) | instid1(VALU_DEP_4)
	v_dual_lshlrev_b32 v63, 16, v63 :: v_dual_cndmask_b32 v62, 0, v62, s0
	v_cmp_gt_u32_e64 s0, s3, v22
	v_and_b32_e32 v4, 0xffff, v4
	v_sub_nc_u16 v61, v60, v61
	v_sub_nc_u16 v62, v8, v62
	s_delay_alu instid0(VALU_DEP_3) | instskip(SKIP_4) | instid1(VALU_DEP_4)
	v_dual_cndmask_b32 v65, 0, v60, s0 :: v_dual_bitop2_b32 v4, v4, v5 bitop3:0x54
	v_cmp_gt_u32_e64 s0, s3, v25
	v_or_b32_e32 v5, v59, v63
	v_add_nc_u16 v59, v61, v60
	v_add_nc_u16 v61, v62, v8
	v_dual_lshrrev_b32 v62, 8, v8 :: v_dual_cndmask_b32 v8, 0, v8, s0
	v_cmp_gt_u32_e64 s0, s3, v24
	v_sub_nc_u16 v65, v9, v65
	v_lshrrev_b32_e32 v66, 16, v9
	v_lshlrev_b16 v70, 8, v59
	s_delay_alu instid0(VALU_DEP_4) | instskip(SKIP_4) | instid1(VALU_DEP_4)
	v_cndmask_b32_e64 v63, 0, v62, s0
	v_cmp_gt_u32_e64 s0, s3, v21
	v_add_nc_u16 v60, v65, v9
	v_dual_lshrrev_b32 v65, 8, v9 :: v_dual_lshrrev_b32 v67, 24, v9
	v_sub_nc_u16 v8, v62, v8
	v_cndmask_b32_e64 v9, 0, v9, s0
	v_cmp_gt_u32_e64 s0, s3, v20
	v_sub_nc_u16 v63, v64, v63
	s_delay_alu instid0(VALU_DEP_4) | instskip(NEXT) | instid1(VALU_DEP_4)
	v_add_nc_u16 v62, v8, v62
	v_sub_nc_u16 v8, v65, v9
	s_delay_alu instid0(VALU_DEP_4) | instskip(SKIP_2) | instid1(VALU_DEP_4)
	v_cndmask_b32_e64 v68, 0, v65, s0
	v_cmp_gt_u32_e64 s0, s3, v19
	v_add_nc_u16 v63, v63, v64
	v_add_nc_u16 v64, v8, v65
	s_delay_alu instid0(VALU_DEP_3) | instskip(SKIP_2) | instid1(VALU_DEP_4)
	v_cndmask_b32_e64 v69, 0, v66, s0
	v_sub_nc_u16 v9, v66, v68
	v_cmp_gt_u32_e64 s0, s3, v15
	v_lshlrev_b16 v71, 8, v64
	s_delay_alu instid0(VALU_DEP_4)
	v_sub_nc_u16 v68, v67, v69
	v_lshlrev_b16 v69, 8, v62
	v_add_nc_u16 v65, v9, v66
	v_lshrrev_b64 v[8:9], 24, v[2:3]
	v_bitop3_b16 v74, v60, v71, 0xff bitop3:0xec
	v_add_nc_u16 v66, v68, v67
	v_bitop3_b16 v68, v61, v69, 0xff bitop3:0xec
	v_bitop3_b16 v69, v63, v70, 0xff bitop3:0xec
	v_lshrrev_b32_e32 v70, 16, v2
	v_and_b32_e32 v74, 0xffff, v74
	v_lshlrev_b16 v9, 8, v66
	v_and_b32_e32 v75, 0xffff, v68
	s_delay_alu instid0(VALU_DEP_4) | instskip(SKIP_1) | instid1(VALU_DEP_4)
	v_dual_lshlrev_b32 v76, 16, v69 :: v_dual_cndmask_b32 v72, 0, v70, s0
	v_cmp_gt_u32_e64 s0, s3, v18
	v_bitop3_b16 v9, v65, v9, 0xff bitop3:0xec
	s_delay_alu instid0(VALU_DEP_2) | instskip(SKIP_1) | instid1(VALU_DEP_1)
	v_cndmask_b32_e64 v67, 0, v67, s0
	v_cmp_gt_u32_e64 s0, s3, v14
	v_dual_lshlrev_b32 v9, 16, v9 :: v_dual_cndmask_b32 v73, 0, v8, s0
	v_sub_nc_u16 v71, v8, v72
	s_delay_alu instid0(VALU_DEP_4) | instskip(SKIP_1) | instid1(VALU_DEP_4)
	v_sub_nc_u16 v72, v2, v67
	v_cmp_gt_u32_e64 s0, s3, v17
	v_or_b32_e32 v9, v74, v9
	v_sub_nc_u16 v73, v3, v73
	v_add_nc_u16 v67, v71, v8
	v_add_nc_u16 v69, v72, v2
	v_dual_lshrrev_b32 v8, 8, v2 :: v_dual_cndmask_b32 v2, 0, v2, s0
	v_lshrrev_b32_e32 v71, 8, v3
	v_cmp_gt_u32_e64 s0, s3, v13
	v_add_nc_u16 v68, v73, v3
	v_lshrrev_b32_e32 v77, 16, v3
	v_sub_nc_u16 v2, v8, v2
	s_delay_alu instid0(VALU_DEP_4) | instskip(SKIP_1) | instid1(VALU_DEP_2)
	v_cndmask_b32_e64 v3, 0, v3, s0
	v_cmp_gt_u32_e64 s0, s3, v16
	v_sub_nc_u16 v3, v71, v3
	s_delay_alu instid0(VALU_DEP_2) | instskip(SKIP_1) | instid1(VALU_DEP_1)
	v_cndmask_b32_e64 v72, 0, v8, s0
	v_cmp_gt_u32_e64 s0, s3, v11
	v_cndmask_b32_e64 v73, 0, v77, s0
	v_cmp_gt_u32_e64 s0, s3, v12
	s_delay_alu instid0(VALU_DEP_4) | instskip(SKIP_1) | instid1(VALU_DEP_4)
	v_sub_nc_u16 v79, v70, v72
	v_add_nc_u16 v72, v2, v8
	v_sub_nc_u16 v80, v42, v73
	s_delay_alu instid0(VALU_DEP_4) | instskip(NEXT) | instid1(VALU_DEP_4)
	v_cndmask_b32_e64 v78, 0, v71, s0
	v_add_nc_u16 v73, v79, v70
	v_add_nc_u16 v70, v3, v71
	v_lshlrev_b16 v2, 8, v72
	v_add_nc_u16 v42, v80, v42
	v_sub_nc_u16 v78, v77, v78
	v_lshlrev_b16 v3, 8, v67
	v_lshlrev_b16 v8, 8, v70
	v_bitop3_b16 v2, v69, v2, 0xff bitop3:0xec
	s_add_co_i32 s0, s1, s3
	v_add_nc_u16 v71, v78, v77
	v_lshlrev_b16 v77, 8, v42
	v_bitop3_b16 v3, v73, v3, 0xff bitop3:0xec
	v_bitop3_b16 v8, v68, v8, 0xff bitop3:0xec
	v_and_b32_e32 v2, 0xffff, v2
	s_and_b32 s3, s0, 0x1fff
	v_bitop3_b16 v77, v71, v77, 0xff bitop3:0xec
	v_lshlrev_b32_e32 v3, 16, v3
	v_and_b32_e32 v78, 0xffff, v8
	v_or_b32_e32 v8, v75, v76
	s_cmp_lg_u32 s2, 0
	s_delay_alu instid0(VALU_DEP_3) | instskip(NEXT) | instid1(VALU_DEP_1)
	v_dual_lshlrev_b32 v77, 16, v77 :: v_dual_bitop2_b32 v2, v2, v3 bitop3:0x54
	v_or_b32_e32 v3, v78, v77
	s_cbranch_scc0 .LBB137_4
.LBB137_2:                              ; =>This Inner Loop Header: Depth=1
	s_wait_kmcnt 0x0
	v_cmp_gt_u32_e64 s0, s3, v10
	s_delay_alu instid0(VALU_DEP_2)
	v_dual_lshrrev_b32 v42, 24, v3 :: v_dual_mov_b32 v44, v6
	s_and_b32 s6, vcc_lo, s0
	ds_store_b8 v0, v42
	s_wait_dscnt 0x0
	s_barrier_signal -1
	s_barrier_wait -1
	s_and_saveexec_b32 s0, s6
	s_cbranch_execz .LBB137_1
; %bb.3:                                ;   in Loop: Header=BB137_2 Depth=1
	v_add_nc_u32_e32 v43, -1, v0
	ds_load_u8 v43, v43
	s_wait_dscnt 0x0
	v_sub_nc_u16 v44, v6, v43
	s_branch .LBB137_1
.LBB137_4:
	s_add_nc_u64 s[0:1], s[4:5], s[8:9]
	s_delay_alu instid0(SALU_CYCLE_1)
	v_add_nc_u64_e32 v[0:1], s[0:1], v[0:1]
	s_clause 0x1f
	global_store_b8 v[0:1], v44, off
	global_store_b8 v[0:1], v47, off offset:256
	global_store_b8 v[0:1], v48, off offset:512
	;; [unrolled: 1-line block ×31, first 2 shown]
	s_sendmsg sendmsg(MSG_DEALLOC_VGPRS)
	s_endpgm
	.section	.rodata,"a",@progbits
	.p2align	6, 0x0
	.amdhsa_kernel _Z6kernelI26subtract_left_partial_tileLj256ELj32ELb0EJPaPiS1_jEEvDpT3_
		.amdhsa_group_segment_fixed_size 512
		.amdhsa_private_segment_fixed_size 0
		.amdhsa_kernarg_size 28
		.amdhsa_user_sgpr_count 2
		.amdhsa_user_sgpr_dispatch_ptr 0
		.amdhsa_user_sgpr_queue_ptr 0
		.amdhsa_user_sgpr_kernarg_segment_ptr 1
		.amdhsa_user_sgpr_dispatch_id 0
		.amdhsa_user_sgpr_kernarg_preload_length 0
		.amdhsa_user_sgpr_kernarg_preload_offset 0
		.amdhsa_user_sgpr_private_segment_size 0
		.amdhsa_wavefront_size32 1
		.amdhsa_uses_dynamic_stack 0
		.amdhsa_enable_private_segment 0
		.amdhsa_system_sgpr_workgroup_id_x 1
		.amdhsa_system_sgpr_workgroup_id_y 0
		.amdhsa_system_sgpr_workgroup_id_z 0
		.amdhsa_system_sgpr_workgroup_info 0
		.amdhsa_system_vgpr_workitem_id 0
		.amdhsa_next_free_vgpr 81
		.amdhsa_next_free_sgpr 12
		.amdhsa_named_barrier_count 0
		.amdhsa_reserve_vcc 1
		.amdhsa_float_round_mode_32 0
		.amdhsa_float_round_mode_16_64 0
		.amdhsa_float_denorm_mode_32 3
		.amdhsa_float_denorm_mode_16_64 3
		.amdhsa_fp16_overflow 0
		.amdhsa_memory_ordered 1
		.amdhsa_forward_progress 1
		.amdhsa_inst_pref_size 26
		.amdhsa_round_robin_scheduling 0
		.amdhsa_exception_fp_ieee_invalid_op 0
		.amdhsa_exception_fp_denorm_src 0
		.amdhsa_exception_fp_ieee_div_zero 0
		.amdhsa_exception_fp_ieee_overflow 0
		.amdhsa_exception_fp_ieee_underflow 0
		.amdhsa_exception_fp_ieee_inexact 0
		.amdhsa_exception_int_div_zero 0
	.end_amdhsa_kernel
	.section	.text._Z6kernelI26subtract_left_partial_tileLj256ELj32ELb0EJPaPiS1_jEEvDpT3_,"axG",@progbits,_Z6kernelI26subtract_left_partial_tileLj256ELj32ELb0EJPaPiS1_jEEvDpT3_,comdat
.Lfunc_end137:
	.size	_Z6kernelI26subtract_left_partial_tileLj256ELj32ELb0EJPaPiS1_jEEvDpT3_, .Lfunc_end137-_Z6kernelI26subtract_left_partial_tileLj256ELj32ELb0EJPaPiS1_jEEvDpT3_
                                        ; -- End function
	.set _Z6kernelI26subtract_left_partial_tileLj256ELj32ELb0EJPaPiS1_jEEvDpT3_.num_vgpr, 81
	.set _Z6kernelI26subtract_left_partial_tileLj256ELj32ELb0EJPaPiS1_jEEvDpT3_.num_agpr, 0
	.set _Z6kernelI26subtract_left_partial_tileLj256ELj32ELb0EJPaPiS1_jEEvDpT3_.numbered_sgpr, 12
	.set _Z6kernelI26subtract_left_partial_tileLj256ELj32ELb0EJPaPiS1_jEEvDpT3_.num_named_barrier, 0
	.set _Z6kernelI26subtract_left_partial_tileLj256ELj32ELb0EJPaPiS1_jEEvDpT3_.private_seg_size, 0
	.set _Z6kernelI26subtract_left_partial_tileLj256ELj32ELb0EJPaPiS1_jEEvDpT3_.uses_vcc, 1
	.set _Z6kernelI26subtract_left_partial_tileLj256ELj32ELb0EJPaPiS1_jEEvDpT3_.uses_flat_scratch, 0
	.set _Z6kernelI26subtract_left_partial_tileLj256ELj32ELb0EJPaPiS1_jEEvDpT3_.has_dyn_sized_stack, 0
	.set _Z6kernelI26subtract_left_partial_tileLj256ELj32ELb0EJPaPiS1_jEEvDpT3_.has_recursion, 0
	.set _Z6kernelI26subtract_left_partial_tileLj256ELj32ELb0EJPaPiS1_jEEvDpT3_.has_indirect_call, 0
	.section	.AMDGPU.csdata,"",@progbits
; Kernel info:
; codeLenInByte = 3268
; TotalNumSgprs: 14
; NumVgprs: 81
; ScratchSize: 0
; MemoryBound: 0
; FloatMode: 240
; IeeeMode: 1
; LDSByteSize: 512 bytes/workgroup (compile time only)
; SGPRBlocks: 0
; VGPRBlocks: 5
; NumSGPRsForWavesPerEU: 14
; NumVGPRsForWavesPerEU: 81
; NamedBarCnt: 0
; Occupancy: 10
; WaveLimiterHint : 1
; COMPUTE_PGM_RSRC2:SCRATCH_EN: 0
; COMPUTE_PGM_RSRC2:USER_SGPR: 2
; COMPUTE_PGM_RSRC2:TRAP_HANDLER: 0
; COMPUTE_PGM_RSRC2:TGID_X_EN: 1
; COMPUTE_PGM_RSRC2:TGID_Y_EN: 0
; COMPUTE_PGM_RSRC2:TGID_Z_EN: 0
; COMPUTE_PGM_RSRC2:TIDIG_COMP_CNT: 0
	.section	.text._Z6kernelI26subtract_left_partial_tileLj256ELj1ELb0EJPxPiS1_jEEvDpT3_,"axG",@progbits,_Z6kernelI26subtract_left_partial_tileLj256ELj1ELb0EJPxPiS1_jEEvDpT3_,comdat
	.protected	_Z6kernelI26subtract_left_partial_tileLj256ELj1ELb0EJPxPiS1_jEEvDpT3_ ; -- Begin function _Z6kernelI26subtract_left_partial_tileLj256ELj1ELb0EJPxPiS1_jEEvDpT3_
	.globl	_Z6kernelI26subtract_left_partial_tileLj256ELj1ELb0EJPxPiS1_jEEvDpT3_
	.p2align	8
	.type	_Z6kernelI26subtract_left_partial_tileLj256ELj1ELb0EJPxPiS1_jEEvDpT3_,@function
_Z6kernelI26subtract_left_partial_tileLj256ELj1ELb0EJPxPiS1_jEEvDpT3_: ; @_Z6kernelI26subtract_left_partial_tileLj256ELj1ELb0EJPxPiS1_jEEvDpT3_
; %bb.0:
	s_load_b128 s[8:11], s[0:1], 0x0
	s_bfe_u32 s2, ttmp6, 0x4000c
	s_and_b32 s3, ttmp6, 15
	s_add_co_i32 s2, s2, 1
	s_getreg_b32 s4, hwreg(HW_REG_IB_STS2, 6, 4)
	s_mul_i32 s2, ttmp9, s2
	v_cmp_ne_u32_e32 vcc_lo, 0, v0
	s_add_co_i32 s3, s3, s2
	s_cmp_eq_u32 s4, 0
	s_cselect_b32 s12, ttmp9, s3
	s_mov_b32 s3, 0
	s_lshl_b32 s2, s12, 8
	s_delay_alu instid0(SALU_CYCLE_1)
	s_lshl_b64 s[4:5], s[2:3], 3
	s_wait_xcnt 0x0
	s_load_b96 s[0:2], s[0:1], 0x10
	s_wait_kmcnt 0x0
	s_add_nc_u64 s[6:7], s[8:9], s[4:5]
	global_load_b64 v[2:3], v0, s[6:7] scale_offset
	s_cvt_f32_u32 s3, s2
	s_wait_xcnt 0x0
	s_sub_co_i32 s6, 0, s2
	s_delay_alu instid0(SALU_CYCLE_1) | instskip(SKIP_1) | instid1(TRANS32_DEP_1)
	v_rcp_iflag_f32_e32 v1, s3
	v_nop
	v_readfirstlane_b32 s3, v1
	v_lshlrev_b32_e32 v1, 3, v0
	s_mul_f32 s3, s3, 0x4f7ffffe
	s_delay_alu instid0(VALU_DEP_1) | instskip(NEXT) | instid1(SALU_CYCLE_2)
	v_add_nc_u32_e32 v6, -8, v1
	s_cvt_u32_f32 s3, s3
	s_delay_alu instid0(SALU_CYCLE_3) | instskip(NEXT) | instid1(SALU_CYCLE_1)
	s_mul_i32 s6, s6, s3
	s_mul_hi_u32 s6, s3, s6
	s_delay_alu instid0(SALU_CYCLE_1) | instskip(SKIP_2) | instid1(SALU_CYCLE_1)
	s_add_co_i32 s6, s3, s6
	s_load_b32 s3, s[10:11], s12 offset:0x0 scale_offset
	s_lshr_b32 s7, s6, 24
	s_mul_i32 s6, s7, s2
	s_add_co_i32 s9, s7, 1
	s_sub_co_i32 s8, 0x100, s6
	s_mov_b32 s6, s0
	s_wait_xcnt 0x0
	s_sub_co_i32 s10, s8, s2
	s_cmp_ge_u32 s8, s2
	s_cselect_b32 s0, s9, s7
	s_cselect_b32 s7, s10, s8
	s_add_co_i32 s8, s0, 1
	s_cmp_ge_u32 s7, s2
	s_mov_b32 s7, s1
	s_cselect_b32 s0, s8, s0
	s_delay_alu instid0(SALU_CYCLE_1)
	s_add_co_i32 s1, s0, 1
	s_branch .LBB138_2
.LBB138_1:                              ;   in Loop: Header=BB138_2 Depth=1
	s_or_b32 exec_lo, exec_lo, s0
	s_delay_alu instid0(VALU_DEP_1)
	v_add_nc_u64_e32 v[2:3], v[4:5], v[2:3]
	s_add_co_i32 s0, s1, s3
	s_add_co_i32 s2, s2, -1
	s_and_b32 s3, s0, 0xff
	s_cmp_lg_u32 s2, 0
	s_barrier_signal -1
	s_barrier_wait -1
	s_cbranch_scc0 .LBB138_4
.LBB138_2:                              ; =>This Inner Loop Header: Depth=1
	s_wait_kmcnt 0x0
	v_cmp_gt_u32_e64 s0, s3, v0
	s_wait_loadcnt 0x0
	v_mov_b64_e32 v[4:5], v[2:3]
	ds_store_b64 v1, v[2:3]
	s_wait_dscnt 0x0
	s_barrier_signal -1
	s_and_b32 s8, vcc_lo, s0
	s_barrier_wait -1
	s_and_saveexec_b32 s0, s8
	s_cbranch_execz .LBB138_1
; %bb.3:                                ;   in Loop: Header=BB138_2 Depth=1
	ds_load_b64 v[4:5], v6
	s_wait_dscnt 0x0
	v_sub_nc_u64_e32 v[4:5], v[2:3], v[4:5]
	s_branch .LBB138_1
.LBB138_4:
	s_add_nc_u64 s[0:1], s[6:7], s[4:5]
	global_store_b64 v0, v[2:3], s[0:1] scale_offset
	s_endpgm
	.section	.rodata,"a",@progbits
	.p2align	6, 0x0
	.amdhsa_kernel _Z6kernelI26subtract_left_partial_tileLj256ELj1ELb0EJPxPiS1_jEEvDpT3_
		.amdhsa_group_segment_fixed_size 4096
		.amdhsa_private_segment_fixed_size 0
		.amdhsa_kernarg_size 28
		.amdhsa_user_sgpr_count 2
		.amdhsa_user_sgpr_dispatch_ptr 0
		.amdhsa_user_sgpr_queue_ptr 0
		.amdhsa_user_sgpr_kernarg_segment_ptr 1
		.amdhsa_user_sgpr_dispatch_id 0
		.amdhsa_user_sgpr_kernarg_preload_length 0
		.amdhsa_user_sgpr_kernarg_preload_offset 0
		.amdhsa_user_sgpr_private_segment_size 0
		.amdhsa_wavefront_size32 1
		.amdhsa_uses_dynamic_stack 0
		.amdhsa_enable_private_segment 0
		.amdhsa_system_sgpr_workgroup_id_x 1
		.amdhsa_system_sgpr_workgroup_id_y 0
		.amdhsa_system_sgpr_workgroup_id_z 0
		.amdhsa_system_sgpr_workgroup_info 0
		.amdhsa_system_vgpr_workitem_id 0
		.amdhsa_next_free_vgpr 7
		.amdhsa_next_free_sgpr 13
		.amdhsa_named_barrier_count 0
		.amdhsa_reserve_vcc 1
		.amdhsa_float_round_mode_32 0
		.amdhsa_float_round_mode_16_64 0
		.amdhsa_float_denorm_mode_32 3
		.amdhsa_float_denorm_mode_16_64 3
		.amdhsa_fp16_overflow 0
		.amdhsa_memory_ordered 1
		.amdhsa_forward_progress 1
		.amdhsa_inst_pref_size 3
		.amdhsa_round_robin_scheduling 0
		.amdhsa_exception_fp_ieee_invalid_op 0
		.amdhsa_exception_fp_denorm_src 0
		.amdhsa_exception_fp_ieee_div_zero 0
		.amdhsa_exception_fp_ieee_overflow 0
		.amdhsa_exception_fp_ieee_underflow 0
		.amdhsa_exception_fp_ieee_inexact 0
		.amdhsa_exception_int_div_zero 0
	.end_amdhsa_kernel
	.section	.text._Z6kernelI26subtract_left_partial_tileLj256ELj1ELb0EJPxPiS1_jEEvDpT3_,"axG",@progbits,_Z6kernelI26subtract_left_partial_tileLj256ELj1ELb0EJPxPiS1_jEEvDpT3_,comdat
.Lfunc_end138:
	.size	_Z6kernelI26subtract_left_partial_tileLj256ELj1ELb0EJPxPiS1_jEEvDpT3_, .Lfunc_end138-_Z6kernelI26subtract_left_partial_tileLj256ELj1ELb0EJPxPiS1_jEEvDpT3_
                                        ; -- End function
	.set _Z6kernelI26subtract_left_partial_tileLj256ELj1ELb0EJPxPiS1_jEEvDpT3_.num_vgpr, 7
	.set _Z6kernelI26subtract_left_partial_tileLj256ELj1ELb0EJPxPiS1_jEEvDpT3_.num_agpr, 0
	.set _Z6kernelI26subtract_left_partial_tileLj256ELj1ELb0EJPxPiS1_jEEvDpT3_.numbered_sgpr, 13
	.set _Z6kernelI26subtract_left_partial_tileLj256ELj1ELb0EJPxPiS1_jEEvDpT3_.num_named_barrier, 0
	.set _Z6kernelI26subtract_left_partial_tileLj256ELj1ELb0EJPxPiS1_jEEvDpT3_.private_seg_size, 0
	.set _Z6kernelI26subtract_left_partial_tileLj256ELj1ELb0EJPxPiS1_jEEvDpT3_.uses_vcc, 1
	.set _Z6kernelI26subtract_left_partial_tileLj256ELj1ELb0EJPxPiS1_jEEvDpT3_.uses_flat_scratch, 0
	.set _Z6kernelI26subtract_left_partial_tileLj256ELj1ELb0EJPxPiS1_jEEvDpT3_.has_dyn_sized_stack, 0
	.set _Z6kernelI26subtract_left_partial_tileLj256ELj1ELb0EJPxPiS1_jEEvDpT3_.has_recursion, 0
	.set _Z6kernelI26subtract_left_partial_tileLj256ELj1ELb0EJPxPiS1_jEEvDpT3_.has_indirect_call, 0
	.section	.AMDGPU.csdata,"",@progbits
; Kernel info:
; codeLenInByte = 384
; TotalNumSgprs: 15
; NumVgprs: 7
; ScratchSize: 0
; MemoryBound: 0
; FloatMode: 240
; IeeeMode: 1
; LDSByteSize: 4096 bytes/workgroup (compile time only)
; SGPRBlocks: 0
; VGPRBlocks: 0
; NumSGPRsForWavesPerEU: 15
; NumVGPRsForWavesPerEU: 7
; NamedBarCnt: 0
; Occupancy: 16
; WaveLimiterHint : 0
; COMPUTE_PGM_RSRC2:SCRATCH_EN: 0
; COMPUTE_PGM_RSRC2:USER_SGPR: 2
; COMPUTE_PGM_RSRC2:TRAP_HANDLER: 0
; COMPUTE_PGM_RSRC2:TGID_X_EN: 1
; COMPUTE_PGM_RSRC2:TGID_Y_EN: 0
; COMPUTE_PGM_RSRC2:TGID_Z_EN: 0
; COMPUTE_PGM_RSRC2:TIDIG_COMP_CNT: 0
	.section	.text._Z6kernelI26subtract_left_partial_tileLj256ELj3ELb0EJPxPiS1_jEEvDpT3_,"axG",@progbits,_Z6kernelI26subtract_left_partial_tileLj256ELj3ELb0EJPxPiS1_jEEvDpT3_,comdat
	.protected	_Z6kernelI26subtract_left_partial_tileLj256ELj3ELb0EJPxPiS1_jEEvDpT3_ ; -- Begin function _Z6kernelI26subtract_left_partial_tileLj256ELj3ELb0EJPxPiS1_jEEvDpT3_
	.globl	_Z6kernelI26subtract_left_partial_tileLj256ELj3ELb0EJPxPiS1_jEEvDpT3_
	.p2align	8
	.type	_Z6kernelI26subtract_left_partial_tileLj256ELj3ELb0EJPxPiS1_jEEvDpT3_,@function
_Z6kernelI26subtract_left_partial_tileLj256ELj3ELb0EJPxPiS1_jEEvDpT3_: ; @_Z6kernelI26subtract_left_partial_tileLj256ELj3ELb0EJPxPiS1_jEEvDpT3_
; %bb.0:
	s_load_b128 s[8:11], s[0:1], 0x0
	s_bfe_u32 s2, ttmp6, 0x4000c
	s_and_b32 s3, ttmp6, 15
	s_add_co_i32 s2, s2, 1
	s_getreg_b32 s4, hwreg(HW_REG_IB_STS2, 6, 4)
	s_mul_i32 s2, ttmp9, s2
	v_mul_u32_u24_e32 v10, 3, v0
	s_add_co_i32 s3, s3, s2
	s_cmp_eq_u32 s4, 0
	v_mad_u32_u24 v11, v0, 3, 2
	s_cselect_b32 s12, ttmp9, s3
	s_mov_b32 s3, 0
	s_mul_i32 s2, s12, 0x300
	v_mad_u32_u24 v12, v0, 3, 1
	s_lshl_b64 s[4:5], s[2:3], 3
	s_wait_xcnt 0x0
	s_load_b96 s[0:2], s[0:1], 0x10
	v_cmp_ne_u32_e32 vcc_lo, 0, v0
	s_wait_kmcnt 0x0
	s_add_nc_u64 s[6:7], s[8:9], s[4:5]
	s_clause 0x2
	global_load_b64 v[2:3], v0, s[6:7] scale_offset
	global_load_b64 v[4:5], v0, s[6:7] offset:2048 scale_offset
	global_load_b64 v[6:7], v0, s[6:7] offset:4096 scale_offset
	s_cvt_f32_u32 s3, s2
	s_wait_xcnt 0x0
	s_sub_co_i32 s6, 0, s2
	s_delay_alu instid0(SALU_CYCLE_1) | instskip(SKIP_1) | instid1(TRANS32_DEP_1)
	v_rcp_iflag_f32_e32 v1, s3
	v_nop
	v_readfirstlane_b32 s3, v1
	v_lshlrev_b32_e32 v1, 3, v0
	s_mul_f32 s3, s3, 0x4f7ffffe
	s_delay_alu instid0(VALU_DEP_1) | instskip(NEXT) | instid1(SALU_CYCLE_2)
	v_add_nc_u32_e32 v13, -8, v1
	s_cvt_u32_f32 s3, s3
	s_delay_alu instid0(SALU_CYCLE_3) | instskip(NEXT) | instid1(SALU_CYCLE_1)
	s_mul_i32 s6, s6, s3
	s_mul_hi_u32 s6, s3, s6
	s_delay_alu instid0(SALU_CYCLE_1) | instskip(NEXT) | instid1(SALU_CYCLE_1)
	s_add_co_i32 s3, s3, s6
	s_mul_hi_u32 s7, s3, 0x300
	s_load_b32 s3, s[10:11], s12 offset:0x0 scale_offset
	s_mul_i32 s6, s7, s2
	s_add_co_i32 s9, s7, 1
	s_sub_co_i32 s8, 0x300, s6
	s_mov_b32 s6, s0
	s_wait_xcnt 0x0
	s_sub_co_i32 s10, s8, s2
	s_cmp_ge_u32 s8, s2
	s_cselect_b32 s0, s9, s7
	s_cselect_b32 s7, s10, s8
	s_add_co_i32 s8, s0, 1
	s_cmp_ge_u32 s7, s2
	s_mov_b32 s7, s1
	s_cselect_b32 s8, s8, s0
	s_delay_alu instid0(SALU_CYCLE_1)
	s_add_co_i32 s8, s8, 1
	s_branch .LBB139_2
.LBB139_1:                              ;   in Loop: Header=BB139_2 Depth=1
	s_or_b32 exec_lo, exec_lo, s0
	v_cmp_gt_u32_e64 s0, s3, v12
	v_cmp_gt_u32_e64 s1, s3, v11
	s_add_co_i32 s2, s2, -1
	s_barrier_signal -1
	v_dual_cndmask_b32 v17, 0, v3, s0 :: v_dual_cndmask_b32 v15, 0, v5, s1
	v_dual_cndmask_b32 v16, 0, v2, s0 :: v_dual_cndmask_b32 v14, 0, v4, s1
	s_add_co_i32 s0, s8, s3
	v_add_nc_u64_e32 v[2:3], v[8:9], v[2:3]
	s_mul_hi_u32 s1, s0, 0xaaaaaaab
	s_delay_alu instid0(VALU_DEP_2) | instskip(SKIP_4) | instid1(SALU_CYCLE_1)
	v_sub_nc_u64_e32 v[16:17], v[4:5], v[16:17]
	v_sub_nc_u64_e32 v[14:15], v[6:7], v[14:15]
	s_lshr_b32 s1, s1, 9
	s_barrier_wait -1
	s_mulk_i32 s1, 0x300
	s_sub_co_i32 s3, s0, s1
	s_delay_alu instid0(VALU_DEP_2) | instskip(NEXT) | instid1(VALU_DEP_2)
	v_add_nc_u64_e32 v[4:5], v[16:17], v[4:5]
	v_add_nc_u64_e32 v[6:7], v[14:15], v[6:7]
	s_cmp_lg_u32 s2, 0
	s_cbranch_scc0 .LBB139_4
.LBB139_2:                              ; =>This Inner Loop Header: Depth=1
	s_wait_kmcnt 0x0
	v_cmp_gt_u32_e64 s0, s3, v10
	s_wait_loadcnt 0x2
	v_mov_b64_e32 v[8:9], v[2:3]
	s_wait_loadcnt 0x0
	ds_store_b64 v1, v[6:7]
	s_wait_dscnt 0x0
	s_barrier_signal -1
	s_and_b32 s1, vcc_lo, s0
	s_barrier_wait -1
	s_and_saveexec_b32 s0, s1
	s_cbranch_execz .LBB139_1
; %bb.3:                                ;   in Loop: Header=BB139_2 Depth=1
	ds_load_b64 v[8:9], v13
	s_wait_dscnt 0x0
	v_sub_nc_u64_e32 v[8:9], v[2:3], v[8:9]
	s_branch .LBB139_1
.LBB139_4:
	s_add_nc_u64 s[0:1], s[6:7], s[4:5]
	s_clause 0x2
	global_store_b64 v0, v[2:3], s[0:1] scale_offset
	global_store_b64 v0, v[4:5], s[0:1] offset:2048 scale_offset
	global_store_b64 v0, v[6:7], s[0:1] offset:4096 scale_offset
	s_endpgm
	.section	.rodata,"a",@progbits
	.p2align	6, 0x0
	.amdhsa_kernel _Z6kernelI26subtract_left_partial_tileLj256ELj3ELb0EJPxPiS1_jEEvDpT3_
		.amdhsa_group_segment_fixed_size 4096
		.amdhsa_private_segment_fixed_size 0
		.amdhsa_kernarg_size 28
		.amdhsa_user_sgpr_count 2
		.amdhsa_user_sgpr_dispatch_ptr 0
		.amdhsa_user_sgpr_queue_ptr 0
		.amdhsa_user_sgpr_kernarg_segment_ptr 1
		.amdhsa_user_sgpr_dispatch_id 0
		.amdhsa_user_sgpr_kernarg_preload_length 0
		.amdhsa_user_sgpr_kernarg_preload_offset 0
		.amdhsa_user_sgpr_private_segment_size 0
		.amdhsa_wavefront_size32 1
		.amdhsa_uses_dynamic_stack 0
		.amdhsa_enable_private_segment 0
		.amdhsa_system_sgpr_workgroup_id_x 1
		.amdhsa_system_sgpr_workgroup_id_y 0
		.amdhsa_system_sgpr_workgroup_id_z 0
		.amdhsa_system_sgpr_workgroup_info 0
		.amdhsa_system_vgpr_workitem_id 0
		.amdhsa_next_free_vgpr 18
		.amdhsa_next_free_sgpr 13
		.amdhsa_named_barrier_count 0
		.amdhsa_reserve_vcc 1
		.amdhsa_float_round_mode_32 0
		.amdhsa_float_round_mode_16_64 0
		.amdhsa_float_denorm_mode_32 3
		.amdhsa_float_denorm_mode_16_64 3
		.amdhsa_fp16_overflow 0
		.amdhsa_memory_ordered 1
		.amdhsa_forward_progress 1
		.amdhsa_inst_pref_size 5
		.amdhsa_round_robin_scheduling 0
		.amdhsa_exception_fp_ieee_invalid_op 0
		.amdhsa_exception_fp_denorm_src 0
		.amdhsa_exception_fp_ieee_div_zero 0
		.amdhsa_exception_fp_ieee_overflow 0
		.amdhsa_exception_fp_ieee_underflow 0
		.amdhsa_exception_fp_ieee_inexact 0
		.amdhsa_exception_int_div_zero 0
	.end_amdhsa_kernel
	.section	.text._Z6kernelI26subtract_left_partial_tileLj256ELj3ELb0EJPxPiS1_jEEvDpT3_,"axG",@progbits,_Z6kernelI26subtract_left_partial_tileLj256ELj3ELb0EJPxPiS1_jEEvDpT3_,comdat
.Lfunc_end139:
	.size	_Z6kernelI26subtract_left_partial_tileLj256ELj3ELb0EJPxPiS1_jEEvDpT3_, .Lfunc_end139-_Z6kernelI26subtract_left_partial_tileLj256ELj3ELb0EJPxPiS1_jEEvDpT3_
                                        ; -- End function
	.set _Z6kernelI26subtract_left_partial_tileLj256ELj3ELb0EJPxPiS1_jEEvDpT3_.num_vgpr, 18
	.set _Z6kernelI26subtract_left_partial_tileLj256ELj3ELb0EJPxPiS1_jEEvDpT3_.num_agpr, 0
	.set _Z6kernelI26subtract_left_partial_tileLj256ELj3ELb0EJPxPiS1_jEEvDpT3_.numbered_sgpr, 13
	.set _Z6kernelI26subtract_left_partial_tileLj256ELj3ELb0EJPxPiS1_jEEvDpT3_.num_named_barrier, 0
	.set _Z6kernelI26subtract_left_partial_tileLj256ELj3ELb0EJPxPiS1_jEEvDpT3_.private_seg_size, 0
	.set _Z6kernelI26subtract_left_partial_tileLj256ELj3ELb0EJPxPiS1_jEEvDpT3_.uses_vcc, 1
	.set _Z6kernelI26subtract_left_partial_tileLj256ELj3ELb0EJPxPiS1_jEEvDpT3_.uses_flat_scratch, 0
	.set _Z6kernelI26subtract_left_partial_tileLj256ELj3ELb0EJPxPiS1_jEEvDpT3_.has_dyn_sized_stack, 0
	.set _Z6kernelI26subtract_left_partial_tileLj256ELj3ELb0EJPxPiS1_jEEvDpT3_.has_recursion, 0
	.set _Z6kernelI26subtract_left_partial_tileLj256ELj3ELb0EJPxPiS1_jEEvDpT3_.has_indirect_call, 0
	.section	.AMDGPU.csdata,"",@progbits
; Kernel info:
; codeLenInByte = 540
; TotalNumSgprs: 15
; NumVgprs: 18
; ScratchSize: 0
; MemoryBound: 0
; FloatMode: 240
; IeeeMode: 1
; LDSByteSize: 4096 bytes/workgroup (compile time only)
; SGPRBlocks: 0
; VGPRBlocks: 1
; NumSGPRsForWavesPerEU: 15
; NumVGPRsForWavesPerEU: 18
; NamedBarCnt: 0
; Occupancy: 16
; WaveLimiterHint : 1
; COMPUTE_PGM_RSRC2:SCRATCH_EN: 0
; COMPUTE_PGM_RSRC2:USER_SGPR: 2
; COMPUTE_PGM_RSRC2:TRAP_HANDLER: 0
; COMPUTE_PGM_RSRC2:TGID_X_EN: 1
; COMPUTE_PGM_RSRC2:TGID_Y_EN: 0
; COMPUTE_PGM_RSRC2:TGID_Z_EN: 0
; COMPUTE_PGM_RSRC2:TIDIG_COMP_CNT: 0
	.section	.text._Z6kernelI26subtract_left_partial_tileLj256ELj4ELb0EJPxPiS1_jEEvDpT3_,"axG",@progbits,_Z6kernelI26subtract_left_partial_tileLj256ELj4ELb0EJPxPiS1_jEEvDpT3_,comdat
	.protected	_Z6kernelI26subtract_left_partial_tileLj256ELj4ELb0EJPxPiS1_jEEvDpT3_ ; -- Begin function _Z6kernelI26subtract_left_partial_tileLj256ELj4ELb0EJPxPiS1_jEEvDpT3_
	.globl	_Z6kernelI26subtract_left_partial_tileLj256ELj4ELb0EJPxPiS1_jEEvDpT3_
	.p2align	8
	.type	_Z6kernelI26subtract_left_partial_tileLj256ELj4ELb0EJPxPiS1_jEEvDpT3_,@function
_Z6kernelI26subtract_left_partial_tileLj256ELj4ELb0EJPxPiS1_jEEvDpT3_: ; @_Z6kernelI26subtract_left_partial_tileLj256ELj4ELb0EJPxPiS1_jEEvDpT3_
; %bb.0:
	s_load_b128 s[12:15], s[0:1], 0x0
	s_bfe_u32 s2, ttmp6, 0x4000c
	s_and_b32 s3, ttmp6, 15
	s_add_co_i32 s2, s2, 1
	s_getreg_b32 s4, hwreg(HW_REG_IB_STS2, 6, 4)
	s_mul_i32 s2, ttmp9, s2
	v_cmp_ne_u32_e32 vcc_lo, 0, v0
	s_add_co_i32 s3, s3, s2
	s_cmp_eq_u32 s4, 0
	s_load_b96 s[4:6], s[0:1], 0x10
	s_cselect_b32 s7, ttmp9, s3
	s_mov_b32 s3, 0
	s_lshl_b32 s2, s7, 10
	v_lshlrev_b32_e32 v12, 3, v0
	s_lshl_b64 s[8:9], s[2:3], 3
	s_delay_alu instid0(VALU_DEP_1)
	v_add_nc_u32_e32 v16, -8, v12
	s_wait_kmcnt 0x0
	s_add_nc_u64 s[0:1], s[12:13], s[8:9]
	s_clause 0x3
	global_load_b64 v[2:3], v0, s[0:1] scale_offset
	global_load_b64 v[4:5], v0, s[0:1] offset:2048 scale_offset
	global_load_b64 v[6:7], v0, s[0:1] offset:4096 scale_offset
	;; [unrolled: 1-line block ×3, first 2 shown]
	s_load_b32 s3, s[14:15], s7 offset:0x0 scale_offset
	s_cvt_f32_u32 s0, s6
	s_sub_co_i32 s1, 0, s6
	s_delay_alu instid0(SALU_CYCLE_2) | instskip(SKIP_1) | instid1(TRANS32_DEP_1)
	v_rcp_iflag_f32_e32 v1, s0
	v_nop
	v_readfirstlane_b32 s0, v1
	v_lshlrev_b32_e32 v1, 2, v0
	s_mul_f32 s0, s0, 0x4f7ffffe
	s_delay_alu instid0(VALU_DEP_1) | instskip(SKIP_3) | instid1(SALU_CYCLE_3)
	v_or_b32_e32 v13, 3, v1
	v_or_b32_e32 v14, 2, v1
	;; [unrolled: 1-line block ×3, first 2 shown]
	s_cvt_u32_f32 s0, s0
	s_mul_i32 s1, s1, s0
	s_delay_alu instid0(SALU_CYCLE_1) | instskip(NEXT) | instid1(SALU_CYCLE_1)
	s_mul_hi_u32 s1, s0, s1
	s_add_co_i32 s0, s0, s1
	s_delay_alu instid0(SALU_CYCLE_1) | instskip(NEXT) | instid1(SALU_CYCLE_1)
	s_lshr_b32 s0, s0, 22
	s_mul_i32 s1, s0, s6
	s_add_co_i32 s2, s0, 1
	s_sub_co_i32 s1, 0x400, s1
	s_wait_xcnt 0x0
	s_sub_co_i32 s7, s1, s6
	s_cmp_ge_u32 s1, s6
	s_cselect_b32 s0, s2, s0
	s_cselect_b32 s1, s7, s1
	s_add_co_i32 s2, s0, 1
	s_cmp_ge_u32 s1, s6
	s_cselect_b32 s7, s2, s0
	s_delay_alu instid0(SALU_CYCLE_1)
	s_add_co_i32 s7, s7, 1
	s_branch .LBB140_2
.LBB140_1:                              ;   in Loop: Header=BB140_2 Depth=1
	s_or_b32 exec_lo, exec_lo, s0
	v_cmp_gt_u32_e64 s0, s3, v14
	v_cmp_gt_u32_e64 s1, s3, v15
	;; [unrolled: 1-line block ×3, first 2 shown]
	s_add_co_i32 s6, s6, -1
	v_dual_cndmask_b32 v21, 0, v5, s0 :: v_dual_cndmask_b32 v23, 0, v3, s1
	v_dual_cndmask_b32 v22, 0, v2, s1 :: v_dual_cndmask_b32 v19, 0, v7, s2
	;; [unrolled: 1-line block ×3, first 2 shown]
	v_add_nc_u64_e32 v[2:3], v[10:11], v[2:3]
	s_delay_alu instid0(VALU_DEP_3) | instskip(SKIP_1) | instid1(VALU_DEP_3)
	v_sub_nc_u64_e32 v[22:23], v[4:5], v[22:23]
	s_add_co_i32 s0, s7, s3
	v_sub_nc_u64_e32 v[20:21], v[6:7], v[20:21]
	v_sub_nc_u64_e32 v[18:19], v[8:9], v[18:19]
	s_and_b32 s3, s0, 0x3ff
	s_cmp_lg_u32 s6, 0
	s_barrier_signal -1
	v_add_nc_u64_e32 v[4:5], v[22:23], v[4:5]
	s_barrier_wait -1
	v_add_nc_u64_e32 v[6:7], v[20:21], v[6:7]
	v_add_nc_u64_e32 v[8:9], v[18:19], v[8:9]
	s_cbranch_scc0 .LBB140_4
.LBB140_2:                              ; =>This Inner Loop Header: Depth=1
	s_wait_kmcnt 0x0
	v_cmp_gt_u32_e64 s0, s3, v1
	s_wait_loadcnt 0x3
	v_mov_b64_e32 v[10:11], v[2:3]
	s_wait_loadcnt 0x0
	ds_store_b64 v12, v[8:9]
	s_wait_dscnt 0x0
	s_barrier_signal -1
	s_and_b32 s1, vcc_lo, s0
	s_barrier_wait -1
	s_and_saveexec_b32 s0, s1
	s_cbranch_execz .LBB140_1
; %bb.3:                                ;   in Loop: Header=BB140_2 Depth=1
	ds_load_b64 v[10:11], v16
	s_wait_dscnt 0x0
	v_sub_nc_u64_e32 v[10:11], v[2:3], v[10:11]
	s_branch .LBB140_1
.LBB140_4:
	s_add_nc_u64 s[0:1], s[4:5], s[8:9]
	s_clause 0x3
	global_store_b64 v0, v[2:3], s[0:1] scale_offset
	global_store_b64 v0, v[4:5], s[0:1] offset:2048 scale_offset
	global_store_b64 v0, v[6:7], s[0:1] offset:4096 scale_offset
	;; [unrolled: 1-line block ×3, first 2 shown]
	s_endpgm
	.section	.rodata,"a",@progbits
	.p2align	6, 0x0
	.amdhsa_kernel _Z6kernelI26subtract_left_partial_tileLj256ELj4ELb0EJPxPiS1_jEEvDpT3_
		.amdhsa_group_segment_fixed_size 4096
		.amdhsa_private_segment_fixed_size 0
		.amdhsa_kernarg_size 28
		.amdhsa_user_sgpr_count 2
		.amdhsa_user_sgpr_dispatch_ptr 0
		.amdhsa_user_sgpr_queue_ptr 0
		.amdhsa_user_sgpr_kernarg_segment_ptr 1
		.amdhsa_user_sgpr_dispatch_id 0
		.amdhsa_user_sgpr_kernarg_preload_length 0
		.amdhsa_user_sgpr_kernarg_preload_offset 0
		.amdhsa_user_sgpr_private_segment_size 0
		.amdhsa_wavefront_size32 1
		.amdhsa_uses_dynamic_stack 0
		.amdhsa_enable_private_segment 0
		.amdhsa_system_sgpr_workgroup_id_x 1
		.amdhsa_system_sgpr_workgroup_id_y 0
		.amdhsa_system_sgpr_workgroup_id_z 0
		.amdhsa_system_sgpr_workgroup_info 0
		.amdhsa_system_vgpr_workitem_id 0
		.amdhsa_next_free_vgpr 24
		.amdhsa_next_free_sgpr 16
		.amdhsa_named_barrier_count 0
		.amdhsa_reserve_vcc 1
		.amdhsa_float_round_mode_32 0
		.amdhsa_float_round_mode_16_64 0
		.amdhsa_float_denorm_mode_32 3
		.amdhsa_float_denorm_mode_16_64 3
		.amdhsa_fp16_overflow 0
		.amdhsa_memory_ordered 1
		.amdhsa_forward_progress 1
		.amdhsa_inst_pref_size 5
		.amdhsa_round_robin_scheduling 0
		.amdhsa_exception_fp_ieee_invalid_op 0
		.amdhsa_exception_fp_denorm_src 0
		.amdhsa_exception_fp_ieee_div_zero 0
		.amdhsa_exception_fp_ieee_overflow 0
		.amdhsa_exception_fp_ieee_underflow 0
		.amdhsa_exception_fp_ieee_inexact 0
		.amdhsa_exception_int_div_zero 0
	.end_amdhsa_kernel
	.section	.text._Z6kernelI26subtract_left_partial_tileLj256ELj4ELb0EJPxPiS1_jEEvDpT3_,"axG",@progbits,_Z6kernelI26subtract_left_partial_tileLj256ELj4ELb0EJPxPiS1_jEEvDpT3_,comdat
.Lfunc_end140:
	.size	_Z6kernelI26subtract_left_partial_tileLj256ELj4ELb0EJPxPiS1_jEEvDpT3_, .Lfunc_end140-_Z6kernelI26subtract_left_partial_tileLj256ELj4ELb0EJPxPiS1_jEEvDpT3_
                                        ; -- End function
	.set _Z6kernelI26subtract_left_partial_tileLj256ELj4ELb0EJPxPiS1_jEEvDpT3_.num_vgpr, 24
	.set _Z6kernelI26subtract_left_partial_tileLj256ELj4ELb0EJPxPiS1_jEEvDpT3_.num_agpr, 0
	.set _Z6kernelI26subtract_left_partial_tileLj256ELj4ELb0EJPxPiS1_jEEvDpT3_.numbered_sgpr, 16
	.set _Z6kernelI26subtract_left_partial_tileLj256ELj4ELb0EJPxPiS1_jEEvDpT3_.num_named_barrier, 0
	.set _Z6kernelI26subtract_left_partial_tileLj256ELj4ELb0EJPxPiS1_jEEvDpT3_.private_seg_size, 0
	.set _Z6kernelI26subtract_left_partial_tileLj256ELj4ELb0EJPxPiS1_jEEvDpT3_.uses_vcc, 1
	.set _Z6kernelI26subtract_left_partial_tileLj256ELj4ELb0EJPxPiS1_jEEvDpT3_.uses_flat_scratch, 0
	.set _Z6kernelI26subtract_left_partial_tileLj256ELj4ELb0EJPxPiS1_jEEvDpT3_.has_dyn_sized_stack, 0
	.set _Z6kernelI26subtract_left_partial_tileLj256ELj4ELb0EJPxPiS1_jEEvDpT3_.has_recursion, 0
	.set _Z6kernelI26subtract_left_partial_tileLj256ELj4ELb0EJPxPiS1_jEEvDpT3_.has_indirect_call, 0
	.section	.AMDGPU.csdata,"",@progbits
; Kernel info:
; codeLenInByte = 552
; TotalNumSgprs: 18
; NumVgprs: 24
; ScratchSize: 0
; MemoryBound: 0
; FloatMode: 240
; IeeeMode: 1
; LDSByteSize: 4096 bytes/workgroup (compile time only)
; SGPRBlocks: 0
; VGPRBlocks: 1
; NumSGPRsForWavesPerEU: 18
; NumVGPRsForWavesPerEU: 24
; NamedBarCnt: 0
; Occupancy: 16
; WaveLimiterHint : 1
; COMPUTE_PGM_RSRC2:SCRATCH_EN: 0
; COMPUTE_PGM_RSRC2:USER_SGPR: 2
; COMPUTE_PGM_RSRC2:TRAP_HANDLER: 0
; COMPUTE_PGM_RSRC2:TGID_X_EN: 1
; COMPUTE_PGM_RSRC2:TGID_Y_EN: 0
; COMPUTE_PGM_RSRC2:TGID_Z_EN: 0
; COMPUTE_PGM_RSRC2:TIDIG_COMP_CNT: 0
	.section	.text._Z6kernelI26subtract_left_partial_tileLj256ELj8ELb0EJPxPiS1_jEEvDpT3_,"axG",@progbits,_Z6kernelI26subtract_left_partial_tileLj256ELj8ELb0EJPxPiS1_jEEvDpT3_,comdat
	.protected	_Z6kernelI26subtract_left_partial_tileLj256ELj8ELb0EJPxPiS1_jEEvDpT3_ ; -- Begin function _Z6kernelI26subtract_left_partial_tileLj256ELj8ELb0EJPxPiS1_jEEvDpT3_
	.globl	_Z6kernelI26subtract_left_partial_tileLj256ELj8ELb0EJPxPiS1_jEEvDpT3_
	.p2align	8
	.type	_Z6kernelI26subtract_left_partial_tileLj256ELj8ELb0EJPxPiS1_jEEvDpT3_,@function
_Z6kernelI26subtract_left_partial_tileLj256ELj8ELb0EJPxPiS1_jEEvDpT3_: ; @_Z6kernelI26subtract_left_partial_tileLj256ELj8ELb0EJPxPiS1_jEEvDpT3_
; %bb.0:
	s_load_b128 s[4:7], s[0:1], 0x0
	s_bfe_u32 s2, ttmp6, 0x4000c
	s_and_b32 s3, ttmp6, 15
	s_add_co_i32 s2, s2, 1
	s_getreg_b32 s8, hwreg(HW_REG_IB_STS2, 6, 4)
	s_mul_i32 s2, ttmp9, s2
	v_cmp_ne_u32_e32 vcc_lo, 0, v0
	s_add_co_i32 s3, s3, s2
	s_cmp_eq_u32 s8, 0
	s_load_b96 s[8:10], s[0:1], 0x10
	s_cselect_b32 s11, ttmp9, s3
	s_mov_b32 s3, 0
	s_lshl_b32 s2, s11, 11
	s_delay_alu instid0(SALU_CYCLE_1)
	s_lshl_b64 s[12:13], s[2:3], 3
	s_wait_kmcnt 0x0
	s_add_nc_u64 s[0:1], s[4:5], s[12:13]
	s_clause 0x7
	global_load_b64 v[16:17], v0, s[0:1] scale_offset
	global_load_b64 v[14:15], v0, s[0:1] offset:2048 scale_offset
	global_load_b64 v[12:13], v0, s[0:1] offset:4096 scale_offset
	;; [unrolled: 1-line block ×7, first 2 shown]
	s_load_b32 s5, s[6:7], s11 offset:0x0 scale_offset
	s_cvt_f32_u32 s0, s10
	s_sub_co_i32 s1, 0, s10
	s_delay_alu instid0(SALU_CYCLE_2) | instskip(SKIP_1) | instid1(TRANS32_DEP_1)
	v_rcp_iflag_f32_e32 v1, s0
	v_nop
	v_readfirstlane_b32 s0, v1
	v_lshlrev_b32_e32 v1, 3, v0
	s_mul_f32 s0, s0, 0x4f7ffffe
	s_delay_alu instid0(VALU_DEP_1) | instskip(SKIP_1) | instid1(SALU_CYCLE_1)
	v_dual_add_nc_u32 v27, -8, v1 :: v_dual_bitop2_b32 v20, 7, v1 bitop3:0x54
	v_or_b32_e32 v21, 6, v1
	s_cvt_u32_f32 s0, s0
	v_or_b32_e32 v22, 5, v1
	v_or_b32_e32 v23, 4, v1
	;; [unrolled: 1-line block ×3, first 2 shown]
	s_mul_i32 s1, s1, s0
	v_or_b32_e32 v25, 2, v1
	s_mul_hi_u32 s1, s0, s1
	v_or_b32_e32 v26, 1, v1
	s_add_co_i32 s0, s0, s1
	s_delay_alu instid0(SALU_CYCLE_1) | instskip(NEXT) | instid1(SALU_CYCLE_1)
	s_lshr_b32 s0, s0, 21
	s_mul_i32 s1, s0, s10
	s_add_co_i32 s2, s0, 1
	s_sub_co_i32 s1, 0x800, s1
	s_delay_alu instid0(SALU_CYCLE_1)
	s_sub_co_i32 s3, s1, s10
	s_cmp_ge_u32 s1, s10
	s_cselect_b32 s0, s2, s0
	s_cselect_b32 s1, s3, s1
	s_add_co_i32 s2, s0, 1
	s_cmp_ge_u32 s1, s10
	s_wait_xcnt 0x0
	s_cselect_b32 s6, s2, s0
	s_delay_alu instid0(SALU_CYCLE_1)
	s_add_co_i32 s6, s6, 1
	s_branch .LBB141_2
.LBB141_1:                              ;   in Loop: Header=BB141_2 Depth=1
	s_or_b32 exec_lo, exec_lo, s0
	v_cmp_gt_u32_e64 s0, s5, v20
	v_cmp_gt_u32_e64 s1, s5, v21
	;; [unrolled: 1-line block ×5, first 2 shown]
	s_delay_alu instid0(VALU_DEP_4)
	v_dual_cndmask_b32 v29, 0, v5, s0 :: v_dual_cndmask_b32 v31, 0, v7, s1
	v_cndmask_b32_e64 v28, 0, v4, s0
	v_cmp_gt_u32_e64 s0, s5, v22
	v_dual_cndmask_b32 v35, 0, v11, s2 :: v_dual_cndmask_b32 v30, 0, v6, s1
	v_cmp_gt_u32_e64 s1, s5, v25
	v_cndmask_b32_e64 v37, 0, v13, s4
	s_delay_alu instid0(VALU_DEP_4) | instskip(SKIP_1) | instid1(VALU_DEP_4)
	v_cndmask_b32_e64 v33, 0, v9, s0
	v_dual_cndmask_b32 v41, 0, v17, s3 :: v_dual_cndmask_b32 v40, 0, v16, s3
	v_dual_cndmask_b32 v39, 0, v15, s1 :: v_dual_cndmask_b32 v38, 0, v14, s1
	;; [unrolled: 1-line block ×3, first 2 shown]
	v_cndmask_b32_e64 v32, 0, v8, s0
	v_sub_nc_u64_e32 v[28:29], v[2:3], v[28:29]
	v_sub_nc_u64_e32 v[40:41], v[14:15], v[40:41]
	;; [unrolled: 1-line block ×7, first 2 shown]
	v_add_nc_u64_e32 v[16:17], v[18:19], v[16:17]
	v_add_nc_u64_e32 v[14:15], v[40:41], v[14:15]
	;; [unrolled: 1-line block ×8, first 2 shown]
	s_add_co_i32 s0, s6, s5
	s_add_co_i32 s10, s10, -1
	s_and_b32 s5, s0, 0x7ff
	s_cmp_lg_u32 s10, 0
	s_barrier_signal -1
	s_barrier_wait -1
	s_cbranch_scc0 .LBB141_4
.LBB141_2:                              ; =>This Inner Loop Header: Depth=1
	s_wait_kmcnt 0x0
	v_cmp_gt_u32_e64 s0, s5, v1
	s_wait_loadcnt 0x7
	v_mov_b64_e32 v[18:19], v[16:17]
	s_wait_loadcnt 0x0
	ds_store_b64 v1, v[2:3]
	s_wait_dscnt 0x0
	s_barrier_signal -1
	s_and_b32 s1, vcc_lo, s0
	s_barrier_wait -1
	s_and_saveexec_b32 s0, s1
	s_cbranch_execz .LBB141_1
; %bb.3:                                ;   in Loop: Header=BB141_2 Depth=1
	ds_load_b64 v[18:19], v27
	s_wait_dscnt 0x0
	v_sub_nc_u64_e32 v[18:19], v[16:17], v[18:19]
	s_branch .LBB141_1
.LBB141_4:
	s_add_nc_u64 s[0:1], s[8:9], s[12:13]
	s_clause 0x7
	global_store_b64 v0, v[16:17], s[0:1] scale_offset
	global_store_b64 v0, v[14:15], s[0:1] offset:2048 scale_offset
	global_store_b64 v0, v[12:13], s[0:1] offset:4096 scale_offset
	;; [unrolled: 1-line block ×7, first 2 shown]
	s_endpgm
	.section	.rodata,"a",@progbits
	.p2align	6, 0x0
	.amdhsa_kernel _Z6kernelI26subtract_left_partial_tileLj256ELj8ELb0EJPxPiS1_jEEvDpT3_
		.amdhsa_group_segment_fixed_size 4096
		.amdhsa_private_segment_fixed_size 0
		.amdhsa_kernarg_size 28
		.amdhsa_user_sgpr_count 2
		.amdhsa_user_sgpr_dispatch_ptr 0
		.amdhsa_user_sgpr_queue_ptr 0
		.amdhsa_user_sgpr_kernarg_segment_ptr 1
		.amdhsa_user_sgpr_dispatch_id 0
		.amdhsa_user_sgpr_kernarg_preload_length 0
		.amdhsa_user_sgpr_kernarg_preload_offset 0
		.amdhsa_user_sgpr_private_segment_size 0
		.amdhsa_wavefront_size32 1
		.amdhsa_uses_dynamic_stack 0
		.amdhsa_enable_private_segment 0
		.amdhsa_system_sgpr_workgroup_id_x 1
		.amdhsa_system_sgpr_workgroup_id_y 0
		.amdhsa_system_sgpr_workgroup_id_z 0
		.amdhsa_system_sgpr_workgroup_info 0
		.amdhsa_system_vgpr_workitem_id 0
		.amdhsa_next_free_vgpr 42
		.amdhsa_next_free_sgpr 14
		.amdhsa_named_barrier_count 0
		.amdhsa_reserve_vcc 1
		.amdhsa_float_round_mode_32 0
		.amdhsa_float_round_mode_16_64 0
		.amdhsa_float_denorm_mode_32 3
		.amdhsa_float_denorm_mode_16_64 3
		.amdhsa_fp16_overflow 0
		.amdhsa_memory_ordered 1
		.amdhsa_forward_progress 1
		.amdhsa_inst_pref_size 7
		.amdhsa_round_robin_scheduling 0
		.amdhsa_exception_fp_ieee_invalid_op 0
		.amdhsa_exception_fp_denorm_src 0
		.amdhsa_exception_fp_ieee_div_zero 0
		.amdhsa_exception_fp_ieee_overflow 0
		.amdhsa_exception_fp_ieee_underflow 0
		.amdhsa_exception_fp_ieee_inexact 0
		.amdhsa_exception_int_div_zero 0
	.end_amdhsa_kernel
	.section	.text._Z6kernelI26subtract_left_partial_tileLj256ELj8ELb0EJPxPiS1_jEEvDpT3_,"axG",@progbits,_Z6kernelI26subtract_left_partial_tileLj256ELj8ELb0EJPxPiS1_jEEvDpT3_,comdat
.Lfunc_end141:
	.size	_Z6kernelI26subtract_left_partial_tileLj256ELj8ELb0EJPxPiS1_jEEvDpT3_, .Lfunc_end141-_Z6kernelI26subtract_left_partial_tileLj256ELj8ELb0EJPxPiS1_jEEvDpT3_
                                        ; -- End function
	.set _Z6kernelI26subtract_left_partial_tileLj256ELj8ELb0EJPxPiS1_jEEvDpT3_.num_vgpr, 42
	.set _Z6kernelI26subtract_left_partial_tileLj256ELj8ELb0EJPxPiS1_jEEvDpT3_.num_agpr, 0
	.set _Z6kernelI26subtract_left_partial_tileLj256ELj8ELb0EJPxPiS1_jEEvDpT3_.numbered_sgpr, 14
	.set _Z6kernelI26subtract_left_partial_tileLj256ELj8ELb0EJPxPiS1_jEEvDpT3_.num_named_barrier, 0
	.set _Z6kernelI26subtract_left_partial_tileLj256ELj8ELb0EJPxPiS1_jEEvDpT3_.private_seg_size, 0
	.set _Z6kernelI26subtract_left_partial_tileLj256ELj8ELb0EJPxPiS1_jEEvDpT3_.uses_vcc, 1
	.set _Z6kernelI26subtract_left_partial_tileLj256ELj8ELb0EJPxPiS1_jEEvDpT3_.uses_flat_scratch, 0
	.set _Z6kernelI26subtract_left_partial_tileLj256ELj8ELb0EJPxPiS1_jEEvDpT3_.has_dyn_sized_stack, 0
	.set _Z6kernelI26subtract_left_partial_tileLj256ELj8ELb0EJPxPiS1_jEEvDpT3_.has_recursion, 0
	.set _Z6kernelI26subtract_left_partial_tileLj256ELj8ELb0EJPxPiS1_jEEvDpT3_.has_indirect_call, 0
	.section	.AMDGPU.csdata,"",@progbits
; Kernel info:
; codeLenInByte = 788
; TotalNumSgprs: 16
; NumVgprs: 42
; ScratchSize: 0
; MemoryBound: 0
; FloatMode: 240
; IeeeMode: 1
; LDSByteSize: 4096 bytes/workgroup (compile time only)
; SGPRBlocks: 0
; VGPRBlocks: 2
; NumSGPRsForWavesPerEU: 16
; NumVGPRsForWavesPerEU: 42
; NamedBarCnt: 0
; Occupancy: 16
; WaveLimiterHint : 1
; COMPUTE_PGM_RSRC2:SCRATCH_EN: 0
; COMPUTE_PGM_RSRC2:USER_SGPR: 2
; COMPUTE_PGM_RSRC2:TRAP_HANDLER: 0
; COMPUTE_PGM_RSRC2:TGID_X_EN: 1
; COMPUTE_PGM_RSRC2:TGID_Y_EN: 0
; COMPUTE_PGM_RSRC2:TGID_Z_EN: 0
; COMPUTE_PGM_RSRC2:TIDIG_COMP_CNT: 0
	.section	.text._Z6kernelI26subtract_left_partial_tileLj256ELj16ELb0EJPxPiS1_jEEvDpT3_,"axG",@progbits,_Z6kernelI26subtract_left_partial_tileLj256ELj16ELb0EJPxPiS1_jEEvDpT3_,comdat
	.protected	_Z6kernelI26subtract_left_partial_tileLj256ELj16ELb0EJPxPiS1_jEEvDpT3_ ; -- Begin function _Z6kernelI26subtract_left_partial_tileLj256ELj16ELb0EJPxPiS1_jEEvDpT3_
	.globl	_Z6kernelI26subtract_left_partial_tileLj256ELj16ELb0EJPxPiS1_jEEvDpT3_
	.p2align	8
	.type	_Z6kernelI26subtract_left_partial_tileLj256ELj16ELb0EJPxPiS1_jEEvDpT3_,@function
_Z6kernelI26subtract_left_partial_tileLj256ELj16ELb0EJPxPiS1_jEEvDpT3_: ; @_Z6kernelI26subtract_left_partial_tileLj256ELj16ELb0EJPxPiS1_jEEvDpT3_
; %bb.0:
	s_load_b128 s[4:7], s[0:1], 0x0
	s_bfe_u32 s2, ttmp6, 0x4000c
	s_and_b32 s3, ttmp6, 15
	s_add_co_i32 s2, s2, 1
	s_getreg_b32 s8, hwreg(HW_REG_IB_STS2, 6, 4)
	s_mul_i32 s2, ttmp9, s2
	v_cmp_ne_u32_e32 vcc_lo, 0, v0
	s_add_co_i32 s3, s3, s2
	s_cmp_eq_u32 s8, 0
	s_load_b96 s[8:10], s[0:1], 0x10
	s_cselect_b32 s11, ttmp9, s3
	s_mov_b32 s3, 0
	s_lshl_b32 s2, s11, 12
	v_lshlrev_b32_e32 v36, 3, v0
	s_lshl_b64 s[12:13], s[2:3], 3
	s_delay_alu instid0(VALU_DEP_1)
	v_add_nc_u32_e32 v51, -8, v36
	s_wait_kmcnt 0x0
	s_add_nc_u64 s[0:1], s[4:5], s[12:13]
	s_clause 0xf
	global_load_b64 v[32:33], v0, s[0:1] scale_offset
	global_load_b64 v[30:31], v0, s[0:1] offset:2048 scale_offset
	global_load_b64 v[28:29], v0, s[0:1] offset:4096 scale_offset
	;; [unrolled: 1-line block ×15, first 2 shown]
	s_load_b32 s3, s[6:7], s11 offset:0x0 scale_offset
	s_cvt_f32_u32 s0, s10
	s_sub_co_i32 s1, 0, s10
	s_mov_b32 s4, s8
	s_delay_alu instid0(SALU_CYCLE_1) | instskip(SKIP_1) | instid1(TRANS32_DEP_1)
	v_rcp_iflag_f32_e32 v1, s0
	v_nop
	v_readfirstlane_b32 s0, v1
	v_lshlrev_b32_e32 v1, 4, v0
	s_mul_f32 s0, s0, 0x4f7ffffe
	s_delay_alu instid0(VALU_DEP_1)
	v_or_b32_e32 v37, 14, v1
	v_or_b32_e32 v38, 13, v1
	v_or_b32_e32 v39, 12, v1
	s_cvt_u32_f32 s0, s0
	v_or_b32_e32 v40, 11, v1
	v_or_b32_e32 v41, 10, v1
	v_or_b32_e32 v42, 9, v1
	s_mul_i32 s1, s1, s0
	v_or_b32_e32 v43, 8, v1
	s_mul_hi_u32 s1, s0, s1
	v_or_b32_e32 v44, 7, v1
	s_add_co_i32 s0, s0, s1
	v_or_b32_e32 v45, 6, v1
	s_lshr_b32 s0, s0, 20
	v_or_b32_e32 v46, 5, v1
	s_mul_i32 s1, s0, s10
	s_add_co_i32 s2, s0, 1
	s_sub_co_i32 s1, 0x1000, s1
	v_or_b32_e32 v47, 4, v1
	s_sub_co_i32 s5, s1, s10
	s_cmp_ge_u32 s1, s10
	v_or_b32_e32 v48, 3, v1
	s_cselect_b32 s0, s2, s0
	s_cselect_b32 s1, s5, s1
	s_add_co_i32 s2, s0, 1
	s_cmp_ge_u32 s1, s10
	v_or_b32_e32 v49, 2, v1
	v_or_b32_e32 v50, 1, v1
	s_wait_xcnt 0x0
	s_cselect_b32 s6, s2, s0
	s_mov_b32 s5, s9
	s_add_co_i32 s6, s6, 1
	s_branch .LBB142_2
.LBB142_1:                              ;   in Loop: Header=BB142_2 Depth=1
	s_or_b32 exec_lo, exec_lo, s0
	v_cmp_gt_u32_e64 s0, s3, v50
	v_cmp_gt_u32_e64 s1, s3, v49
	v_cmp_gt_u32_e64 s2, s3, v48
	s_add_co_i32 s10, s10, -1
	v_dual_cndmask_b32 v53, 0, v33, s0 :: v_dual_cndmask_b32 v55, 0, v31, s1
	v_dual_cndmask_b32 v52, 0, v32, s0 :: v_dual_cndmask_b32 v54, 0, v30, s1
	v_dual_cndmask_b32 v57, 0, v29, s2 :: v_dual_cndmask_b32 v56, 0, v28, s2
	v_cmp_gt_u32_e64 s0, s3, v47
	s_delay_alu instid0(VALU_DEP_3) | instskip(NEXT) | instid1(VALU_DEP_4)
	v_sub_nc_u64_e32 v[52:53], v[30:31], v[52:53]
	v_sub_nc_u64_e32 v[54:55], v[28:29], v[54:55]
	v_add_nc_u64_e32 v[32:33], v[34:35], v[32:33]
	v_sub_nc_u64_e32 v[34:35], v[26:27], v[56:57]
	v_cmp_gt_u32_e64 s1, s3, v46
	v_dual_cndmask_b32 v59, 0, v27, s0 :: v_dual_cndmask_b32 v58, 0, v26, s0
	v_cmp_gt_u32_e64 s0, s3, v45
	v_add_nc_u64_e32 v[30:31], v[52:53], v[30:31]
	v_add_nc_u64_e32 v[28:29], v[54:55], v[28:29]
	v_dual_cndmask_b32 v53, 0, v25, s1 :: v_dual_cndmask_b32 v52, 0, v24, s1
	v_sub_nc_u64_e32 v[54:55], v[24:25], v[58:59]
	v_add_nc_u64_e32 v[26:27], v[34:35], v[26:27]
	v_dual_cndmask_b32 v35, 0, v23, s0 :: v_dual_cndmask_b32 v34, 0, v22, s0
	v_cmp_gt_u32_e64 s0, s3, v44
	v_cmp_gt_u32_e64 s1, s3, v42
	;; [unrolled: 1-line block ×3, first 2 shown]
	v_sub_nc_u64_e32 v[52:53], v[22:23], v[52:53]
	v_sub_nc_u64_e32 v[34:35], v[20:21], v[34:35]
	v_dual_cndmask_b32 v57, 0, v21, s0 :: v_dual_cndmask_b32 v56, 0, v20, s0
	v_add_nc_u64_e32 v[24:25], v[54:55], v[24:25]
	v_dual_cndmask_b32 v55, 0, v19, s2 :: v_dual_cndmask_b32 v54, 0, v18, s2
	v_dual_cndmask_b32 v59, 0, v17, s1 :: v_dual_cndmask_b32 v58, 0, v16, s1
	s_delay_alu instid0(VALU_DEP_4) | instskip(SKIP_1) | instid1(VALU_DEP_4)
	v_sub_nc_u64_e32 v[56:57], v[18:19], v[56:57]
	v_add_nc_u64_e32 v[22:23], v[52:53], v[22:23]
	v_sub_nc_u64_e32 v[52:53], v[16:17], v[54:55]
	v_add_nc_u64_e32 v[20:21], v[34:35], v[20:21]
	v_sub_nc_u64_e32 v[34:35], v[14:15], v[58:59]
	v_cmp_gt_u32_e64 s0, s3, v41
	v_cmp_gt_u32_e64 s2, s3, v39
	v_add_nc_u64_e32 v[18:19], v[56:57], v[18:19]
	v_cmp_gt_u32_e64 s1, s3, v40
	v_add_nc_u64_e32 v[16:17], v[52:53], v[16:17]
	v_dual_cndmask_b32 v53, 0, v15, s0 :: v_dual_cndmask_b32 v52, 0, v14, s0
	v_add_nc_u64_e32 v[14:15], v[34:35], v[14:15]
	v_dual_cndmask_b32 v35, 0, v11, s2 :: v_dual_bitop2_b32 v56, 15, v1 bitop3:0x54
	v_dual_cndmask_b32 v55, 0, v13, s1 :: v_dual_cndmask_b32 v54, 0, v12, s1
	v_cmp_gt_u32_e64 s0, s3, v38
	v_cmp_gt_u32_e64 s1, s3, v37
	v_cndmask_b32_e64 v34, 0, v10, s2
	v_cmp_gt_u32_e64 s2, s3, v56
	v_sub_nc_u64_e32 v[52:53], v[12:13], v[52:53]
	v_dual_cndmask_b32 v59, 0, v9, s0 :: v_dual_cndmask_b32 v58, 0, v8, s0
	v_dual_cndmask_b32 v57, 0, v7, s1 :: v_dual_cndmask_b32 v56, 0, v6, s1
	s_delay_alu instid0(VALU_DEP_4)
	v_dual_cndmask_b32 v61, 0, v5, s2 :: v_dual_cndmask_b32 v60, 0, v4, s2
	v_sub_nc_u64_e32 v[54:55], v[10:11], v[54:55]
	v_sub_nc_u64_e32 v[34:35], v[8:9], v[34:35]
	;; [unrolled: 1-line block ×5, first 2 shown]
	v_add_nc_u64_e32 v[12:13], v[52:53], v[12:13]
	s_add_co_i32 s0, s6, s3
	v_add_nc_u64_e32 v[10:11], v[54:55], v[10:11]
	v_add_nc_u64_e32 v[8:9], v[34:35], v[8:9]
	;; [unrolled: 1-line block ×5, first 2 shown]
	s_and_b32 s3, s0, 0xfff
	s_cmp_lg_u32 s10, 0
	s_barrier_signal -1
	s_barrier_wait -1
	s_cbranch_scc0 .LBB142_4
.LBB142_2:                              ; =>This Inner Loop Header: Depth=1
	s_wait_kmcnt 0x0
	v_cmp_gt_u32_e64 s0, s3, v1
	s_wait_loadcnt 0xf
	v_mov_b64_e32 v[34:35], v[32:33]
	s_wait_loadcnt 0x0
	ds_store_b64 v36, v[2:3]
	s_wait_dscnt 0x0
	s_barrier_signal -1
	s_and_b32 s1, vcc_lo, s0
	s_barrier_wait -1
	s_and_saveexec_b32 s0, s1
	s_cbranch_execz .LBB142_1
; %bb.3:                                ;   in Loop: Header=BB142_2 Depth=1
	ds_load_b64 v[34:35], v51
	s_wait_dscnt 0x0
	v_sub_nc_u64_e32 v[34:35], v[32:33], v[34:35]
	s_branch .LBB142_1
.LBB142_4:
	s_add_nc_u64 s[0:1], s[4:5], s[12:13]
	s_clause 0xf
	global_store_b64 v0, v[32:33], s[0:1] scale_offset
	global_store_b64 v0, v[30:31], s[0:1] offset:2048 scale_offset
	global_store_b64 v0, v[28:29], s[0:1] offset:4096 scale_offset
	;; [unrolled: 1-line block ×15, first 2 shown]
	s_endpgm
	.section	.rodata,"a",@progbits
	.p2align	6, 0x0
	.amdhsa_kernel _Z6kernelI26subtract_left_partial_tileLj256ELj16ELb0EJPxPiS1_jEEvDpT3_
		.amdhsa_group_segment_fixed_size 4096
		.amdhsa_private_segment_fixed_size 0
		.amdhsa_kernarg_size 28
		.amdhsa_user_sgpr_count 2
		.amdhsa_user_sgpr_dispatch_ptr 0
		.amdhsa_user_sgpr_queue_ptr 0
		.amdhsa_user_sgpr_kernarg_segment_ptr 1
		.amdhsa_user_sgpr_dispatch_id 0
		.amdhsa_user_sgpr_kernarg_preload_length 0
		.amdhsa_user_sgpr_kernarg_preload_offset 0
		.amdhsa_user_sgpr_private_segment_size 0
		.amdhsa_wavefront_size32 1
		.amdhsa_uses_dynamic_stack 0
		.amdhsa_enable_private_segment 0
		.amdhsa_system_sgpr_workgroup_id_x 1
		.amdhsa_system_sgpr_workgroup_id_y 0
		.amdhsa_system_sgpr_workgroup_id_z 0
		.amdhsa_system_sgpr_workgroup_info 0
		.amdhsa_system_vgpr_workitem_id 0
		.amdhsa_next_free_vgpr 62
		.amdhsa_next_free_sgpr 14
		.amdhsa_named_barrier_count 0
		.amdhsa_reserve_vcc 1
		.amdhsa_float_round_mode_32 0
		.amdhsa_float_round_mode_16_64 0
		.amdhsa_float_denorm_mode_32 3
		.amdhsa_float_denorm_mode_16_64 3
		.amdhsa_fp16_overflow 0
		.amdhsa_memory_ordered 1
		.amdhsa_forward_progress 1
		.amdhsa_inst_pref_size 10
		.amdhsa_round_robin_scheduling 0
		.amdhsa_exception_fp_ieee_invalid_op 0
		.amdhsa_exception_fp_denorm_src 0
		.amdhsa_exception_fp_ieee_div_zero 0
		.amdhsa_exception_fp_ieee_overflow 0
		.amdhsa_exception_fp_ieee_underflow 0
		.amdhsa_exception_fp_ieee_inexact 0
		.amdhsa_exception_int_div_zero 0
	.end_amdhsa_kernel
	.section	.text._Z6kernelI26subtract_left_partial_tileLj256ELj16ELb0EJPxPiS1_jEEvDpT3_,"axG",@progbits,_Z6kernelI26subtract_left_partial_tileLj256ELj16ELb0EJPxPiS1_jEEvDpT3_,comdat
.Lfunc_end142:
	.size	_Z6kernelI26subtract_left_partial_tileLj256ELj16ELb0EJPxPiS1_jEEvDpT3_, .Lfunc_end142-_Z6kernelI26subtract_left_partial_tileLj256ELj16ELb0EJPxPiS1_jEEvDpT3_
                                        ; -- End function
	.set _Z6kernelI26subtract_left_partial_tileLj256ELj16ELb0EJPxPiS1_jEEvDpT3_.num_vgpr, 62
	.set _Z6kernelI26subtract_left_partial_tileLj256ELj16ELb0EJPxPiS1_jEEvDpT3_.num_agpr, 0
	.set _Z6kernelI26subtract_left_partial_tileLj256ELj16ELb0EJPxPiS1_jEEvDpT3_.numbered_sgpr, 14
	.set _Z6kernelI26subtract_left_partial_tileLj256ELj16ELb0EJPxPiS1_jEEvDpT3_.num_named_barrier, 0
	.set _Z6kernelI26subtract_left_partial_tileLj256ELj16ELb0EJPxPiS1_jEEvDpT3_.private_seg_size, 0
	.set _Z6kernelI26subtract_left_partial_tileLj256ELj16ELb0EJPxPiS1_jEEvDpT3_.uses_vcc, 1
	.set _Z6kernelI26subtract_left_partial_tileLj256ELj16ELb0EJPxPiS1_jEEvDpT3_.uses_flat_scratch, 0
	.set _Z6kernelI26subtract_left_partial_tileLj256ELj16ELb0EJPxPiS1_jEEvDpT3_.has_dyn_sized_stack, 0
	.set _Z6kernelI26subtract_left_partial_tileLj256ELj16ELb0EJPxPiS1_jEEvDpT3_.has_recursion, 0
	.set _Z6kernelI26subtract_left_partial_tileLj256ELj16ELb0EJPxPiS1_jEEvDpT3_.has_indirect_call, 0
	.section	.AMDGPU.csdata,"",@progbits
; Kernel info:
; codeLenInByte = 1232
; TotalNumSgprs: 16
; NumVgprs: 62
; ScratchSize: 0
; MemoryBound: 0
; FloatMode: 240
; IeeeMode: 1
; LDSByteSize: 4096 bytes/workgroup (compile time only)
; SGPRBlocks: 0
; VGPRBlocks: 3
; NumSGPRsForWavesPerEU: 16
; NumVGPRsForWavesPerEU: 62
; NamedBarCnt: 0
; Occupancy: 16
; WaveLimiterHint : 1
; COMPUTE_PGM_RSRC2:SCRATCH_EN: 0
; COMPUTE_PGM_RSRC2:USER_SGPR: 2
; COMPUTE_PGM_RSRC2:TRAP_HANDLER: 0
; COMPUTE_PGM_RSRC2:TGID_X_EN: 1
; COMPUTE_PGM_RSRC2:TGID_Y_EN: 0
; COMPUTE_PGM_RSRC2:TGID_Z_EN: 0
; COMPUTE_PGM_RSRC2:TIDIG_COMP_CNT: 0
	.section	.text._Z6kernelI26subtract_left_partial_tileLj256ELj32ELb0EJPxPiS1_jEEvDpT3_,"axG",@progbits,_Z6kernelI26subtract_left_partial_tileLj256ELj32ELb0EJPxPiS1_jEEvDpT3_,comdat
	.protected	_Z6kernelI26subtract_left_partial_tileLj256ELj32ELb0EJPxPiS1_jEEvDpT3_ ; -- Begin function _Z6kernelI26subtract_left_partial_tileLj256ELj32ELb0EJPxPiS1_jEEvDpT3_
	.globl	_Z6kernelI26subtract_left_partial_tileLj256ELj32ELb0EJPxPiS1_jEEvDpT3_
	.p2align	8
	.type	_Z6kernelI26subtract_left_partial_tileLj256ELj32ELb0EJPxPiS1_jEEvDpT3_,@function
_Z6kernelI26subtract_left_partial_tileLj256ELj32ELb0EJPxPiS1_jEEvDpT3_: ; @_Z6kernelI26subtract_left_partial_tileLj256ELj32ELb0EJPxPiS1_jEEvDpT3_
; %bb.0:
	s_load_b128 s[4:7], s[0:1], 0x0
	s_bfe_u32 s2, ttmp6, 0x4000c
	s_and_b32 s3, ttmp6, 15
	s_add_co_i32 s2, s2, 1
	s_getreg_b32 s8, hwreg(HW_REG_IB_STS2, 6, 4)
	s_mul_i32 s2, ttmp9, s2
	v_dual_lshlrev_b32 v1, 5, v0 :: v_dual_lshlrev_b32 v68, 3, v0
	s_add_co_i32 s3, s3, s2
	s_cmp_eq_u32 s8, 0
	s_load_b96 s[8:10], s[0:1], 0x10
	s_cselect_b32 s11, ttmp9, s3
	s_mov_b32 s3, 0
	s_lshl_b32 s2, s11, 13
	v_dual_add_nc_u32 v99, -8, v68 :: v_dual_bitop2_b32 v69, 30, v1 bitop3:0x54
	s_lshl_b64 s[12:13], s[2:3], 3
	v_or_b32_e32 v70, 29, v1
	v_or_b32_e32 v71, 28, v1
	;; [unrolled: 1-line block ×3, first 2 shown]
	s_wait_kmcnt 0x0
	s_add_nc_u64 s[0:1], s[4:5], s[12:13]
	v_or_b32_e32 v73, 26, v1
	s_clause 0x1f
	global_load_b64 v[64:65], v0, s[0:1] scale_offset
	global_load_b64 v[62:63], v0, s[0:1] offset:2048 scale_offset
	global_load_b64 v[60:61], v0, s[0:1] offset:4096 scale_offset
	;; [unrolled: 1-line block ×31, first 2 shown]
	s_load_b32 s3, s[6:7], s11 offset:0x0 scale_offset
	v_or_b32_e32 v74, 25, v1
	v_or_b32_e32 v75, 24, v1
	;; [unrolled: 1-line block ×6, first 2 shown]
	s_cvt_f32_u32 s0, s10
	s_sub_co_i32 s1, 0, s10
	v_or_b32_e32 v80, 19, v1
	v_or_b32_e32 v81, 18, v1
	v_rcp_iflag_f32_e32 v66, s0
	v_or_b32_e32 v82, 17, v1
	v_or_b32_e32 v83, 16, v1
	;; [unrolled: 1-line block ×6, first 2 shown]
	v_readfirstlane_b32 s0, v66
	v_or_b32_e32 v88, 11, v1
	v_or_b32_e32 v89, 10, v1
	v_or_b32_e32 v90, 9, v1
	v_or_b32_e32 v91, 8, v1
	s_mul_f32 s0, s0, 0x4f7ffffe
	v_or_b32_e32 v92, 7, v1
	v_or_b32_e32 v93, 6, v1
	;; [unrolled: 1-line block ×3, first 2 shown]
	s_cvt_u32_f32 s0, s0
	v_or_b32_e32 v95, 4, v1
	v_or_b32_e32 v96, 3, v1
	;; [unrolled: 1-line block ×3, first 2 shown]
	s_mul_i32 s1, s1, s0
	v_or_b32_e32 v98, 1, v1
	s_mul_hi_u32 s1, s0, s1
	s_mov_b32 s4, s8
	s_add_co_i32 s0, s0, s1
	v_cmp_ne_u32_e32 vcc_lo, 0, v0
	s_lshr_b32 s0, s0, 19
	s_delay_alu instid0(SALU_CYCLE_1) | instskip(SKIP_2) | instid1(SALU_CYCLE_1)
	s_mul_i32 s1, s0, s10
	s_add_co_i32 s2, s0, 1
	s_sub_co_i32 s1, 0x2000, s1
	s_sub_co_i32 s5, s1, s10
	s_cmp_ge_u32 s1, s10
	s_cselect_b32 s0, s2, s0
	s_cselect_b32 s1, s5, s1
	s_add_co_i32 s2, s0, 1
	s_cmp_ge_u32 s1, s10
	s_mov_b32 s5, s9
	s_wait_xcnt 0x0
	s_cselect_b32 s6, s2, s0
	s_delay_alu instid0(SALU_CYCLE_1)
	s_add_co_i32 s6, s6, 1
	s_branch .LBB143_2
.LBB143_1:                              ;   in Loop: Header=BB143_2 Depth=1
	s_or_b32 exec_lo, exec_lo, s0
	v_cmp_gt_u32_e64 s0, s3, v98
	v_cmp_gt_u32_e64 s1, s3, v97
	;; [unrolled: 1-line block ×3, first 2 shown]
	s_add_co_i32 s10, s10, -1
	v_dual_cndmask_b32 v101, 0, v65, s0 :: v_dual_cndmask_b32 v103, 0, v63, s1
	v_dual_cndmask_b32 v100, 0, v64, s0 :: v_dual_cndmask_b32 v102, 0, v62, s1
	v_cmp_gt_u32_e64 s0, s3, v95
	v_dual_cndmask_b32 v105, 0, v61, s2 :: v_dual_cndmask_b32 v104, 0, v60, s2
	s_delay_alu instid0(VALU_DEP_3) | instskip(NEXT) | instid1(VALU_DEP_4)
	v_sub_nc_u64_e32 v[100:101], v[62:63], v[100:101]
	v_sub_nc_u64_e32 v[102:103], v[60:61], v[102:103]
	v_cmp_gt_u32_e64 s1, s3, v94
	v_dual_cndmask_b32 v107, 0, v59, s0 :: v_dual_cndmask_b32 v106, 0, v58, s0
	v_add_nc_u64_e32 v[64:65], v[66:67], v[64:65]
	v_sub_nc_u64_e32 v[66:67], v[58:59], v[104:105]
	v_add_nc_u64_e32 v[62:63], v[100:101], v[62:63]
	v_cmp_gt_u32_e64 s0, s3, v93
	v_add_nc_u64_e32 v[60:61], v[102:103], v[60:61]
	v_dual_cndmask_b32 v101, 0, v57, s1 :: v_dual_cndmask_b32 v100, 0, v56, s1
	v_sub_nc_u64_e32 v[102:103], v[56:57], v[106:107]
	v_cmp_gt_u32_e64 s1, s3, v92
	v_add_nc_u64_e32 v[58:59], v[66:67], v[58:59]
	v_dual_cndmask_b32 v67, 0, v55, s0 :: v_dual_cndmask_b32 v66, 0, v54, s0
	v_sub_nc_u64_e32 v[100:101], v[54:55], v[100:101]
	;; [unrolled: 4-line block ×17, first 2 shown]
	v_cmp_gt_u32_e64 s1, s3, v74
	v_add_nc_u64_e32 v[26:27], v[102:103], v[26:27]
	v_dual_cndmask_b32 v103, 0, v23, s0 :: v_dual_cndmask_b32 v102, 0, v22, s0
	v_cmp_gt_u32_e64 s0, s3, v76
	v_cmp_gt_u32_e64 s2, s3, v75
	v_sub_nc_u64_e32 v[66:67], v[22:23], v[66:67]
	v_add_nc_u64_e32 v[24:25], v[100:101], v[24:25]
	v_dual_cndmask_b32 v107, 0, v17, s1 :: v_dual_cndmask_b32 v106, 0, v16, s1
	v_dual_cndmask_b32 v105, 0, v21, s0 :: v_dual_cndmask_b32 v104, 0, v20, s0
	;; [unrolled: 1-line block ×3, first 2 shown]
	v_add_nc_u64_e32 v[22:23], v[66:67], v[22:23]
	v_cmp_gt_u32_e64 s0, s3, v73
	s_delay_alu instid0(VALU_DEP_4)
	v_sub_nc_u64_e32 v[104:105], v[18:19], v[104:105]
	v_cmp_gt_u32_e64 s2, s3, v71
	v_sub_nc_u64_e32 v[66:67], v[16:17], v[100:101]
	v_sub_nc_u64_e32 v[100:101], v[14:15], v[106:107]
	;; [unrolled: 1-line block ×3, first 2 shown]
	v_cmp_gt_u32_e64 s1, s3, v72
	s_barrier_signal -1
	v_add_nc_u64_e32 v[18:19], v[104:105], v[18:19]
	v_or_b32_e32 v104, 31, v1
	v_add_nc_u64_e32 v[16:17], v[66:67], v[16:17]
	v_dual_cndmask_b32 v67, 0, v15, s0 :: v_dual_cndmask_b32 v66, 0, v14, s0
	v_add_nc_u64_e32 v[14:15], v[100:101], v[14:15]
	v_cndmask_b32_e64 v101, 0, v11, s2
	v_add_nc_u64_e32 v[20:21], v[102:103], v[20:21]
	v_dual_cndmask_b32 v103, 0, v13, s1 :: v_dual_cndmask_b32 v102, 0, v12, s1
	v_cmp_gt_u32_e64 s0, s3, v70
	v_cmp_gt_u32_e64 s1, s3, v69
	v_cndmask_b32_e64 v100, 0, v10, s2
	v_cmp_gt_u32_e64 s2, s3, v104
	v_sub_nc_u64_e32 v[66:67], v[12:13], v[66:67]
	v_dual_cndmask_b32 v107, 0, v9, s0 :: v_dual_cndmask_b32 v106, 0, v8, s0
	v_dual_cndmask_b32 v105, 0, v7, s1 :: v_dual_cndmask_b32 v104, 0, v6, s1
	s_delay_alu instid0(VALU_DEP_4)
	v_dual_cndmask_b32 v109, 0, v5, s2 :: v_dual_cndmask_b32 v108, 0, v4, s2
	v_sub_nc_u64_e32 v[102:103], v[10:11], v[102:103]
	v_sub_nc_u64_e32 v[100:101], v[8:9], v[100:101]
	;; [unrolled: 1-line block ×5, first 2 shown]
	v_add_nc_u64_e32 v[12:13], v[66:67], v[12:13]
	s_add_co_i32 s0, s6, s3
	v_add_nc_u64_e32 v[10:11], v[102:103], v[10:11]
	v_add_nc_u64_e32 v[8:9], v[100:101], v[8:9]
	;; [unrolled: 1-line block ×5, first 2 shown]
	s_and_b32 s3, s0, 0x1fff
	s_cmp_lg_u32 s10, 0
	s_barrier_wait -1
	s_cbranch_scc0 .LBB143_4
.LBB143_2:                              ; =>This Inner Loop Header: Depth=1
	s_wait_kmcnt 0x0
	v_cmp_gt_u32_e64 s0, s3, v1
	s_wait_loadcnt 0x1f
	v_mov_b64_e32 v[66:67], v[64:65]
	s_wait_loadcnt 0x0
	ds_store_b64 v68, v[2:3]
	s_wait_dscnt 0x0
	s_barrier_signal -1
	s_and_b32 s1, vcc_lo, s0
	s_barrier_wait -1
	s_and_saveexec_b32 s0, s1
	s_cbranch_execz .LBB143_1
; %bb.3:                                ;   in Loop: Header=BB143_2 Depth=1
	ds_load_b64 v[66:67], v99
	s_wait_dscnt 0x0
	v_sub_nc_u64_e32 v[66:67], v[64:65], v[66:67]
	s_branch .LBB143_1
.LBB143_4:
	s_add_nc_u64 s[0:1], s[4:5], s[12:13]
	s_clause 0x1f
	global_store_b64 v0, v[64:65], s[0:1] scale_offset
	global_store_b64 v0, v[62:63], s[0:1] offset:2048 scale_offset
	global_store_b64 v0, v[60:61], s[0:1] offset:4096 scale_offset
	;; [unrolled: 1-line block ×31, first 2 shown]
	s_sendmsg sendmsg(MSG_DEALLOC_VGPRS)
	s_endpgm
	.section	.rodata,"a",@progbits
	.p2align	6, 0x0
	.amdhsa_kernel _Z6kernelI26subtract_left_partial_tileLj256ELj32ELb0EJPxPiS1_jEEvDpT3_
		.amdhsa_group_segment_fixed_size 4096
		.amdhsa_private_segment_fixed_size 0
		.amdhsa_kernarg_size 28
		.amdhsa_user_sgpr_count 2
		.amdhsa_user_sgpr_dispatch_ptr 0
		.amdhsa_user_sgpr_queue_ptr 0
		.amdhsa_user_sgpr_kernarg_segment_ptr 1
		.amdhsa_user_sgpr_dispatch_id 0
		.amdhsa_user_sgpr_kernarg_preload_length 0
		.amdhsa_user_sgpr_kernarg_preload_offset 0
		.amdhsa_user_sgpr_private_segment_size 0
		.amdhsa_wavefront_size32 1
		.amdhsa_uses_dynamic_stack 0
		.amdhsa_enable_private_segment 0
		.amdhsa_system_sgpr_workgroup_id_x 1
		.amdhsa_system_sgpr_workgroup_id_y 0
		.amdhsa_system_sgpr_workgroup_id_z 0
		.amdhsa_system_sgpr_workgroup_info 0
		.amdhsa_system_vgpr_workitem_id 0
		.amdhsa_next_free_vgpr 110
		.amdhsa_next_free_sgpr 14
		.amdhsa_named_barrier_count 0
		.amdhsa_reserve_vcc 1
		.amdhsa_float_round_mode_32 0
		.amdhsa_float_round_mode_16_64 0
		.amdhsa_float_denorm_mode_32 3
		.amdhsa_float_denorm_mode_16_64 3
		.amdhsa_fp16_overflow 0
		.amdhsa_memory_ordered 1
		.amdhsa_forward_progress 1
		.amdhsa_inst_pref_size 17
		.amdhsa_round_robin_scheduling 0
		.amdhsa_exception_fp_ieee_invalid_op 0
		.amdhsa_exception_fp_denorm_src 0
		.amdhsa_exception_fp_ieee_div_zero 0
		.amdhsa_exception_fp_ieee_overflow 0
		.amdhsa_exception_fp_ieee_underflow 0
		.amdhsa_exception_fp_ieee_inexact 0
		.amdhsa_exception_int_div_zero 0
	.end_amdhsa_kernel
	.section	.text._Z6kernelI26subtract_left_partial_tileLj256ELj32ELb0EJPxPiS1_jEEvDpT3_,"axG",@progbits,_Z6kernelI26subtract_left_partial_tileLj256ELj32ELb0EJPxPiS1_jEEvDpT3_,comdat
.Lfunc_end143:
	.size	_Z6kernelI26subtract_left_partial_tileLj256ELj32ELb0EJPxPiS1_jEEvDpT3_, .Lfunc_end143-_Z6kernelI26subtract_left_partial_tileLj256ELj32ELb0EJPxPiS1_jEEvDpT3_
                                        ; -- End function
	.set _Z6kernelI26subtract_left_partial_tileLj256ELj32ELb0EJPxPiS1_jEEvDpT3_.num_vgpr, 110
	.set _Z6kernelI26subtract_left_partial_tileLj256ELj32ELb0EJPxPiS1_jEEvDpT3_.num_agpr, 0
	.set _Z6kernelI26subtract_left_partial_tileLj256ELj32ELb0EJPxPiS1_jEEvDpT3_.numbered_sgpr, 14
	.set _Z6kernelI26subtract_left_partial_tileLj256ELj32ELb0EJPxPiS1_jEEvDpT3_.num_named_barrier, 0
	.set _Z6kernelI26subtract_left_partial_tileLj256ELj32ELb0EJPxPiS1_jEEvDpT3_.private_seg_size, 0
	.set _Z6kernelI26subtract_left_partial_tileLj256ELj32ELb0EJPxPiS1_jEEvDpT3_.uses_vcc, 1
	.set _Z6kernelI26subtract_left_partial_tileLj256ELj32ELb0EJPxPiS1_jEEvDpT3_.uses_flat_scratch, 0
	.set _Z6kernelI26subtract_left_partial_tileLj256ELj32ELb0EJPxPiS1_jEEvDpT3_.has_dyn_sized_stack, 0
	.set _Z6kernelI26subtract_left_partial_tileLj256ELj32ELb0EJPxPiS1_jEEvDpT3_.has_recursion, 0
	.set _Z6kernelI26subtract_left_partial_tileLj256ELj32ELb0EJPxPiS1_jEEvDpT3_.has_indirect_call, 0
	.section	.AMDGPU.csdata,"",@progbits
; Kernel info:
; codeLenInByte = 2132
; TotalNumSgprs: 16
; NumVgprs: 110
; ScratchSize: 0
; MemoryBound: 0
; FloatMode: 240
; IeeeMode: 1
; LDSByteSize: 4096 bytes/workgroup (compile time only)
; SGPRBlocks: 0
; VGPRBlocks: 6
; NumSGPRsForWavesPerEU: 16
; NumVGPRsForWavesPerEU: 110
; NamedBarCnt: 0
; Occupancy: 9
; WaveLimiterHint : 1
; COMPUTE_PGM_RSRC2:SCRATCH_EN: 0
; COMPUTE_PGM_RSRC2:USER_SGPR: 2
; COMPUTE_PGM_RSRC2:TRAP_HANDLER: 0
; COMPUTE_PGM_RSRC2:TGID_X_EN: 1
; COMPUTE_PGM_RSRC2:TGID_Y_EN: 0
; COMPUTE_PGM_RSRC2:TGID_Z_EN: 0
; COMPUTE_PGM_RSRC2:TIDIG_COMP_CNT: 0
	.section	.text._Z6kernelI26subtract_left_partial_tileLj256ELj1ELb0EJPdPiS1_jEEvDpT3_,"axG",@progbits,_Z6kernelI26subtract_left_partial_tileLj256ELj1ELb0EJPdPiS1_jEEvDpT3_,comdat
	.protected	_Z6kernelI26subtract_left_partial_tileLj256ELj1ELb0EJPdPiS1_jEEvDpT3_ ; -- Begin function _Z6kernelI26subtract_left_partial_tileLj256ELj1ELb0EJPdPiS1_jEEvDpT3_
	.globl	_Z6kernelI26subtract_left_partial_tileLj256ELj1ELb0EJPdPiS1_jEEvDpT3_
	.p2align	8
	.type	_Z6kernelI26subtract_left_partial_tileLj256ELj1ELb0EJPdPiS1_jEEvDpT3_,@function
_Z6kernelI26subtract_left_partial_tileLj256ELj1ELb0EJPdPiS1_jEEvDpT3_: ; @_Z6kernelI26subtract_left_partial_tileLj256ELj1ELb0EJPdPiS1_jEEvDpT3_
; %bb.0:
	s_load_b128 s[8:11], s[0:1], 0x0
	s_bfe_u32 s2, ttmp6, 0x4000c
	s_and_b32 s3, ttmp6, 15
	s_add_co_i32 s2, s2, 1
	s_getreg_b32 s4, hwreg(HW_REG_IB_STS2, 6, 4)
	s_mul_i32 s2, ttmp9, s2
	v_cmp_ne_u32_e32 vcc_lo, 0, v0
	s_add_co_i32 s3, s3, s2
	s_cmp_eq_u32 s4, 0
	s_cselect_b32 s12, ttmp9, s3
	s_mov_b32 s3, 0
	s_lshl_b32 s2, s12, 8
	s_delay_alu instid0(SALU_CYCLE_1)
	s_lshl_b64 s[4:5], s[2:3], 3
	s_wait_xcnt 0x0
	s_load_b96 s[0:2], s[0:1], 0x10
	s_wait_kmcnt 0x0
	s_add_nc_u64 s[6:7], s[8:9], s[4:5]
	global_load_b64 v[2:3], v0, s[6:7] scale_offset
	s_cvt_f32_u32 s3, s2
	s_wait_xcnt 0x0
	s_sub_co_i32 s6, 0, s2
	s_delay_alu instid0(SALU_CYCLE_1) | instskip(SKIP_1) | instid1(TRANS32_DEP_1)
	v_rcp_iflag_f32_e32 v1, s3
	v_nop
	v_readfirstlane_b32 s3, v1
	v_lshlrev_b32_e32 v1, 3, v0
	s_mul_f32 s3, s3, 0x4f7ffffe
	s_delay_alu instid0(VALU_DEP_1) | instskip(NEXT) | instid1(SALU_CYCLE_2)
	v_add_nc_u32_e32 v6, -8, v1
	s_cvt_u32_f32 s3, s3
	s_delay_alu instid0(SALU_CYCLE_3) | instskip(NEXT) | instid1(SALU_CYCLE_1)
	s_mul_i32 s6, s6, s3
	s_mul_hi_u32 s6, s3, s6
	s_delay_alu instid0(SALU_CYCLE_1) | instskip(SKIP_2) | instid1(SALU_CYCLE_1)
	s_add_co_i32 s6, s3, s6
	s_load_b32 s3, s[10:11], s12 offset:0x0 scale_offset
	s_lshr_b32 s7, s6, 24
	s_mul_i32 s6, s7, s2
	s_add_co_i32 s9, s7, 1
	s_sub_co_i32 s8, 0x100, s6
	s_mov_b32 s6, s0
	s_wait_xcnt 0x0
	s_sub_co_i32 s10, s8, s2
	s_cmp_ge_u32 s8, s2
	s_cselect_b32 s0, s9, s7
	s_cselect_b32 s7, s10, s8
	s_add_co_i32 s8, s0, 1
	s_cmp_ge_u32 s7, s2
	s_mov_b32 s7, s1
	s_cselect_b32 s0, s8, s0
	s_delay_alu instid0(SALU_CYCLE_1)
	s_add_co_i32 s1, s0, 1
	s_branch .LBB144_2
.LBB144_1:                              ;   in Loop: Header=BB144_2 Depth=1
	s_or_b32 exec_lo, exec_lo, s0
	s_delay_alu instid0(VALU_DEP_1)
	v_add_f64_e32 v[2:3], v[2:3], v[4:5]
	s_add_co_i32 s0, s1, s3
	s_add_co_i32 s2, s2, -1
	s_and_b32 s3, s0, 0xff
	s_cmp_lg_u32 s2, 0
	s_barrier_signal -1
	s_barrier_wait -1
	s_cbranch_scc0 .LBB144_4
.LBB144_2:                              ; =>This Inner Loop Header: Depth=1
	s_wait_kmcnt 0x0
	v_cmp_gt_u32_e64 s0, s3, v0
	s_wait_loadcnt 0x0
	s_delay_alu instid0(VALU_DEP_2)
	v_mov_b64_e32 v[4:5], v[2:3]
	ds_store_b64 v1, v[2:3]
	s_wait_dscnt 0x0
	s_barrier_signal -1
	s_and_b32 s8, vcc_lo, s0
	s_barrier_wait -1
	s_and_saveexec_b32 s0, s8
	s_cbranch_execz .LBB144_1
; %bb.3:                                ;   in Loop: Header=BB144_2 Depth=1
	ds_load_b64 v[4:5], v6
	s_wait_dscnt 0x0
	v_add_f64_e64 v[4:5], v[2:3], -v[4:5]
	s_branch .LBB144_1
.LBB144_4:
	s_add_nc_u64 s[0:1], s[6:7], s[4:5]
	global_store_b64 v0, v[2:3], s[0:1] scale_offset
	s_endpgm
	.section	.rodata,"a",@progbits
	.p2align	6, 0x0
	.amdhsa_kernel _Z6kernelI26subtract_left_partial_tileLj256ELj1ELb0EJPdPiS1_jEEvDpT3_
		.amdhsa_group_segment_fixed_size 4096
		.amdhsa_private_segment_fixed_size 0
		.amdhsa_kernarg_size 28
		.amdhsa_user_sgpr_count 2
		.amdhsa_user_sgpr_dispatch_ptr 0
		.amdhsa_user_sgpr_queue_ptr 0
		.amdhsa_user_sgpr_kernarg_segment_ptr 1
		.amdhsa_user_sgpr_dispatch_id 0
		.amdhsa_user_sgpr_kernarg_preload_length 0
		.amdhsa_user_sgpr_kernarg_preload_offset 0
		.amdhsa_user_sgpr_private_segment_size 0
		.amdhsa_wavefront_size32 1
		.amdhsa_uses_dynamic_stack 0
		.amdhsa_enable_private_segment 0
		.amdhsa_system_sgpr_workgroup_id_x 1
		.amdhsa_system_sgpr_workgroup_id_y 0
		.amdhsa_system_sgpr_workgroup_id_z 0
		.amdhsa_system_sgpr_workgroup_info 0
		.amdhsa_system_vgpr_workitem_id 0
		.amdhsa_next_free_vgpr 7
		.amdhsa_next_free_sgpr 13
		.amdhsa_named_barrier_count 0
		.amdhsa_reserve_vcc 1
		.amdhsa_float_round_mode_32 0
		.amdhsa_float_round_mode_16_64 0
		.amdhsa_float_denorm_mode_32 3
		.amdhsa_float_denorm_mode_16_64 3
		.amdhsa_fp16_overflow 0
		.amdhsa_memory_ordered 1
		.amdhsa_forward_progress 1
		.amdhsa_inst_pref_size 4
		.amdhsa_round_robin_scheduling 0
		.amdhsa_exception_fp_ieee_invalid_op 0
		.amdhsa_exception_fp_denorm_src 0
		.amdhsa_exception_fp_ieee_div_zero 0
		.amdhsa_exception_fp_ieee_overflow 0
		.amdhsa_exception_fp_ieee_underflow 0
		.amdhsa_exception_fp_ieee_inexact 0
		.amdhsa_exception_int_div_zero 0
	.end_amdhsa_kernel
	.section	.text._Z6kernelI26subtract_left_partial_tileLj256ELj1ELb0EJPdPiS1_jEEvDpT3_,"axG",@progbits,_Z6kernelI26subtract_left_partial_tileLj256ELj1ELb0EJPdPiS1_jEEvDpT3_,comdat
.Lfunc_end144:
	.size	_Z6kernelI26subtract_left_partial_tileLj256ELj1ELb0EJPdPiS1_jEEvDpT3_, .Lfunc_end144-_Z6kernelI26subtract_left_partial_tileLj256ELj1ELb0EJPdPiS1_jEEvDpT3_
                                        ; -- End function
	.set _Z6kernelI26subtract_left_partial_tileLj256ELj1ELb0EJPdPiS1_jEEvDpT3_.num_vgpr, 7
	.set _Z6kernelI26subtract_left_partial_tileLj256ELj1ELb0EJPdPiS1_jEEvDpT3_.num_agpr, 0
	.set _Z6kernelI26subtract_left_partial_tileLj256ELj1ELb0EJPdPiS1_jEEvDpT3_.numbered_sgpr, 13
	.set _Z6kernelI26subtract_left_partial_tileLj256ELj1ELb0EJPdPiS1_jEEvDpT3_.num_named_barrier, 0
	.set _Z6kernelI26subtract_left_partial_tileLj256ELj1ELb0EJPdPiS1_jEEvDpT3_.private_seg_size, 0
	.set _Z6kernelI26subtract_left_partial_tileLj256ELj1ELb0EJPdPiS1_jEEvDpT3_.uses_vcc, 1
	.set _Z6kernelI26subtract_left_partial_tileLj256ELj1ELb0EJPdPiS1_jEEvDpT3_.uses_flat_scratch, 0
	.set _Z6kernelI26subtract_left_partial_tileLj256ELj1ELb0EJPdPiS1_jEEvDpT3_.has_dyn_sized_stack, 0
	.set _Z6kernelI26subtract_left_partial_tileLj256ELj1ELb0EJPdPiS1_jEEvDpT3_.has_recursion, 0
	.set _Z6kernelI26subtract_left_partial_tileLj256ELj1ELb0EJPdPiS1_jEEvDpT3_.has_indirect_call, 0
	.section	.AMDGPU.csdata,"",@progbits
; Kernel info:
; codeLenInByte = 392
; TotalNumSgprs: 15
; NumVgprs: 7
; ScratchSize: 0
; MemoryBound: 0
; FloatMode: 240
; IeeeMode: 1
; LDSByteSize: 4096 bytes/workgroup (compile time only)
; SGPRBlocks: 0
; VGPRBlocks: 0
; NumSGPRsForWavesPerEU: 15
; NumVGPRsForWavesPerEU: 7
; NamedBarCnt: 0
; Occupancy: 16
; WaveLimiterHint : 0
; COMPUTE_PGM_RSRC2:SCRATCH_EN: 0
; COMPUTE_PGM_RSRC2:USER_SGPR: 2
; COMPUTE_PGM_RSRC2:TRAP_HANDLER: 0
; COMPUTE_PGM_RSRC2:TGID_X_EN: 1
; COMPUTE_PGM_RSRC2:TGID_Y_EN: 0
; COMPUTE_PGM_RSRC2:TGID_Z_EN: 0
; COMPUTE_PGM_RSRC2:TIDIG_COMP_CNT: 0
	.section	.text._Z6kernelI26subtract_left_partial_tileLj256ELj3ELb0EJPdPiS1_jEEvDpT3_,"axG",@progbits,_Z6kernelI26subtract_left_partial_tileLj256ELj3ELb0EJPdPiS1_jEEvDpT3_,comdat
	.protected	_Z6kernelI26subtract_left_partial_tileLj256ELj3ELb0EJPdPiS1_jEEvDpT3_ ; -- Begin function _Z6kernelI26subtract_left_partial_tileLj256ELj3ELb0EJPdPiS1_jEEvDpT3_
	.globl	_Z6kernelI26subtract_left_partial_tileLj256ELj3ELb0EJPdPiS1_jEEvDpT3_
	.p2align	8
	.type	_Z6kernelI26subtract_left_partial_tileLj256ELj3ELb0EJPdPiS1_jEEvDpT3_,@function
_Z6kernelI26subtract_left_partial_tileLj256ELj3ELb0EJPdPiS1_jEEvDpT3_: ; @_Z6kernelI26subtract_left_partial_tileLj256ELj3ELb0EJPdPiS1_jEEvDpT3_
; %bb.0:
	s_load_b128 s[8:11], s[0:1], 0x0
	s_bfe_u32 s2, ttmp6, 0x4000c
	s_and_b32 s3, ttmp6, 15
	s_add_co_i32 s2, s2, 1
	s_getreg_b32 s4, hwreg(HW_REG_IB_STS2, 6, 4)
	s_mul_i32 s2, ttmp9, s2
	v_mul_u32_u24_e32 v10, 3, v0
	s_add_co_i32 s3, s3, s2
	s_cmp_eq_u32 s4, 0
	v_mad_u32_u24 v11, v0, 3, 2
	s_cselect_b32 s12, ttmp9, s3
	s_mov_b32 s3, 0
	s_mul_i32 s2, s12, 0x300
	v_mad_u32_u24 v12, v0, 3, 1
	s_lshl_b64 s[4:5], s[2:3], 3
	s_wait_xcnt 0x0
	s_load_b96 s[0:2], s[0:1], 0x10
	v_cmp_ne_u32_e32 vcc_lo, 0, v0
	s_wait_kmcnt 0x0
	s_add_nc_u64 s[6:7], s[8:9], s[4:5]
	s_clause 0x2
	global_load_b64 v[2:3], v0, s[6:7] scale_offset
	global_load_b64 v[4:5], v0, s[6:7] offset:2048 scale_offset
	global_load_b64 v[6:7], v0, s[6:7] offset:4096 scale_offset
	s_cvt_f32_u32 s3, s2
	s_wait_xcnt 0x0
	s_sub_co_i32 s6, 0, s2
	s_delay_alu instid0(SALU_CYCLE_1) | instskip(SKIP_1) | instid1(TRANS32_DEP_1)
	v_rcp_iflag_f32_e32 v1, s3
	v_nop
	v_readfirstlane_b32 s3, v1
	v_lshlrev_b32_e32 v1, 3, v0
	s_mul_f32 s3, s3, 0x4f7ffffe
	s_delay_alu instid0(VALU_DEP_1) | instskip(NEXT) | instid1(SALU_CYCLE_2)
	v_add_nc_u32_e32 v13, -8, v1
	s_cvt_u32_f32 s3, s3
	s_delay_alu instid0(SALU_CYCLE_3) | instskip(NEXT) | instid1(SALU_CYCLE_1)
	s_mul_i32 s6, s6, s3
	s_mul_hi_u32 s6, s3, s6
	s_delay_alu instid0(SALU_CYCLE_1) | instskip(NEXT) | instid1(SALU_CYCLE_1)
	s_add_co_i32 s3, s3, s6
	s_mul_hi_u32 s7, s3, 0x300
	s_load_b32 s3, s[10:11], s12 offset:0x0 scale_offset
	s_mul_i32 s6, s7, s2
	s_add_co_i32 s9, s7, 1
	s_sub_co_i32 s8, 0x300, s6
	s_mov_b32 s6, s0
	s_wait_xcnt 0x0
	s_sub_co_i32 s10, s8, s2
	s_cmp_ge_u32 s8, s2
	s_cselect_b32 s0, s9, s7
	s_cselect_b32 s7, s10, s8
	s_add_co_i32 s8, s0, 1
	s_cmp_ge_u32 s7, s2
	s_mov_b32 s7, s1
	s_cselect_b32 s8, s8, s0
	s_delay_alu instid0(SALU_CYCLE_1)
	s_add_co_i32 s8, s8, 1
	s_branch .LBB145_2
.LBB145_1:                              ;   in Loop: Header=BB145_2 Depth=1
	s_or_b32 exec_lo, exec_lo, s0
	v_add_f64_e64 v[14:15], v[6:7], -v[4:5]
	v_add_f64_e64 v[16:17], v[4:5], -v[2:3]
	v_cmp_gt_u32_e64 s0, s3, v12
	v_cmp_gt_u32_e64 s1, s3, v11
	v_add_f64_e32 v[2:3], v[2:3], v[8:9]
	s_add_co_i32 s2, s2, -1
	s_barrier_signal -1
	s_barrier_wait -1
	v_dual_cndmask_b32 v15, v7, v15, s1 :: v_dual_cndmask_b32 v17, v5, v17, s0
	v_dual_cndmask_b32 v16, v4, v16, s0 :: v_dual_cndmask_b32 v14, v6, v14, s1
	s_add_co_i32 s0, s8, s3
	s_delay_alu instid0(SALU_CYCLE_1) | instskip(NEXT) | instid1(VALU_DEP_1)
	s_mul_hi_u32 s1, s0, 0xaaaaaaab
	v_add_f64_e32 v[4:5], v[4:5], v[16:17]
	s_delay_alu instid0(VALU_DEP_2) | instskip(SKIP_1) | instid1(SALU_CYCLE_1)
	v_add_f64_e32 v[6:7], v[6:7], v[14:15]
	s_lshr_b32 s1, s1, 9
	s_mulk_i32 s1, 0x300
	s_delay_alu instid0(SALU_CYCLE_1)
	s_sub_co_i32 s3, s0, s1
	s_cmp_lg_u32 s2, 0
	s_cbranch_scc0 .LBB145_4
.LBB145_2:                              ; =>This Inner Loop Header: Depth=1
	s_wait_kmcnt 0x0
	v_cmp_gt_u32_e64 s0, s3, v10
	s_wait_loadcnt 0x2
	v_mov_b64_e32 v[8:9], v[2:3]
	s_wait_loadcnt 0x0
	ds_store_b64 v1, v[6:7]
	s_wait_dscnt 0x0
	s_barrier_signal -1
	s_and_b32 s1, vcc_lo, s0
	s_barrier_wait -1
	s_and_saveexec_b32 s0, s1
	s_cbranch_execz .LBB145_1
; %bb.3:                                ;   in Loop: Header=BB145_2 Depth=1
	ds_load_b64 v[8:9], v13
	s_wait_dscnt 0x0
	v_add_f64_e64 v[8:9], v[2:3], -v[8:9]
	s_branch .LBB145_1
.LBB145_4:
	s_add_nc_u64 s[0:1], s[6:7], s[4:5]
	s_clause 0x2
	global_store_b64 v0, v[2:3], s[0:1] scale_offset
	global_store_b64 v0, v[4:5], s[0:1] offset:2048 scale_offset
	global_store_b64 v0, v[6:7], s[0:1] offset:4096 scale_offset
	s_endpgm
	.section	.rodata,"a",@progbits
	.p2align	6, 0x0
	.amdhsa_kernel _Z6kernelI26subtract_left_partial_tileLj256ELj3ELb0EJPdPiS1_jEEvDpT3_
		.amdhsa_group_segment_fixed_size 4096
		.amdhsa_private_segment_fixed_size 0
		.amdhsa_kernarg_size 28
		.amdhsa_user_sgpr_count 2
		.amdhsa_user_sgpr_dispatch_ptr 0
		.amdhsa_user_sgpr_queue_ptr 0
		.amdhsa_user_sgpr_kernarg_segment_ptr 1
		.amdhsa_user_sgpr_dispatch_id 0
		.amdhsa_user_sgpr_kernarg_preload_length 0
		.amdhsa_user_sgpr_kernarg_preload_offset 0
		.amdhsa_user_sgpr_private_segment_size 0
		.amdhsa_wavefront_size32 1
		.amdhsa_uses_dynamic_stack 0
		.amdhsa_enable_private_segment 0
		.amdhsa_system_sgpr_workgroup_id_x 1
		.amdhsa_system_sgpr_workgroup_id_y 0
		.amdhsa_system_sgpr_workgroup_id_z 0
		.amdhsa_system_sgpr_workgroup_info 0
		.amdhsa_system_vgpr_workitem_id 0
		.amdhsa_next_free_vgpr 18
		.amdhsa_next_free_sgpr 13
		.amdhsa_named_barrier_count 0
		.amdhsa_reserve_vcc 1
		.amdhsa_float_round_mode_32 0
		.amdhsa_float_round_mode_16_64 0
		.amdhsa_float_denorm_mode_32 3
		.amdhsa_float_denorm_mode_16_64 3
		.amdhsa_fp16_overflow 0
		.amdhsa_memory_ordered 1
		.amdhsa_forward_progress 1
		.amdhsa_inst_pref_size 5
		.amdhsa_round_robin_scheduling 0
		.amdhsa_exception_fp_ieee_invalid_op 0
		.amdhsa_exception_fp_denorm_src 0
		.amdhsa_exception_fp_ieee_div_zero 0
		.amdhsa_exception_fp_ieee_overflow 0
		.amdhsa_exception_fp_ieee_underflow 0
		.amdhsa_exception_fp_ieee_inexact 0
		.amdhsa_exception_int_div_zero 0
	.end_amdhsa_kernel
	.section	.text._Z6kernelI26subtract_left_partial_tileLj256ELj3ELb0EJPdPiS1_jEEvDpT3_,"axG",@progbits,_Z6kernelI26subtract_left_partial_tileLj256ELj3ELb0EJPdPiS1_jEEvDpT3_,comdat
.Lfunc_end145:
	.size	_Z6kernelI26subtract_left_partial_tileLj256ELj3ELb0EJPdPiS1_jEEvDpT3_, .Lfunc_end145-_Z6kernelI26subtract_left_partial_tileLj256ELj3ELb0EJPdPiS1_jEEvDpT3_
                                        ; -- End function
	.set _Z6kernelI26subtract_left_partial_tileLj256ELj3ELb0EJPdPiS1_jEEvDpT3_.num_vgpr, 18
	.set _Z6kernelI26subtract_left_partial_tileLj256ELj3ELb0EJPdPiS1_jEEvDpT3_.num_agpr, 0
	.set _Z6kernelI26subtract_left_partial_tileLj256ELj3ELb0EJPdPiS1_jEEvDpT3_.numbered_sgpr, 13
	.set _Z6kernelI26subtract_left_partial_tileLj256ELj3ELb0EJPdPiS1_jEEvDpT3_.num_named_barrier, 0
	.set _Z6kernelI26subtract_left_partial_tileLj256ELj3ELb0EJPdPiS1_jEEvDpT3_.private_seg_size, 0
	.set _Z6kernelI26subtract_left_partial_tileLj256ELj3ELb0EJPdPiS1_jEEvDpT3_.uses_vcc, 1
	.set _Z6kernelI26subtract_left_partial_tileLj256ELj3ELb0EJPdPiS1_jEEvDpT3_.uses_flat_scratch, 0
	.set _Z6kernelI26subtract_left_partial_tileLj256ELj3ELb0EJPdPiS1_jEEvDpT3_.has_dyn_sized_stack, 0
	.set _Z6kernelI26subtract_left_partial_tileLj256ELj3ELb0EJPdPiS1_jEEvDpT3_.has_recursion, 0
	.set _Z6kernelI26subtract_left_partial_tileLj256ELj3ELb0EJPdPiS1_jEEvDpT3_.has_indirect_call, 0
	.section	.AMDGPU.csdata,"",@progbits
; Kernel info:
; codeLenInByte = 556
; TotalNumSgprs: 15
; NumVgprs: 18
; ScratchSize: 0
; MemoryBound: 0
; FloatMode: 240
; IeeeMode: 1
; LDSByteSize: 4096 bytes/workgroup (compile time only)
; SGPRBlocks: 0
; VGPRBlocks: 1
; NumSGPRsForWavesPerEU: 15
; NumVGPRsForWavesPerEU: 18
; NamedBarCnt: 0
; Occupancy: 16
; WaveLimiterHint : 1
; COMPUTE_PGM_RSRC2:SCRATCH_EN: 0
; COMPUTE_PGM_RSRC2:USER_SGPR: 2
; COMPUTE_PGM_RSRC2:TRAP_HANDLER: 0
; COMPUTE_PGM_RSRC2:TGID_X_EN: 1
; COMPUTE_PGM_RSRC2:TGID_Y_EN: 0
; COMPUTE_PGM_RSRC2:TGID_Z_EN: 0
; COMPUTE_PGM_RSRC2:TIDIG_COMP_CNT: 0
	.section	.text._Z6kernelI26subtract_left_partial_tileLj256ELj4ELb0EJPdPiS1_jEEvDpT3_,"axG",@progbits,_Z6kernelI26subtract_left_partial_tileLj256ELj4ELb0EJPdPiS1_jEEvDpT3_,comdat
	.protected	_Z6kernelI26subtract_left_partial_tileLj256ELj4ELb0EJPdPiS1_jEEvDpT3_ ; -- Begin function _Z6kernelI26subtract_left_partial_tileLj256ELj4ELb0EJPdPiS1_jEEvDpT3_
	.globl	_Z6kernelI26subtract_left_partial_tileLj256ELj4ELb0EJPdPiS1_jEEvDpT3_
	.p2align	8
	.type	_Z6kernelI26subtract_left_partial_tileLj256ELj4ELb0EJPdPiS1_jEEvDpT3_,@function
_Z6kernelI26subtract_left_partial_tileLj256ELj4ELb0EJPdPiS1_jEEvDpT3_: ; @_Z6kernelI26subtract_left_partial_tileLj256ELj4ELb0EJPdPiS1_jEEvDpT3_
; %bb.0:
	s_load_b128 s[12:15], s[0:1], 0x0
	s_bfe_u32 s2, ttmp6, 0x4000c
	s_and_b32 s3, ttmp6, 15
	s_add_co_i32 s2, s2, 1
	s_getreg_b32 s4, hwreg(HW_REG_IB_STS2, 6, 4)
	s_mul_i32 s2, ttmp9, s2
	v_cmp_ne_u32_e32 vcc_lo, 0, v0
	s_add_co_i32 s3, s3, s2
	s_cmp_eq_u32 s4, 0
	s_load_b96 s[4:6], s[0:1], 0x10
	s_cselect_b32 s7, ttmp9, s3
	s_mov_b32 s3, 0
	s_lshl_b32 s2, s7, 10
	v_lshlrev_b32_e32 v12, 3, v0
	s_lshl_b64 s[8:9], s[2:3], 3
	s_delay_alu instid0(VALU_DEP_1)
	v_add_nc_u32_e32 v16, -8, v12
	s_wait_kmcnt 0x0
	s_add_nc_u64 s[0:1], s[12:13], s[8:9]
	s_clause 0x3
	global_load_b64 v[2:3], v0, s[0:1] scale_offset
	global_load_b64 v[4:5], v0, s[0:1] offset:2048 scale_offset
	global_load_b64 v[6:7], v0, s[0:1] offset:4096 scale_offset
	;; [unrolled: 1-line block ×3, first 2 shown]
	s_load_b32 s3, s[14:15], s7 offset:0x0 scale_offset
	s_cvt_f32_u32 s0, s6
	s_sub_co_i32 s1, 0, s6
	s_delay_alu instid0(SALU_CYCLE_2) | instskip(SKIP_1) | instid1(TRANS32_DEP_1)
	v_rcp_iflag_f32_e32 v1, s0
	v_nop
	v_readfirstlane_b32 s0, v1
	v_lshlrev_b32_e32 v1, 2, v0
	s_mul_f32 s0, s0, 0x4f7ffffe
	s_delay_alu instid0(VALU_DEP_1) | instskip(SKIP_3) | instid1(SALU_CYCLE_3)
	v_or_b32_e32 v13, 3, v1
	v_or_b32_e32 v14, 2, v1
	;; [unrolled: 1-line block ×3, first 2 shown]
	s_cvt_u32_f32 s0, s0
	s_mul_i32 s1, s1, s0
	s_delay_alu instid0(SALU_CYCLE_1) | instskip(NEXT) | instid1(SALU_CYCLE_1)
	s_mul_hi_u32 s1, s0, s1
	s_add_co_i32 s0, s0, s1
	s_delay_alu instid0(SALU_CYCLE_1) | instskip(NEXT) | instid1(SALU_CYCLE_1)
	s_lshr_b32 s0, s0, 22
	s_mul_i32 s1, s0, s6
	s_add_co_i32 s2, s0, 1
	s_sub_co_i32 s1, 0x400, s1
	s_wait_xcnt 0x0
	s_sub_co_i32 s7, s1, s6
	s_cmp_ge_u32 s1, s6
	s_cselect_b32 s0, s2, s0
	s_cselect_b32 s1, s7, s1
	s_add_co_i32 s2, s0, 1
	s_cmp_ge_u32 s1, s6
	s_cselect_b32 s7, s2, s0
	s_delay_alu instid0(SALU_CYCLE_1)
	s_add_co_i32 s7, s7, 1
	s_branch .LBB146_2
.LBB146_1:                              ;   in Loop: Header=BB146_2 Depth=1
	s_or_b32 exec_lo, exec_lo, s0
	v_cmp_gt_u32_e64 s0, s3, v14
	v_cmp_gt_u32_e64 s2, s3, v13
	v_add_f64_e64 v[20:21], v[6:7], -v[4:5]
	v_add_f64_e64 v[18:19], v[8:9], -v[6:7]
	v_cmp_gt_u32_e64 s1, s3, v15
	s_add_co_i32 s6, s6, -1
	s_barrier_signal -1
	s_barrier_wait -1
	v_dual_cndmask_b32 v21, v7, v21, s0 :: v_dual_cndmask_b32 v19, v9, v19, s2
	v_dual_add_f64 v[22:23], v[4:5], -v[2:3] :: v_dual_cndmask_b32 v20, v6, v20, s0
	v_cndmask_b32_e64 v18, v8, v18, s2
	v_add_f64_e32 v[2:3], v[2:3], v[10:11]
	s_add_co_i32 s0, s7, s3
	s_delay_alu instid0(VALU_DEP_3) | instskip(NEXT) | instid1(VALU_DEP_3)
	v_add_f64_e32 v[6:7], v[6:7], v[20:21]
	v_add_f64_e32 v[8:9], v[8:9], v[18:19]
	s_and_b32 s3, s0, 0x3ff
	s_cmp_lg_u32 s6, 0
	v_dual_cndmask_b32 v23, v5, v23, s1 :: v_dual_cndmask_b32 v22, v4, v22, s1
	s_delay_alu instid0(VALU_DEP_1)
	v_add_f64_e32 v[4:5], v[4:5], v[22:23]
	s_cbranch_scc0 .LBB146_4
.LBB146_2:                              ; =>This Inner Loop Header: Depth=1
	s_wait_kmcnt 0x0
	v_cmp_gt_u32_e64 s0, s3, v1
	s_wait_loadcnt 0x3
	v_mov_b64_e32 v[10:11], v[2:3]
	s_wait_loadcnt 0x0
	ds_store_b64 v12, v[8:9]
	s_wait_dscnt 0x0
	s_barrier_signal -1
	s_and_b32 s1, vcc_lo, s0
	s_barrier_wait -1
	s_and_saveexec_b32 s0, s1
	s_cbranch_execz .LBB146_1
; %bb.3:                                ;   in Loop: Header=BB146_2 Depth=1
	ds_load_b64 v[10:11], v16
	s_wait_dscnt 0x0
	v_add_f64_e64 v[10:11], v[2:3], -v[10:11]
	s_branch .LBB146_1
.LBB146_4:
	s_add_nc_u64 s[0:1], s[4:5], s[8:9]
	s_clause 0x3
	global_store_b64 v0, v[2:3], s[0:1] scale_offset
	global_store_b64 v0, v[4:5], s[0:1] offset:2048 scale_offset
	global_store_b64 v0, v[6:7], s[0:1] offset:4096 scale_offset
	;; [unrolled: 1-line block ×3, first 2 shown]
	s_endpgm
	.section	.rodata,"a",@progbits
	.p2align	6, 0x0
	.amdhsa_kernel _Z6kernelI26subtract_left_partial_tileLj256ELj4ELb0EJPdPiS1_jEEvDpT3_
		.amdhsa_group_segment_fixed_size 4096
		.amdhsa_private_segment_fixed_size 0
		.amdhsa_kernarg_size 28
		.amdhsa_user_sgpr_count 2
		.amdhsa_user_sgpr_dispatch_ptr 0
		.amdhsa_user_sgpr_queue_ptr 0
		.amdhsa_user_sgpr_kernarg_segment_ptr 1
		.amdhsa_user_sgpr_dispatch_id 0
		.amdhsa_user_sgpr_kernarg_preload_length 0
		.amdhsa_user_sgpr_kernarg_preload_offset 0
		.amdhsa_user_sgpr_private_segment_size 0
		.amdhsa_wavefront_size32 1
		.amdhsa_uses_dynamic_stack 0
		.amdhsa_enable_private_segment 0
		.amdhsa_system_sgpr_workgroup_id_x 1
		.amdhsa_system_sgpr_workgroup_id_y 0
		.amdhsa_system_sgpr_workgroup_id_z 0
		.amdhsa_system_sgpr_workgroup_info 0
		.amdhsa_system_vgpr_workitem_id 0
		.amdhsa_next_free_vgpr 24
		.amdhsa_next_free_sgpr 16
		.amdhsa_named_barrier_count 0
		.amdhsa_reserve_vcc 1
		.amdhsa_float_round_mode_32 0
		.amdhsa_float_round_mode_16_64 0
		.amdhsa_float_denorm_mode_32 3
		.amdhsa_float_denorm_mode_16_64 3
		.amdhsa_fp16_overflow 0
		.amdhsa_memory_ordered 1
		.amdhsa_forward_progress 1
		.amdhsa_inst_pref_size 5
		.amdhsa_round_robin_scheduling 0
		.amdhsa_exception_fp_ieee_invalid_op 0
		.amdhsa_exception_fp_denorm_src 0
		.amdhsa_exception_fp_ieee_div_zero 0
		.amdhsa_exception_fp_ieee_overflow 0
		.amdhsa_exception_fp_ieee_underflow 0
		.amdhsa_exception_fp_ieee_inexact 0
		.amdhsa_exception_int_div_zero 0
	.end_amdhsa_kernel
	.section	.text._Z6kernelI26subtract_left_partial_tileLj256ELj4ELb0EJPdPiS1_jEEvDpT3_,"axG",@progbits,_Z6kernelI26subtract_left_partial_tileLj256ELj4ELb0EJPdPiS1_jEEvDpT3_,comdat
.Lfunc_end146:
	.size	_Z6kernelI26subtract_left_partial_tileLj256ELj4ELb0EJPdPiS1_jEEvDpT3_, .Lfunc_end146-_Z6kernelI26subtract_left_partial_tileLj256ELj4ELb0EJPdPiS1_jEEvDpT3_
                                        ; -- End function
	.set _Z6kernelI26subtract_left_partial_tileLj256ELj4ELb0EJPdPiS1_jEEvDpT3_.num_vgpr, 24
	.set _Z6kernelI26subtract_left_partial_tileLj256ELj4ELb0EJPdPiS1_jEEvDpT3_.num_agpr, 0
	.set _Z6kernelI26subtract_left_partial_tileLj256ELj4ELb0EJPdPiS1_jEEvDpT3_.numbered_sgpr, 16
	.set _Z6kernelI26subtract_left_partial_tileLj256ELj4ELb0EJPdPiS1_jEEvDpT3_.num_named_barrier, 0
	.set _Z6kernelI26subtract_left_partial_tileLj256ELj4ELb0EJPdPiS1_jEEvDpT3_.private_seg_size, 0
	.set _Z6kernelI26subtract_left_partial_tileLj256ELj4ELb0EJPdPiS1_jEEvDpT3_.uses_vcc, 1
	.set _Z6kernelI26subtract_left_partial_tileLj256ELj4ELb0EJPdPiS1_jEEvDpT3_.uses_flat_scratch, 0
	.set _Z6kernelI26subtract_left_partial_tileLj256ELj4ELb0EJPdPiS1_jEEvDpT3_.has_dyn_sized_stack, 0
	.set _Z6kernelI26subtract_left_partial_tileLj256ELj4ELb0EJPdPiS1_jEEvDpT3_.has_recursion, 0
	.set _Z6kernelI26subtract_left_partial_tileLj256ELj4ELb0EJPdPiS1_jEEvDpT3_.has_indirect_call, 0
	.section	.AMDGPU.csdata,"",@progbits
; Kernel info:
; codeLenInByte = 572
; TotalNumSgprs: 18
; NumVgprs: 24
; ScratchSize: 0
; MemoryBound: 0
; FloatMode: 240
; IeeeMode: 1
; LDSByteSize: 4096 bytes/workgroup (compile time only)
; SGPRBlocks: 0
; VGPRBlocks: 1
; NumSGPRsForWavesPerEU: 18
; NumVGPRsForWavesPerEU: 24
; NamedBarCnt: 0
; Occupancy: 16
; WaveLimiterHint : 1
; COMPUTE_PGM_RSRC2:SCRATCH_EN: 0
; COMPUTE_PGM_RSRC2:USER_SGPR: 2
; COMPUTE_PGM_RSRC2:TRAP_HANDLER: 0
; COMPUTE_PGM_RSRC2:TGID_X_EN: 1
; COMPUTE_PGM_RSRC2:TGID_Y_EN: 0
; COMPUTE_PGM_RSRC2:TGID_Z_EN: 0
; COMPUTE_PGM_RSRC2:TIDIG_COMP_CNT: 0
	.section	.text._Z6kernelI26subtract_left_partial_tileLj256ELj8ELb0EJPdPiS1_jEEvDpT3_,"axG",@progbits,_Z6kernelI26subtract_left_partial_tileLj256ELj8ELb0EJPdPiS1_jEEvDpT3_,comdat
	.protected	_Z6kernelI26subtract_left_partial_tileLj256ELj8ELb0EJPdPiS1_jEEvDpT3_ ; -- Begin function _Z6kernelI26subtract_left_partial_tileLj256ELj8ELb0EJPdPiS1_jEEvDpT3_
	.globl	_Z6kernelI26subtract_left_partial_tileLj256ELj8ELb0EJPdPiS1_jEEvDpT3_
	.p2align	8
	.type	_Z6kernelI26subtract_left_partial_tileLj256ELj8ELb0EJPdPiS1_jEEvDpT3_,@function
_Z6kernelI26subtract_left_partial_tileLj256ELj8ELb0EJPdPiS1_jEEvDpT3_: ; @_Z6kernelI26subtract_left_partial_tileLj256ELj8ELb0EJPdPiS1_jEEvDpT3_
; %bb.0:
	s_load_b128 s[4:7], s[0:1], 0x0
	s_bfe_u32 s2, ttmp6, 0x4000c
	s_and_b32 s3, ttmp6, 15
	s_add_co_i32 s2, s2, 1
	s_getreg_b32 s8, hwreg(HW_REG_IB_STS2, 6, 4)
	s_mul_i32 s2, ttmp9, s2
	v_cmp_ne_u32_e32 vcc_lo, 0, v0
	s_add_co_i32 s3, s3, s2
	s_cmp_eq_u32 s8, 0
	s_load_b96 s[8:10], s[0:1], 0x10
	s_cselect_b32 s11, ttmp9, s3
	s_mov_b32 s3, 0
	s_lshl_b32 s2, s11, 11
	s_delay_alu instid0(SALU_CYCLE_1)
	s_lshl_b64 s[12:13], s[2:3], 3
	s_wait_kmcnt 0x0
	s_add_nc_u64 s[0:1], s[4:5], s[12:13]
	s_clause 0x7
	global_load_b64 v[16:17], v0, s[0:1] scale_offset
	global_load_b64 v[14:15], v0, s[0:1] offset:2048 scale_offset
	global_load_b64 v[12:13], v0, s[0:1] offset:4096 scale_offset
	;; [unrolled: 1-line block ×7, first 2 shown]
	s_load_b32 s5, s[6:7], s11 offset:0x0 scale_offset
	s_cvt_f32_u32 s0, s10
	s_sub_co_i32 s1, 0, s10
	s_delay_alu instid0(SALU_CYCLE_2) | instskip(SKIP_1) | instid1(TRANS32_DEP_1)
	v_rcp_iflag_f32_e32 v1, s0
	v_nop
	v_readfirstlane_b32 s0, v1
	v_lshlrev_b32_e32 v1, 3, v0
	s_mul_f32 s0, s0, 0x4f7ffffe
	s_delay_alu instid0(VALU_DEP_1) | instskip(SKIP_1) | instid1(SALU_CYCLE_1)
	v_dual_add_nc_u32 v27, -8, v1 :: v_dual_bitop2_b32 v20, 7, v1 bitop3:0x54
	v_or_b32_e32 v21, 6, v1
	s_cvt_u32_f32 s0, s0
	v_or_b32_e32 v22, 5, v1
	v_or_b32_e32 v23, 4, v1
	;; [unrolled: 1-line block ×3, first 2 shown]
	s_mul_i32 s1, s1, s0
	v_or_b32_e32 v25, 2, v1
	s_mul_hi_u32 s1, s0, s1
	v_or_b32_e32 v26, 1, v1
	s_add_co_i32 s0, s0, s1
	s_delay_alu instid0(SALU_CYCLE_1) | instskip(NEXT) | instid1(SALU_CYCLE_1)
	s_lshr_b32 s0, s0, 21
	s_mul_i32 s1, s0, s10
	s_add_co_i32 s2, s0, 1
	s_sub_co_i32 s1, 0x800, s1
	s_delay_alu instid0(SALU_CYCLE_1)
	s_sub_co_i32 s3, s1, s10
	s_cmp_ge_u32 s1, s10
	s_cselect_b32 s0, s2, s0
	s_cselect_b32 s1, s3, s1
	s_add_co_i32 s2, s0, 1
	s_cmp_ge_u32 s1, s10
	s_wait_xcnt 0x0
	s_cselect_b32 s6, s2, s0
	s_delay_alu instid0(SALU_CYCLE_1)
	s_add_co_i32 s6, s6, 1
	s_branch .LBB147_2
.LBB147_1:                              ;   in Loop: Header=BB147_2 Depth=1
	s_or_b32 exec_lo, exec_lo, s0
	v_cmp_gt_u32_e64 s0, s5, v20
	v_add_f64_e64 v[34:35], v[8:9], -v[10:11]
	v_add_f64_e64 v[28:29], v[2:3], -v[4:5]
	;; [unrolled: 1-line block ×3, first 2 shown]
	v_cmp_gt_u32_e64 s1, s5, v21
	v_add_f64_e64 v[32:33], v[6:7], -v[8:9]
	v_cmp_gt_u32_e64 s2, s5, v25
	v_add_f64_e64 v[40:41], v[14:15], -v[16:17]
	v_cmp_gt_u32_e64 s4, s5, v24
	v_add_f64_e32 v[16:17], v[16:17], v[18:19]
	v_cmp_gt_u32_e64 s3, s5, v26
	s_add_co_i32 s10, s10, -1
	s_barrier_signal -1
	s_barrier_wait -1
	v_cndmask_b32_e64 v19, v3, v29, s0
	v_add_f64_e64 v[36:37], v[10:11], -v[12:13]
	v_cndmask_b32_e64 v18, v2, v28, s0
	v_cmp_gt_u32_e64 s0, s5, v22
	v_add_f64_e64 v[38:39], v[12:13], -v[14:15]
	v_dual_cndmask_b32 v29, v5, v31, s1 :: v_dual_cndmask_b32 v28, v4, v30, s1
	v_cmp_gt_u32_e64 s1, s5, v23
	s_delay_alu instid0(VALU_DEP_4) | instskip(SKIP_1) | instid1(VALU_DEP_4)
	v_dual_cndmask_b32 v31, v7, v33, s0 :: v_dual_cndmask_b32 v30, v6, v32, s0
	v_add_f64_e32 v[2:3], v[2:3], v[18:19]
	v_add_f64_e32 v[4:5], v[4:5], v[28:29]
	s_delay_alu instid0(VALU_DEP_4) | instskip(NEXT) | instid1(VALU_DEP_4)
	v_dual_cndmask_b32 v35, v9, v35, s1 :: v_dual_cndmask_b32 v34, v8, v34, s1
	v_add_f64_e32 v[6:7], v[6:7], v[30:31]
	s_add_co_i32 s0, s6, s5
	s_delay_alu instid0(SALU_CYCLE_1) | instskip(NEXT) | instid1(VALU_DEP_2)
	s_and_b32 s5, s0, 0x7ff
	v_add_f64_e32 v[8:9], v[8:9], v[34:35]
	s_cmp_lg_u32 s10, 0
	v_dual_cndmask_b32 v37, v11, v37, s4 :: v_dual_cndmask_b32 v36, v10, v36, s4
	v_dual_cndmask_b32 v38, v12, v38, s2 :: v_dual_cndmask_b32 v39, v13, v39, s2
	v_dual_cndmask_b32 v41, v15, v41, s3 :: v_dual_cndmask_b32 v40, v14, v40, s3
	s_delay_alu instid0(VALU_DEP_3) | instskip(NEXT) | instid1(VALU_DEP_3)
	v_add_f64_e32 v[10:11], v[10:11], v[36:37]
	v_add_f64_e32 v[12:13], v[12:13], v[38:39]
	s_delay_alu instid0(VALU_DEP_3)
	v_add_f64_e32 v[14:15], v[14:15], v[40:41]
	s_cbranch_scc0 .LBB147_4
.LBB147_2:                              ; =>This Inner Loop Header: Depth=1
	s_wait_kmcnt 0x0
	v_cmp_gt_u32_e64 s0, s5, v1
	s_wait_loadcnt 0x7
	v_mov_b64_e32 v[18:19], v[16:17]
	s_wait_loadcnt 0x0
	ds_store_b64 v1, v[2:3]
	s_wait_dscnt 0x0
	s_barrier_signal -1
	s_and_b32 s1, vcc_lo, s0
	s_barrier_wait -1
	s_and_saveexec_b32 s0, s1
	s_cbranch_execz .LBB147_1
; %bb.3:                                ;   in Loop: Header=BB147_2 Depth=1
	ds_load_b64 v[18:19], v27
	s_wait_dscnt 0x0
	v_add_f64_e64 v[18:19], v[16:17], -v[18:19]
	s_branch .LBB147_1
.LBB147_4:
	s_add_nc_u64 s[0:1], s[8:9], s[12:13]
	s_clause 0x7
	global_store_b64 v0, v[16:17], s[0:1] scale_offset
	global_store_b64 v0, v[14:15], s[0:1] offset:2048 scale_offset
	global_store_b64 v0, v[12:13], s[0:1] offset:4096 scale_offset
	;; [unrolled: 1-line block ×7, first 2 shown]
	s_endpgm
	.section	.rodata,"a",@progbits
	.p2align	6, 0x0
	.amdhsa_kernel _Z6kernelI26subtract_left_partial_tileLj256ELj8ELb0EJPdPiS1_jEEvDpT3_
		.amdhsa_group_segment_fixed_size 4096
		.amdhsa_private_segment_fixed_size 0
		.amdhsa_kernarg_size 28
		.amdhsa_user_sgpr_count 2
		.amdhsa_user_sgpr_dispatch_ptr 0
		.amdhsa_user_sgpr_queue_ptr 0
		.amdhsa_user_sgpr_kernarg_segment_ptr 1
		.amdhsa_user_sgpr_dispatch_id 0
		.amdhsa_user_sgpr_kernarg_preload_length 0
		.amdhsa_user_sgpr_kernarg_preload_offset 0
		.amdhsa_user_sgpr_private_segment_size 0
		.amdhsa_wavefront_size32 1
		.amdhsa_uses_dynamic_stack 0
		.amdhsa_enable_private_segment 0
		.amdhsa_system_sgpr_workgroup_id_x 1
		.amdhsa_system_sgpr_workgroup_id_y 0
		.amdhsa_system_sgpr_workgroup_id_z 0
		.amdhsa_system_sgpr_workgroup_info 0
		.amdhsa_system_vgpr_workitem_id 0
		.amdhsa_next_free_vgpr 42
		.amdhsa_next_free_sgpr 14
		.amdhsa_named_barrier_count 0
		.amdhsa_reserve_vcc 1
		.amdhsa_float_round_mode_32 0
		.amdhsa_float_round_mode_16_64 0
		.amdhsa_float_denorm_mode_32 3
		.amdhsa_float_denorm_mode_16_64 3
		.amdhsa_fp16_overflow 0
		.amdhsa_memory_ordered 1
		.amdhsa_forward_progress 1
		.amdhsa_inst_pref_size 7
		.amdhsa_round_robin_scheduling 0
		.amdhsa_exception_fp_ieee_invalid_op 0
		.amdhsa_exception_fp_denorm_src 0
		.amdhsa_exception_fp_ieee_div_zero 0
		.amdhsa_exception_fp_ieee_overflow 0
		.amdhsa_exception_fp_ieee_underflow 0
		.amdhsa_exception_fp_ieee_inexact 0
		.amdhsa_exception_int_div_zero 0
	.end_amdhsa_kernel
	.section	.text._Z6kernelI26subtract_left_partial_tileLj256ELj8ELb0EJPdPiS1_jEEvDpT3_,"axG",@progbits,_Z6kernelI26subtract_left_partial_tileLj256ELj8ELb0EJPdPiS1_jEEvDpT3_,comdat
.Lfunc_end147:
	.size	_Z6kernelI26subtract_left_partial_tileLj256ELj8ELb0EJPdPiS1_jEEvDpT3_, .Lfunc_end147-_Z6kernelI26subtract_left_partial_tileLj256ELj8ELb0EJPdPiS1_jEEvDpT3_
                                        ; -- End function
	.set _Z6kernelI26subtract_left_partial_tileLj256ELj8ELb0EJPdPiS1_jEEvDpT3_.num_vgpr, 42
	.set _Z6kernelI26subtract_left_partial_tileLj256ELj8ELb0EJPdPiS1_jEEvDpT3_.num_agpr, 0
	.set _Z6kernelI26subtract_left_partial_tileLj256ELj8ELb0EJPdPiS1_jEEvDpT3_.numbered_sgpr, 14
	.set _Z6kernelI26subtract_left_partial_tileLj256ELj8ELb0EJPdPiS1_jEEvDpT3_.num_named_barrier, 0
	.set _Z6kernelI26subtract_left_partial_tileLj256ELj8ELb0EJPdPiS1_jEEvDpT3_.private_seg_size, 0
	.set _Z6kernelI26subtract_left_partial_tileLj256ELj8ELb0EJPdPiS1_jEEvDpT3_.uses_vcc, 1
	.set _Z6kernelI26subtract_left_partial_tileLj256ELj8ELb0EJPdPiS1_jEEvDpT3_.uses_flat_scratch, 0
	.set _Z6kernelI26subtract_left_partial_tileLj256ELj8ELb0EJPdPiS1_jEEvDpT3_.has_dyn_sized_stack, 0
	.set _Z6kernelI26subtract_left_partial_tileLj256ELj8ELb0EJPdPiS1_jEEvDpT3_.has_recursion, 0
	.set _Z6kernelI26subtract_left_partial_tileLj256ELj8ELb0EJPdPiS1_jEEvDpT3_.has_indirect_call, 0
	.section	.AMDGPU.csdata,"",@progbits
; Kernel info:
; codeLenInByte = 828
; TotalNumSgprs: 16
; NumVgprs: 42
; ScratchSize: 0
; MemoryBound: 0
; FloatMode: 240
; IeeeMode: 1
; LDSByteSize: 4096 bytes/workgroup (compile time only)
; SGPRBlocks: 0
; VGPRBlocks: 2
; NumSGPRsForWavesPerEU: 16
; NumVGPRsForWavesPerEU: 42
; NamedBarCnt: 0
; Occupancy: 16
; WaveLimiterHint : 1
; COMPUTE_PGM_RSRC2:SCRATCH_EN: 0
; COMPUTE_PGM_RSRC2:USER_SGPR: 2
; COMPUTE_PGM_RSRC2:TRAP_HANDLER: 0
; COMPUTE_PGM_RSRC2:TGID_X_EN: 1
; COMPUTE_PGM_RSRC2:TGID_Y_EN: 0
; COMPUTE_PGM_RSRC2:TGID_Z_EN: 0
; COMPUTE_PGM_RSRC2:TIDIG_COMP_CNT: 0
	.section	.text._Z6kernelI26subtract_left_partial_tileLj256ELj16ELb0EJPdPiS1_jEEvDpT3_,"axG",@progbits,_Z6kernelI26subtract_left_partial_tileLj256ELj16ELb0EJPdPiS1_jEEvDpT3_,comdat
	.protected	_Z6kernelI26subtract_left_partial_tileLj256ELj16ELb0EJPdPiS1_jEEvDpT3_ ; -- Begin function _Z6kernelI26subtract_left_partial_tileLj256ELj16ELb0EJPdPiS1_jEEvDpT3_
	.globl	_Z6kernelI26subtract_left_partial_tileLj256ELj16ELb0EJPdPiS1_jEEvDpT3_
	.p2align	8
	.type	_Z6kernelI26subtract_left_partial_tileLj256ELj16ELb0EJPdPiS1_jEEvDpT3_,@function
_Z6kernelI26subtract_left_partial_tileLj256ELj16ELb0EJPdPiS1_jEEvDpT3_: ; @_Z6kernelI26subtract_left_partial_tileLj256ELj16ELb0EJPdPiS1_jEEvDpT3_
; %bb.0:
	s_load_b128 s[4:7], s[0:1], 0x0
	s_bfe_u32 s2, ttmp6, 0x4000c
	s_and_b32 s3, ttmp6, 15
	s_add_co_i32 s2, s2, 1
	s_getreg_b32 s8, hwreg(HW_REG_IB_STS2, 6, 4)
	s_mul_i32 s2, ttmp9, s2
	v_cmp_ne_u32_e32 vcc_lo, 0, v0
	s_add_co_i32 s3, s3, s2
	s_cmp_eq_u32 s8, 0
	s_load_b96 s[8:10], s[0:1], 0x10
	s_cselect_b32 s11, ttmp9, s3
	s_mov_b32 s3, 0
	s_lshl_b32 s2, s11, 12
	v_lshlrev_b32_e32 v36, 3, v0
	s_lshl_b64 s[12:13], s[2:3], 3
	s_delay_alu instid0(VALU_DEP_1)
	v_add_nc_u32_e32 v48, -8, v36
	s_wait_kmcnt 0x0
	s_add_nc_u64 s[0:1], s[4:5], s[12:13]
	s_clause 0xf
	global_load_b64 v[32:33], v0, s[0:1] scale_offset
	global_load_b64 v[30:31], v0, s[0:1] offset:2048 scale_offset
	global_load_b64 v[28:29], v0, s[0:1] offset:4096 scale_offset
	global_load_b64 v[26:27], v0, s[0:1] offset:6144 scale_offset
	global_load_b64 v[24:25], v0, s[0:1] offset:8192 scale_offset
	global_load_b64 v[22:23], v0, s[0:1] offset:10240 scale_offset
	global_load_b64 v[20:21], v0, s[0:1] offset:12288 scale_offset
	global_load_b64 v[18:19], v0, s[0:1] offset:14336 scale_offset
	global_load_b64 v[16:17], v0, s[0:1] offset:16384 scale_offset
	global_load_b64 v[14:15], v0, s[0:1] offset:18432 scale_offset
	global_load_b64 v[12:13], v0, s[0:1] offset:20480 scale_offset
	global_load_b64 v[10:11], v0, s[0:1] offset:22528 scale_offset
	global_load_b64 v[8:9], v0, s[0:1] offset:24576 scale_offset
	global_load_b64 v[6:7], v0, s[0:1] offset:26624 scale_offset
	global_load_b64 v[4:5], v0, s[0:1] offset:28672 scale_offset
	global_load_b64 v[2:3], v0, s[0:1] offset:30720 scale_offset
	s_load_b32 s11, s[6:7], s11 offset:0x0 scale_offset
	s_cvt_f32_u32 s0, s10
	s_sub_co_i32 s1, 0, s10
	s_mov_b32 s14, s8
	s_mov_b32 s15, s9
	v_rcp_iflag_f32_e32 v1, s0
	v_nop
	s_delay_alu instid0(TRANS32_DEP_1) | instskip(SKIP_2) | instid1(VALU_DEP_1)
	v_readfirstlane_b32 s0, v1
	v_lshlrev_b32_e32 v1, 4, v0
	s_mul_f32 s0, s0, 0x4f7ffffe
	v_or_b32_e32 v37, 11, v1
	v_or_b32_e32 v38, 10, v1
	;; [unrolled: 1-line block ×3, first 2 shown]
	s_cvt_u32_f32 s0, s0
	v_or_b32_e32 v40, 8, v1
	v_or_b32_e32 v41, 7, v1
	;; [unrolled: 1-line block ×3, first 2 shown]
	s_mul_i32 s1, s1, s0
	v_or_b32_e32 v43, 5, v1
	s_mul_hi_u32 s1, s0, s1
	v_or_b32_e32 v44, 4, v1
	s_add_co_i32 s0, s0, s1
	v_or_b32_e32 v45, 3, v1
	s_lshr_b32 s0, s0, 20
	v_or_b32_e32 v46, 2, v1
	s_mul_i32 s1, s0, s10
	s_add_co_i32 s2, s0, 1
	s_sub_co_i32 s1, 0x1000, s1
	v_or_b32_e32 v47, 1, v1
	s_sub_co_i32 s3, s1, s10
	s_cmp_ge_u32 s1, s10
	s_cselect_b32 s0, s2, s0
	s_cselect_b32 s1, s3, s1
	s_add_co_i32 s2, s0, 1
	s_cmp_ge_u32 s1, s10
	s_cselect_b32 s0, s2, s0
	s_delay_alu instid0(SALU_CYCLE_1)
	s_add_co_i32 s9, s0, 1
	s_branch .LBB148_2
.LBB148_1:                              ;   in Loop: Header=BB148_2 Depth=1
	s_or_b32 exec_lo, exec_lo, s0
	v_dual_add_f64 v[60:61], v[12:13], -v[14:15] :: v_dual_bitop2_b32 v78, 13, v1 bitop3:0x54
	v_dual_add_f64 v[64:65], v[16:17], -v[18:19] :: v_dual_bitop2_b32 v79, 12, v1 bitop3:0x54
	;; [unrolled: 1-line block ×3, first 2 shown]
	s_delay_alu instid0(VALU_DEP_3) | instskip(SKIP_1) | instid1(VALU_DEP_4)
	v_cmp_gt_u32_e64 s7, s11, v78
	v_add_f64_e64 v[72:73], v[26:27], -v[28:29]
	v_cmp_gt_u32_e64 s8, s11, v79
	v_add_f64_e64 v[78:79], v[24:25], -v[26:27]
	v_add_f64_e64 v[58:59], v[10:11], -v[12:13]
	;; [unrolled: 1-line block ×3, first 2 shown]
	v_cmp_gt_u32_e64 s6, s11, v76
	v_add_f64_e64 v[76:77], v[30:31], -v[32:33]
	v_cmp_gt_u32_e64 s0, s11, v37
	v_add_f64_e64 v[70:71], v[22:23], -v[24:25]
	v_cmp_gt_u32_e64 s1, s11, v38
	v_cmp_gt_u32_e64 s2, s11, v39
	v_dual_add_f64 v[52:53], v[4:5], -v[6:7] :: v_dual_bitop2_b32 v49, 15, v1 bitop3:0x54
	v_add_f64_e64 v[66:67], v[18:19], -v[20:21]
	v_cmp_gt_u32_e64 s3, s11, v40
	v_cmp_gt_u32_e64 s4, s11, v41
	v_add_f64_e32 v[32:33], v[32:33], v[34:35]
	v_cmp_gt_u32_e64 s5, s11, v49
	s_add_co_i32 s10, s10, -1
	s_barrier_signal -1
	s_barrier_wait -1
	v_dual_cndmask_b32 v61, v13, v61, s1 :: v_dual_cndmask_b32 v60, v12, v60, s1
	v_cmp_gt_u32_e64 s1, s11, v43
	v_dual_cndmask_b32 v65, v17, v65, s3 :: v_dual_cndmask_b32 v64, v16, v64, s3
	v_dual_cndmask_b32 v57, v9, v57, s8 :: v_dual_cndmask_b32 v56, v8, v56, s8
	s_delay_alu instid0(VALU_DEP_4) | instskip(SKIP_3) | instid1(VALU_DEP_2)
	v_dual_add_f64 v[12:13], v[12:13], v[60:61] :: v_dual_cndmask_b32 v59, v11, v59, s0
	v_cndmask_b32_e64 v58, v10, v58, s0
	v_cmp_gt_u32_e64 s0, s11, v42
	v_dual_cndmask_b32 v71, v23, v71, s1 :: v_dual_cndmask_b32 v70, v22, v70, s1
	v_dual_cndmask_b32 v69, v21, v69, s0 :: v_dual_cndmask_b32 v68, v20, v68, s0
	v_cmp_gt_u32_e64 s0, s11, v47
	v_cmp_gt_u32_e64 s1, s11, v46
	v_dual_cndmask_b32 v53, v5, v53, s6 :: v_dual_cndmask_b32 v52, v4, v52, s6
	v_dual_cndmask_b32 v67, v19, v67, s4 :: v_dual_cndmask_b32 v66, v18, v66, s4
	s_delay_alu instid0(VALU_DEP_4)
	v_dual_cndmask_b32 v77, v31, v77, s0 :: v_dual_cndmask_b32 v76, v30, v76, s0
	v_cmp_gt_u32_e64 s0, s11, v44
	v_add_f64_e64 v[62:63], v[14:15], -v[16:17]
	v_add_f64_e32 v[22:23], v[22:23], v[70:71]
	v_add_f64_e32 v[20:21], v[20:21], v[68:69]
	;; [unrolled: 1-line block ×3, first 2 shown]
	v_dual_cndmask_b32 v78, v24, v78, s0 :: v_dual_cndmask_b32 v79, v25, v79, s0
	v_add_f64_e32 v[16:17], v[16:17], v[64:65]
	v_add_f64_e32 v[10:11], v[10:11], v[58:59]
	s_add_co_i32 s0, s9, s11
	s_delay_alu instid0(VALU_DEP_3)
	v_add_f64_e32 v[24:25], v[24:25], v[78:79]
	v_dual_cndmask_b32 v63, v15, v63, s2 :: v_dual_cndmask_b32 v62, v14, v62, s2
	v_cmp_gt_u32_e64 s2, s11, v45
	v_add_f64_e64 v[74:75], v[28:29], -v[30:31]
	v_add_f64_e32 v[30:31], v[30:31], v[76:77]
	s_and_b32 s11, s0, 0xfff
	v_add_f64_e32 v[14:15], v[14:15], v[62:63]
	v_cndmask_b32_e64 v72, v26, v72, s2
	v_add_f64_e64 v[50:51], v[2:3], -v[4:5]
	v_add_f64_e64 v[54:55], v[6:7], -v[8:9]
	v_cndmask_b32_e64 v73, v27, v73, s2
	v_add_f64_e32 v[8:9], v[8:9], v[56:57]
	v_add_f64_e32 v[4:5], v[4:5], v[52:53]
	s_cmp_lg_u32 s10, 0
	s_delay_alu instid0(VALU_DEP_3) | instskip(SKIP_3) | instid1(VALU_DEP_3)
	v_dual_add_f64 v[26:27], v[26:27], v[72:73] :: v_dual_cndmask_b32 v75, v29, v75, s1
	v_dual_cndmask_b32 v74, v28, v74, s1 :: v_dual_cndmask_b32 v51, v3, v51, s5
	v_dual_cndmask_b32 v50, v2, v50, s5 :: v_dual_cndmask_b32 v55, v7, v55, s7
	v_cndmask_b32_e64 v54, v6, v54, s7
	v_add_f64_e32 v[28:29], v[28:29], v[74:75]
	s_delay_alu instid0(VALU_DEP_3) | instskip(NEXT) | instid1(VALU_DEP_3)
	v_add_f64_e32 v[2:3], v[2:3], v[50:51]
	v_add_f64_e32 v[6:7], v[6:7], v[54:55]
	s_cbranch_scc0 .LBB148_4
.LBB148_2:                              ; =>This Inner Loop Header: Depth=1
	s_wait_kmcnt 0x0
	v_cmp_gt_u32_e64 s0, s11, v1
	s_wait_loadcnt 0xf
	v_mov_b64_e32 v[34:35], v[32:33]
	s_wait_loadcnt 0x0
	ds_store_b64 v36, v[2:3]
	s_wait_dscnt 0x0
	s_barrier_signal -1
	s_and_b32 s1, vcc_lo, s0
	s_barrier_wait -1
	s_and_saveexec_b32 s0, s1
	s_cbranch_execz .LBB148_1
; %bb.3:                                ;   in Loop: Header=BB148_2 Depth=1
	ds_load_b64 v[34:35], v48
	s_wait_dscnt 0x0
	v_add_f64_e64 v[34:35], v[32:33], -v[34:35]
	s_branch .LBB148_1
.LBB148_4:
	s_add_nc_u64 s[0:1], s[14:15], s[12:13]
	s_clause 0xf
	global_store_b64 v0, v[32:33], s[0:1] scale_offset
	global_store_b64 v0, v[30:31], s[0:1] offset:2048 scale_offset
	global_store_b64 v0, v[28:29], s[0:1] offset:4096 scale_offset
	;; [unrolled: 1-line block ×15, first 2 shown]
	s_sendmsg sendmsg(MSG_DEALLOC_VGPRS)
	s_endpgm
	.section	.rodata,"a",@progbits
	.p2align	6, 0x0
	.amdhsa_kernel _Z6kernelI26subtract_left_partial_tileLj256ELj16ELb0EJPdPiS1_jEEvDpT3_
		.amdhsa_group_segment_fixed_size 4096
		.amdhsa_private_segment_fixed_size 0
		.amdhsa_kernarg_size 28
		.amdhsa_user_sgpr_count 2
		.amdhsa_user_sgpr_dispatch_ptr 0
		.amdhsa_user_sgpr_queue_ptr 0
		.amdhsa_user_sgpr_kernarg_segment_ptr 1
		.amdhsa_user_sgpr_dispatch_id 0
		.amdhsa_user_sgpr_kernarg_preload_length 0
		.amdhsa_user_sgpr_kernarg_preload_offset 0
		.amdhsa_user_sgpr_private_segment_size 0
		.amdhsa_wavefront_size32 1
		.amdhsa_uses_dynamic_stack 0
		.amdhsa_enable_private_segment 0
		.amdhsa_system_sgpr_workgroup_id_x 1
		.amdhsa_system_sgpr_workgroup_id_y 0
		.amdhsa_system_sgpr_workgroup_id_z 0
		.amdhsa_system_sgpr_workgroup_info 0
		.amdhsa_system_vgpr_workitem_id 0
		.amdhsa_next_free_vgpr 80
		.amdhsa_next_free_sgpr 16
		.amdhsa_named_barrier_count 0
		.amdhsa_reserve_vcc 1
		.amdhsa_float_round_mode_32 0
		.amdhsa_float_round_mode_16_64 0
		.amdhsa_float_denorm_mode_32 3
		.amdhsa_float_denorm_mode_16_64 3
		.amdhsa_fp16_overflow 0
		.amdhsa_memory_ordered 1
		.amdhsa_forward_progress 1
		.amdhsa_inst_pref_size 11
		.amdhsa_round_robin_scheduling 0
		.amdhsa_exception_fp_ieee_invalid_op 0
		.amdhsa_exception_fp_denorm_src 0
		.amdhsa_exception_fp_ieee_div_zero 0
		.amdhsa_exception_fp_ieee_overflow 0
		.amdhsa_exception_fp_ieee_underflow 0
		.amdhsa_exception_fp_ieee_inexact 0
		.amdhsa_exception_int_div_zero 0
	.end_amdhsa_kernel
	.section	.text._Z6kernelI26subtract_left_partial_tileLj256ELj16ELb0EJPdPiS1_jEEvDpT3_,"axG",@progbits,_Z6kernelI26subtract_left_partial_tileLj256ELj16ELb0EJPdPiS1_jEEvDpT3_,comdat
.Lfunc_end148:
	.size	_Z6kernelI26subtract_left_partial_tileLj256ELj16ELb0EJPdPiS1_jEEvDpT3_, .Lfunc_end148-_Z6kernelI26subtract_left_partial_tileLj256ELj16ELb0EJPdPiS1_jEEvDpT3_
                                        ; -- End function
	.set _Z6kernelI26subtract_left_partial_tileLj256ELj16ELb0EJPdPiS1_jEEvDpT3_.num_vgpr, 80
	.set _Z6kernelI26subtract_left_partial_tileLj256ELj16ELb0EJPdPiS1_jEEvDpT3_.num_agpr, 0
	.set _Z6kernelI26subtract_left_partial_tileLj256ELj16ELb0EJPdPiS1_jEEvDpT3_.numbered_sgpr, 16
	.set _Z6kernelI26subtract_left_partial_tileLj256ELj16ELb0EJPdPiS1_jEEvDpT3_.num_named_barrier, 0
	.set _Z6kernelI26subtract_left_partial_tileLj256ELj16ELb0EJPdPiS1_jEEvDpT3_.private_seg_size, 0
	.set _Z6kernelI26subtract_left_partial_tileLj256ELj16ELb0EJPdPiS1_jEEvDpT3_.uses_vcc, 1
	.set _Z6kernelI26subtract_left_partial_tileLj256ELj16ELb0EJPdPiS1_jEEvDpT3_.uses_flat_scratch, 0
	.set _Z6kernelI26subtract_left_partial_tileLj256ELj16ELb0EJPdPiS1_jEEvDpT3_.has_dyn_sized_stack, 0
	.set _Z6kernelI26subtract_left_partial_tileLj256ELj16ELb0EJPdPiS1_jEEvDpT3_.has_recursion, 0
	.set _Z6kernelI26subtract_left_partial_tileLj256ELj16ELb0EJPdPiS1_jEEvDpT3_.has_indirect_call, 0
	.section	.AMDGPU.csdata,"",@progbits
; Kernel info:
; codeLenInByte = 1316
; TotalNumSgprs: 18
; NumVgprs: 80
; ScratchSize: 0
; MemoryBound: 0
; FloatMode: 240
; IeeeMode: 1
; LDSByteSize: 4096 bytes/workgroup (compile time only)
; SGPRBlocks: 0
; VGPRBlocks: 4
; NumSGPRsForWavesPerEU: 18
; NumVGPRsForWavesPerEU: 80
; NamedBarCnt: 0
; Occupancy: 12
; WaveLimiterHint : 1
; COMPUTE_PGM_RSRC2:SCRATCH_EN: 0
; COMPUTE_PGM_RSRC2:USER_SGPR: 2
; COMPUTE_PGM_RSRC2:TRAP_HANDLER: 0
; COMPUTE_PGM_RSRC2:TGID_X_EN: 1
; COMPUTE_PGM_RSRC2:TGID_Y_EN: 0
; COMPUTE_PGM_RSRC2:TGID_Z_EN: 0
; COMPUTE_PGM_RSRC2:TIDIG_COMP_CNT: 0
	.section	.text._Z6kernelI26subtract_left_partial_tileLj256ELj32ELb0EJPdPiS1_jEEvDpT3_,"axG",@progbits,_Z6kernelI26subtract_left_partial_tileLj256ELj32ELb0EJPdPiS1_jEEvDpT3_,comdat
	.protected	_Z6kernelI26subtract_left_partial_tileLj256ELj32ELb0EJPdPiS1_jEEvDpT3_ ; -- Begin function _Z6kernelI26subtract_left_partial_tileLj256ELj32ELb0EJPdPiS1_jEEvDpT3_
	.globl	_Z6kernelI26subtract_left_partial_tileLj256ELj32ELb0EJPdPiS1_jEEvDpT3_
	.p2align	8
	.type	_Z6kernelI26subtract_left_partial_tileLj256ELj32ELb0EJPdPiS1_jEEvDpT3_,@function
_Z6kernelI26subtract_left_partial_tileLj256ELj32ELb0EJPdPiS1_jEEvDpT3_: ; @_Z6kernelI26subtract_left_partial_tileLj256ELj32ELb0EJPdPiS1_jEEvDpT3_
; %bb.0:
	s_load_b128 s[4:7], s[0:1], 0x0
	s_bfe_u32 s2, ttmp6, 0x4000c
	s_and_b32 s3, ttmp6, 15
	s_add_co_i32 s2, s2, 1
	s_getreg_b32 s8, hwreg(HW_REG_IB_STS2, 6, 4)
	s_mul_i32 s2, ttmp9, s2
	v_dual_lshlrev_b32 v1, 5, v0 :: v_dual_lshlrev_b32 v68, 3, v0
	s_add_co_i32 s3, s3, s2
	s_cmp_eq_u32 s8, 0
	s_load_b96 s[8:10], s[0:1], 0x10
	s_cselect_b32 s11, ttmp9, s3
	s_mov_b32 s3, 0
	s_lshl_b32 s2, s11, 13
	v_dual_add_nc_u32 v96, -8, v68 :: v_dual_bitop2_b32 v69, 27, v1 bitop3:0x54
	s_lshl_b64 s[12:13], s[2:3], 3
	v_or_b32_e32 v70, 26, v1
	v_or_b32_e32 v71, 25, v1
	;; [unrolled: 1-line block ×3, first 2 shown]
	s_wait_kmcnt 0x0
	s_add_nc_u64 s[0:1], s[4:5], s[12:13]
	v_or_b32_e32 v73, 23, v1
	s_clause 0x1f
	global_load_b64 v[64:65], v0, s[0:1] scale_offset
	global_load_b64 v[62:63], v0, s[0:1] offset:2048 scale_offset
	global_load_b64 v[60:61], v0, s[0:1] offset:4096 scale_offset
	;; [unrolled: 1-line block ×31, first 2 shown]
	s_load_b32 s11, s[6:7], s11 offset:0x0 scale_offset
	v_or_b32_e32 v74, 22, v1
	v_or_b32_e32 v75, 21, v1
	;; [unrolled: 1-line block ×6, first 2 shown]
	s_cvt_f32_u32 s0, s10
	s_sub_co_i32 s1, 0, s10
	v_or_b32_e32 v80, 16, v1
	v_or_b32_e32 v81, 15, v1
	v_rcp_iflag_f32_e32 v66, s0
	v_or_b32_e32 v82, 14, v1
	v_or_b32_e32 v83, 13, v1
	;; [unrolled: 1-line block ×6, first 2 shown]
	v_readfirstlane_b32 s0, v66
	v_or_b32_e32 v88, 8, v1
	v_or_b32_e32 v89, 7, v1
	;; [unrolled: 1-line block ×4, first 2 shown]
	s_mul_f32 s0, s0, 0x4f7ffffe
	v_or_b32_e32 v92, 4, v1
	v_or_b32_e32 v93, 3, v1
	;; [unrolled: 1-line block ×3, first 2 shown]
	s_cvt_u32_f32 s0, s0
	v_or_b32_e32 v95, 1, v1
	v_cmp_ne_u32_e32 vcc_lo, 0, v0
	s_delay_alu instid0(SALU_CYCLE_1) | instskip(NEXT) | instid1(SALU_CYCLE_1)
	s_mul_i32 s1, s1, s0
	s_mul_hi_u32 s1, s0, s1
	s_delay_alu instid0(SALU_CYCLE_1) | instskip(NEXT) | instid1(SALU_CYCLE_1)
	s_add_co_i32 s0, s0, s1
	s_lshr_b32 s0, s0, 19
	s_delay_alu instid0(SALU_CYCLE_1) | instskip(SKIP_2) | instid1(SALU_CYCLE_1)
	s_mul_i32 s1, s0, s10
	s_add_co_i32 s2, s0, 1
	s_sub_co_i32 s1, 0x2000, s1
	s_sub_co_i32 s3, s1, s10
	s_cmp_ge_u32 s1, s10
	s_cselect_b32 s0, s2, s0
	s_cselect_b32 s1, s3, s1
	s_add_co_i32 s2, s0, 1
	s_cmp_ge_u32 s1, s10
	s_cselect_b32 s14, s2, s0
	s_delay_alu instid0(SALU_CYCLE_1)
	s_add_co_i32 s14, s14, 1
	s_branch .LBB149_2
.LBB149_1:                              ;   in Loop: Header=BB149_2 Depth=1
	s_or_b32 exec_lo, exec_lo, s0
	v_add_f64_e64 v[106:107], v[10:11], -v[12:13]
	v_add_f64_e64 v[110:111], v[14:15], -v[16:17]
	v_add_f64_e64 v[114:115], v[18:19], -v[20:21]
	v_add_f64_e64 v[128:129], v[32:33], -v[34:35]
	v_add_f64_e64 v[118:119], v[22:23], -v[24:25]
	v_add_f64_e64 v[138:139], v[42:43], -v[44:45]
	v_dual_add_f64 v[112:113], v[16:17], -v[18:19] :: v_dual_bitop2_b32 v126, 28, v1 bitop3:0x54
	v_add_f64_e64 v[122:123], v[26:27], -v[28:29]
	v_add_f64_e64 v[144:145], v[48:49], -v[50:51]
	;; [unrolled: 1-line block ×3, first 2 shown]
	v_cmp_gt_u32_e64 s0, s11, v69
	v_cmp_gt_u32_e64 s7, s11, v126
	v_add_f64_e64 v[126:127], v[30:31], -v[32:33]
	v_cmp_gt_u32_e64 s2, s11, v71
	v_add_f64_e64 v[134:135], v[38:39], -v[40:41]
	v_add_f64_e64 v[140:141], v[44:45], -v[46:47]
	;; [unrolled: 1-line block ×3, first 2 shown]
	v_dual_add_f64 v[108:109], v[12:13], -v[14:15] :: v_dual_bitop2_b32 v125, 29, v1 bitop3:0x54
	v_add_f64_e64 v[150:151], v[54:55], -v[56:57]
	v_add_f64_e64 v[152:153], v[58:59], -v[60:61]
	v_add_f64_e64 v[154:155], v[62:63], -v[64:65]
	v_dual_add_f64 v[104:105], v[8:9], -v[10:11] :: v_dual_bitop2_b32 v124, 30, v1 bitop3:0x54
	v_cmp_gt_u32_e64 s6, s11, v125
	v_add_f64_e64 v[130:131], v[34:35], -v[36:37]
	v_add_f64_e64 v[136:137], v[40:41], -v[42:43]
	v_cmp_gt_u32_e64 s1, s11, v70
	v_cmp_gt_u32_e64 s5, s11, v124
	v_add_f64_e64 v[124:125], v[28:29], -v[30:31]
	v_add_f64_e64 v[142:143], v[46:47], -v[48:49]
	v_dual_cndmask_b32 v107, v11, v107, s0 :: v_dual_cndmask_b32 v106, v10, v106, s0
	v_dual_cndmask_b32 v111, v15, v111, s2 :: v_dual_cndmask_b32 v110, v14, v110, s2
	v_cmp_gt_u32_e64 s0, s11, v73
	v_cmp_gt_u32_e64 s2, s11, v80
	v_add_f64_e64 v[148:149], v[52:53], -v[54:55]
	v_dual_add_f64 v[100:101], v[4:5], -v[6:7] :: v_dual_bitop2_b32 v97, 31, v1 bitop3:0x54
	s_delay_alu instid0(VALU_DEP_4) | instskip(SKIP_4) | instid1(VALU_DEP_4)
	v_dual_cndmask_b32 v115, v19, v115, s0 :: v_dual_cndmask_b32 v114, v18, v114, s0
	v_cmp_gt_u32_e64 s0, s11, v75
	v_dual_cndmask_b32 v129, v33, v129, s2 :: v_dual_cndmask_b32 v128, v32, v128, s2
	v_cmp_gt_u32_e64 s2, s11, v85
	v_add_f64_e64 v[156:157], v[60:61], -v[62:63]
	v_dual_cndmask_b32 v119, v23, v119, s0 :: v_dual_cndmask_b32 v118, v22, v118, s0
	v_cmp_gt_u32_e64 s0, s11, v77
	s_delay_alu instid0(VALU_DEP_4) | instskip(SKIP_2) | instid1(VALU_DEP_4)
	v_dual_cndmask_b32 v139, v43, v139, s2 :: v_dual_cndmask_b32 v138, v42, v138, s2
	v_cmp_gt_u32_e64 s2, s11, v88
	v_dual_cndmask_b32 v109, v13, v109, s1 :: v_dual_cndmask_b32 v108, v12, v108, s1
	v_dual_cndmask_b32 v123, v27, v123, s0 :: v_dual_cndmask_b32 v122, v26, v122, s0
	v_cmp_gt_u32_e64 s0, s11, v79
	s_delay_alu instid0(VALU_DEP_4)
	v_dual_cndmask_b32 v145, v49, v145, s2 :: v_dual_cndmask_b32 v144, v48, v144, s2
	v_cmp_gt_u32_e64 s2, s11, v93
	v_add_f64_e64 v[116:117], v[20:21], -v[22:23]
	v_add_f64_e64 v[120:121], v[24:25], -v[26:27]
	v_dual_cndmask_b32 v127, v31, v127, s0 :: v_dual_cndmask_b32 v126, v30, v126, s0
	v_cmp_gt_u32_e64 s0, s11, v82
	v_cmp_gt_u32_e64 s1, s11, v74
	v_dual_add_f64 v[158:159], v[56:57], -v[58:59] :: v_dual_cndmask_b32 v153, v59, v153, s2
	s_delay_alu instid0(VALU_DEP_3)
	v_dual_cndmask_b32 v152, v58, v152, s2 :: v_dual_cndmask_b32 v133, v37, v133, s0
	v_cndmask_b32_e64 v132, v36, v132, s0
	v_cmp_gt_u32_e64 s0, s11, v83
	v_cmp_gt_u32_e64 s3, s11, v72
	;; [unrolled: 1-line block ×3, first 2 shown]
	v_dual_cndmask_b32 v101, v5, v101, s5 :: v_dual_cndmask_b32 v100, v4, v100, s5
	s_delay_alu instid0(VALU_DEP_4) | instskip(SKIP_3) | instid1(VALU_DEP_3)
	v_dual_cndmask_b32 v135, v39, v135, s0 :: v_dual_cndmask_b32 v134, v38, v134, s0
	v_cmp_gt_u32_e64 s0, s11, v86
	v_dual_cndmask_b32 v105, v9, v105, s7 :: v_dual_cndmask_b32 v104, v8, v104, s7
	v_dual_cndmask_b32 v113, v17, v113, s3 :: v_dual_cndmask_b32 v112, v16, v112, s3
	;; [unrolled: 1-line block ×3, first 2 shown]
	v_cmp_gt_u32_e64 s0, s11, v89
	v_add_f64_e32 v[64:65], v[64:65], v[66:67]
	v_add_f64_e32 v[58:59], v[58:59], v[152:153]
	v_add_f64_e32 v[48:49], v[48:49], v[144:145]
	s_delay_alu instid0(VALU_DEP_4) | instskip(SKIP_4) | instid1(VALU_DEP_4)
	v_dual_add_f64 v[44:45], v[44:45], v[140:141] :: v_dual_cndmask_b32 v147, v51, v147, s0
	v_cndmask_b32_e64 v146, v50, v146, s0
	v_cmp_gt_u32_e64 s0, s11, v91
	v_dual_cndmask_b32 v117, v21, v117, s1 :: v_dual_cndmask_b32 v116, v20, v116, s1
	v_cmp_gt_u32_e64 s1, s11, v76
	v_add_f64_e32 v[50:51], v[50:51], v[146:147]
	s_delay_alu instid0(VALU_DEP_4) | instskip(SKIP_1) | instid1(VALU_DEP_4)
	v_dual_cndmask_b32 v151, v55, v151, s0 :: v_dual_cndmask_b32 v150, v54, v150, s0
	v_cmp_gt_u32_e64 s0, s11, v95
	v_dual_cndmask_b32 v121, v25, v121, s1 :: v_dual_cndmask_b32 v120, v24, v120, s1
	v_cmp_gt_u32_e64 s1, s11, v78
	s_delay_alu instid0(VALU_DEP_4) | instskip(NEXT) | instid1(VALU_DEP_4)
	v_add_f64_e32 v[54:55], v[54:55], v[150:151]
	v_dual_cndmask_b32 v155, v63, v155, s0 :: v_dual_cndmask_b32 v154, v62, v154, s0
	v_cmp_gt_u32_e64 s0, s11, v92
	v_add_f64_e64 v[98:99], v[2:3], -v[4:5]
	v_add_f64_e64 v[102:103], v[6:7], -v[8:9]
	v_dual_cndmask_b32 v125, v29, v125, s1 :: v_dual_cndmask_b32 v124, v28, v124, s1
	v_cmp_gt_u32_e64 s1, s11, v81
	v_dual_cndmask_b32 v159, v57, v159, s0 :: v_dual_cndmask_b32 v158, v56, v158, s0
	v_add_f64_e32 v[62:63], v[62:63], v[154:155]
	v_add_f64_e32 v[42:43], v[42:43], v[138:139]
	s_delay_alu instid0(VALU_DEP_4) | instskip(SKIP_4) | instid1(VALU_DEP_4)
	v_dual_cndmask_b32 v131, v35, v131, s1 :: v_dual_cndmask_b32 v130, v34, v130, s1
	v_cmp_gt_u32_e64 s1, s11, v84
	v_add_f64_e32 v[56:57], v[56:57], v[158:159]
	v_add_f64_e32 v[38:39], v[38:39], v[134:135]
	;; [unrolled: 1-line block ×3, first 2 shown]
	v_dual_add_f64 v[34:35], v[34:35], v[130:131] :: v_dual_cndmask_b32 v137, v41, v137, s1
	v_cndmask_b32_e64 v136, v40, v136, s1
	v_cmp_gt_u32_e64 s1, s11, v87
	v_add_f64_e32 v[32:33], v[32:33], v[128:129]
	v_add_f64_e32 v[30:31], v[30:31], v[126:127]
	;; [unrolled: 1-line block ×3, first 2 shown]
	s_delay_alu instid0(VALU_DEP_4)
	v_dual_add_f64 v[40:41], v[40:41], v[136:137] :: v_dual_cndmask_b32 v143, v47, v143, s1
	v_cndmask_b32_e64 v142, v46, v142, s1
	v_cmp_gt_u32_e64 s1, s11, v90
	v_add_f64_e32 v[26:27], v[26:27], v[122:123]
	v_add_f64_e32 v[24:25], v[24:25], v[120:121]
	;; [unrolled: 1-line block ×3, first 2 shown]
	s_delay_alu instid0(VALU_DEP_4) | instskip(SKIP_4) | instid1(VALU_DEP_3)
	v_dual_add_f64 v[46:47], v[46:47], v[142:143] :: v_dual_cndmask_b32 v149, v53, v149, s1
	v_cndmask_b32_e64 v148, v52, v148, s1
	v_cmp_gt_u32_e64 s1, s11, v94
	v_dual_cndmask_b32 v99, v3, v99, s4 :: v_dual_cndmask_b32 v98, v2, v98, s4
	v_dual_cndmask_b32 v103, v7, v103, s6 :: v_dual_cndmask_b32 v102, v6, v102, s6
	;; [unrolled: 1-line block ×3, first 2 shown]
	v_add_f64_e32 v[52:53], v[52:53], v[148:149]
	v_add_f64_e32 v[20:21], v[20:21], v[116:117]
	;; [unrolled: 1-line block ×12, first 2 shown]
	s_add_co_i32 s0, s14, s11
	s_add_co_i32 s10, s10, -1
	s_and_b32 s11, s0, 0x1fff
	s_cmp_lg_u32 s10, 0
	s_barrier_signal -1
	s_barrier_wait -1
	s_cbranch_scc0 .LBB149_4
.LBB149_2:                              ; =>This Inner Loop Header: Depth=1
	s_wait_kmcnt 0x0
	v_cmp_gt_u32_e64 s0, s11, v1
	s_wait_loadcnt 0x1f
	v_mov_b64_e32 v[66:67], v[64:65]
	s_wait_loadcnt 0x0
	ds_store_b64 v68, v[2:3]
	s_wait_dscnt 0x0
	s_barrier_signal -1
	s_and_b32 s1, vcc_lo, s0
	s_barrier_wait -1
	s_and_saveexec_b32 s0, s1
	s_cbranch_execz .LBB149_1
; %bb.3:                                ;   in Loop: Header=BB149_2 Depth=1
	ds_load_b64 v[66:67], v96
	s_wait_dscnt 0x0
	v_add_f64_e64 v[66:67], v[64:65], -v[66:67]
	s_branch .LBB149_1
.LBB149_4:
	s_add_nc_u64 s[0:1], s[8:9], s[12:13]
	s_clause 0x1f
	global_store_b64 v0, v[64:65], s[0:1] scale_offset
	global_store_b64 v0, v[62:63], s[0:1] offset:2048 scale_offset
	global_store_b64 v0, v[60:61], s[0:1] offset:4096 scale_offset
	;; [unrolled: 1-line block ×31, first 2 shown]
	s_sendmsg sendmsg(MSG_DEALLOC_VGPRS)
	s_endpgm
	.section	.rodata,"a",@progbits
	.p2align	6, 0x0
	.amdhsa_kernel _Z6kernelI26subtract_left_partial_tileLj256ELj32ELb0EJPdPiS1_jEEvDpT3_
		.amdhsa_group_segment_fixed_size 4096
		.amdhsa_private_segment_fixed_size 0
		.amdhsa_kernarg_size 28
		.amdhsa_user_sgpr_count 2
		.amdhsa_user_sgpr_dispatch_ptr 0
		.amdhsa_user_sgpr_queue_ptr 0
		.amdhsa_user_sgpr_kernarg_segment_ptr 1
		.amdhsa_user_sgpr_dispatch_id 0
		.amdhsa_user_sgpr_kernarg_preload_length 0
		.amdhsa_user_sgpr_kernarg_preload_offset 0
		.amdhsa_user_sgpr_private_segment_size 0
		.amdhsa_wavefront_size32 1
		.amdhsa_uses_dynamic_stack 0
		.amdhsa_enable_private_segment 0
		.amdhsa_system_sgpr_workgroup_id_x 1
		.amdhsa_system_sgpr_workgroup_id_y 0
		.amdhsa_system_sgpr_workgroup_id_z 0
		.amdhsa_system_sgpr_workgroup_info 0
		.amdhsa_system_vgpr_workitem_id 0
		.amdhsa_next_free_vgpr 160
		.amdhsa_next_free_sgpr 15
		.amdhsa_named_barrier_count 0
		.amdhsa_reserve_vcc 1
		.amdhsa_float_round_mode_32 0
		.amdhsa_float_round_mode_16_64 0
		.amdhsa_float_denorm_mode_32 3
		.amdhsa_float_denorm_mode_16_64 3
		.amdhsa_fp16_overflow 0
		.amdhsa_memory_ordered 1
		.amdhsa_forward_progress 1
		.amdhsa_inst_pref_size 18
		.amdhsa_round_robin_scheduling 0
		.amdhsa_exception_fp_ieee_invalid_op 0
		.amdhsa_exception_fp_denorm_src 0
		.amdhsa_exception_fp_ieee_div_zero 0
		.amdhsa_exception_fp_ieee_overflow 0
		.amdhsa_exception_fp_ieee_underflow 0
		.amdhsa_exception_fp_ieee_inexact 0
		.amdhsa_exception_int_div_zero 0
	.end_amdhsa_kernel
	.section	.text._Z6kernelI26subtract_left_partial_tileLj256ELj32ELb0EJPdPiS1_jEEvDpT3_,"axG",@progbits,_Z6kernelI26subtract_left_partial_tileLj256ELj32ELb0EJPdPiS1_jEEvDpT3_,comdat
.Lfunc_end149:
	.size	_Z6kernelI26subtract_left_partial_tileLj256ELj32ELb0EJPdPiS1_jEEvDpT3_, .Lfunc_end149-_Z6kernelI26subtract_left_partial_tileLj256ELj32ELb0EJPdPiS1_jEEvDpT3_
                                        ; -- End function
	.set _Z6kernelI26subtract_left_partial_tileLj256ELj32ELb0EJPdPiS1_jEEvDpT3_.num_vgpr, 160
	.set _Z6kernelI26subtract_left_partial_tileLj256ELj32ELb0EJPdPiS1_jEEvDpT3_.num_agpr, 0
	.set _Z6kernelI26subtract_left_partial_tileLj256ELj32ELb0EJPdPiS1_jEEvDpT3_.numbered_sgpr, 15
	.set _Z6kernelI26subtract_left_partial_tileLj256ELj32ELb0EJPdPiS1_jEEvDpT3_.num_named_barrier, 0
	.set _Z6kernelI26subtract_left_partial_tileLj256ELj32ELb0EJPdPiS1_jEEvDpT3_.private_seg_size, 0
	.set _Z6kernelI26subtract_left_partial_tileLj256ELj32ELb0EJPdPiS1_jEEvDpT3_.uses_vcc, 1
	.set _Z6kernelI26subtract_left_partial_tileLj256ELj32ELb0EJPdPiS1_jEEvDpT3_.uses_flat_scratch, 0
	.set _Z6kernelI26subtract_left_partial_tileLj256ELj32ELb0EJPdPiS1_jEEvDpT3_.has_dyn_sized_stack, 0
	.set _Z6kernelI26subtract_left_partial_tileLj256ELj32ELb0EJPdPiS1_jEEvDpT3_.has_recursion, 0
	.set _Z6kernelI26subtract_left_partial_tileLj256ELj32ELb0EJPdPiS1_jEEvDpT3_.has_indirect_call, 0
	.section	.AMDGPU.csdata,"",@progbits
; Kernel info:
; codeLenInByte = 2300
; TotalNumSgprs: 17
; NumVgprs: 160
; ScratchSize: 0
; MemoryBound: 0
; FloatMode: 240
; IeeeMode: 1
; LDSByteSize: 4096 bytes/workgroup (compile time only)
; SGPRBlocks: 0
; VGPRBlocks: 9
; NumSGPRsForWavesPerEU: 17
; NumVGPRsForWavesPerEU: 160
; NamedBarCnt: 0
; Occupancy: 6
; WaveLimiterHint : 1
; COMPUTE_PGM_RSRC2:SCRATCH_EN: 0
; COMPUTE_PGM_RSRC2:USER_SGPR: 2
; COMPUTE_PGM_RSRC2:TRAP_HANDLER: 0
; COMPUTE_PGM_RSRC2:TGID_X_EN: 1
; COMPUTE_PGM_RSRC2:TGID_Y_EN: 0
; COMPUTE_PGM_RSRC2:TGID_Z_EN: 0
; COMPUTE_PGM_RSRC2:TIDIG_COMP_CNT: 0
	.section	.text._Z6kernelI26subtract_left_partial_tileLj256ELj1ELb1EJPiS1_S1_jEEvDpT3_,"axG",@progbits,_Z6kernelI26subtract_left_partial_tileLj256ELj1ELb1EJPiS1_S1_jEEvDpT3_,comdat
	.protected	_Z6kernelI26subtract_left_partial_tileLj256ELj1ELb1EJPiS1_S1_jEEvDpT3_ ; -- Begin function _Z6kernelI26subtract_left_partial_tileLj256ELj1ELb1EJPiS1_S1_jEEvDpT3_
	.globl	_Z6kernelI26subtract_left_partial_tileLj256ELj1ELb1EJPiS1_S1_jEEvDpT3_
	.p2align	8
	.type	_Z6kernelI26subtract_left_partial_tileLj256ELj1ELb1EJPiS1_S1_jEEvDpT3_,@function
_Z6kernelI26subtract_left_partial_tileLj256ELj1ELb1EJPiS1_S1_jEEvDpT3_: ; @_Z6kernelI26subtract_left_partial_tileLj256ELj1ELb1EJPiS1_S1_jEEvDpT3_
; %bb.0:
	s_load_b128 s[8:11], s[0:1], 0x0
	s_bfe_u32 s2, ttmp6, 0x4000c
	s_and_b32 s3, ttmp6, 15
	s_add_co_i32 s2, s2, 1
	s_getreg_b32 s4, hwreg(HW_REG_IB_STS2, 6, 4)
	s_mul_i32 s2, ttmp9, s2
	v_cmp_ne_u32_e32 vcc_lo, 0, v0
	s_add_co_i32 s3, s3, s2
	s_cmp_eq_u32 s4, 0
	s_cselect_b32 s12, ttmp9, s3
	s_mov_b32 s3, 0
	s_lshl_b32 s2, s12, 8
	s_delay_alu instid0(SALU_CYCLE_1)
	s_lshl_b64 s[4:5], s[2:3], 2
	s_wait_xcnt 0x0
	s_load_b96 s[0:2], s[0:1], 0x10
	s_wait_kmcnt 0x0
	s_add_nc_u64 s[6:7], s[8:9], s[4:5]
	global_load_b32 v1, v0, s[6:7] scale_offset
	s_cvt_f32_u32 s3, s2
	s_wait_xcnt 0x0
	s_sub_co_i32 s6, 0, s2
	s_delay_alu instid0(SALU_CYCLE_1) | instskip(SKIP_1) | instid1(TRANS32_DEP_1)
	v_rcp_iflag_f32_e32 v2, s3
	v_nop
	v_readfirstlane_b32 s3, v2
	v_lshlrev_b32_e32 v2, 2, v0
	s_mul_f32 s3, s3, 0x4f7ffffe
	s_delay_alu instid0(VALU_DEP_1) | instskip(NEXT) | instid1(SALU_CYCLE_2)
	v_add_nc_u32_e32 v3, -4, v2
	s_cvt_u32_f32 s3, s3
	s_delay_alu instid0(SALU_CYCLE_3) | instskip(NEXT) | instid1(SALU_CYCLE_1)
	s_mul_i32 s6, s6, s3
	s_mul_hi_u32 s6, s3, s6
	s_delay_alu instid0(SALU_CYCLE_1) | instskip(SKIP_2) | instid1(SALU_CYCLE_1)
	s_add_co_i32 s6, s3, s6
	s_load_b32 s3, s[10:11], s12 offset:0x0 scale_offset
	s_lshr_b32 s7, s6, 24
	s_mul_i32 s6, s7, s2
	s_add_co_i32 s9, s7, 1
	s_sub_co_i32 s8, 0x100, s6
	s_mov_b32 s6, s0
	s_wait_xcnt 0x0
	s_sub_co_i32 s10, s8, s2
	s_cmp_ge_u32 s8, s2
	s_cselect_b32 s0, s9, s7
	s_cselect_b32 s7, s10, s8
	s_add_co_i32 s8, s0, 1
	s_cmp_ge_u32 s7, s2
	s_mov_b32 s7, s1
	s_cselect_b32 s0, s8, s0
	s_delay_alu instid0(SALU_CYCLE_1)
	s_add_co_i32 s1, s0, 1
	s_branch .LBB150_2
.LBB150_1:                              ;   in Loop: Header=BB150_2 Depth=1
	s_or_b32 exec_lo, exec_lo, s0
	s_wait_kmcnt 0x0
	v_cmp_gt_u32_e64 s0, s3, v0
	s_add_co_i32 s2, s2, -1
	s_wait_dscnt 0x0
	s_barrier_signal -1
	s_barrier_wait -1
	v_dual_cndmask_b32 v4, 0, v4, s0 :: v_dual_lshlrev_b32 v1, 1, v1
	s_add_co_i32 s0, s1, s3
	s_delay_alu instid0(SALU_CYCLE_1) | instskip(SKIP_1) | instid1(VALU_DEP_1)
	s_and_b32 s3, s0, 0xff
	s_cmp_lg_u32 s2, 0
	v_sub_nc_u32_e32 v1, v1, v4
	s_cbranch_scc0 .LBB150_4
.LBB150_2:                              ; =>This Inner Loop Header: Depth=1
	v_mov_b32_e32 v4, 0x7b
	s_wait_loadcnt 0x0
	ds_store_b32 v2, v1
	s_wait_dscnt 0x0
	s_barrier_signal -1
	s_barrier_wait -1
	s_and_saveexec_b32 s0, vcc_lo
	s_cbranch_execz .LBB150_1
; %bb.3:                                ;   in Loop: Header=BB150_2 Depth=1
	ds_load_b32 v4, v3
	s_branch .LBB150_1
.LBB150_4:
	s_add_nc_u64 s[0:1], s[6:7], s[4:5]
	global_store_b32 v0, v1, s[0:1] scale_offset
	s_endpgm
	.section	.rodata,"a",@progbits
	.p2align	6, 0x0
	.amdhsa_kernel _Z6kernelI26subtract_left_partial_tileLj256ELj1ELb1EJPiS1_S1_jEEvDpT3_
		.amdhsa_group_segment_fixed_size 2048
		.amdhsa_private_segment_fixed_size 0
		.amdhsa_kernarg_size 28
		.amdhsa_user_sgpr_count 2
		.amdhsa_user_sgpr_dispatch_ptr 0
		.amdhsa_user_sgpr_queue_ptr 0
		.amdhsa_user_sgpr_kernarg_segment_ptr 1
		.amdhsa_user_sgpr_dispatch_id 0
		.amdhsa_user_sgpr_kernarg_preload_length 0
		.amdhsa_user_sgpr_kernarg_preload_offset 0
		.amdhsa_user_sgpr_private_segment_size 0
		.amdhsa_wavefront_size32 1
		.amdhsa_uses_dynamic_stack 0
		.amdhsa_enable_private_segment 0
		.amdhsa_system_sgpr_workgroup_id_x 1
		.amdhsa_system_sgpr_workgroup_id_y 0
		.amdhsa_system_sgpr_workgroup_id_z 0
		.amdhsa_system_sgpr_workgroup_info 0
		.amdhsa_system_vgpr_workitem_id 0
		.amdhsa_next_free_vgpr 5
		.amdhsa_next_free_sgpr 13
		.amdhsa_named_barrier_count 0
		.amdhsa_reserve_vcc 1
		.amdhsa_float_round_mode_32 0
		.amdhsa_float_round_mode_16_64 0
		.amdhsa_float_denorm_mode_32 3
		.amdhsa_float_denorm_mode_16_64 3
		.amdhsa_fp16_overflow 0
		.amdhsa_memory_ordered 1
		.amdhsa_forward_progress 1
		.amdhsa_inst_pref_size 4
		.amdhsa_round_robin_scheduling 0
		.amdhsa_exception_fp_ieee_invalid_op 0
		.amdhsa_exception_fp_denorm_src 0
		.amdhsa_exception_fp_ieee_div_zero 0
		.amdhsa_exception_fp_ieee_overflow 0
		.amdhsa_exception_fp_ieee_underflow 0
		.amdhsa_exception_fp_ieee_inexact 0
		.amdhsa_exception_int_div_zero 0
	.end_amdhsa_kernel
	.section	.text._Z6kernelI26subtract_left_partial_tileLj256ELj1ELb1EJPiS1_S1_jEEvDpT3_,"axG",@progbits,_Z6kernelI26subtract_left_partial_tileLj256ELj1ELb1EJPiS1_S1_jEEvDpT3_,comdat
.Lfunc_end150:
	.size	_Z6kernelI26subtract_left_partial_tileLj256ELj1ELb1EJPiS1_S1_jEEvDpT3_, .Lfunc_end150-_Z6kernelI26subtract_left_partial_tileLj256ELj1ELb1EJPiS1_S1_jEEvDpT3_
                                        ; -- End function
	.set _Z6kernelI26subtract_left_partial_tileLj256ELj1ELb1EJPiS1_S1_jEEvDpT3_.num_vgpr, 5
	.set _Z6kernelI26subtract_left_partial_tileLj256ELj1ELb1EJPiS1_S1_jEEvDpT3_.num_agpr, 0
	.set _Z6kernelI26subtract_left_partial_tileLj256ELj1ELb1EJPiS1_S1_jEEvDpT3_.numbered_sgpr, 13
	.set _Z6kernelI26subtract_left_partial_tileLj256ELj1ELb1EJPiS1_S1_jEEvDpT3_.num_named_barrier, 0
	.set _Z6kernelI26subtract_left_partial_tileLj256ELj1ELb1EJPiS1_S1_jEEvDpT3_.private_seg_size, 0
	.set _Z6kernelI26subtract_left_partial_tileLj256ELj1ELb1EJPiS1_S1_jEEvDpT3_.uses_vcc, 1
	.set _Z6kernelI26subtract_left_partial_tileLj256ELj1ELb1EJPiS1_S1_jEEvDpT3_.uses_flat_scratch, 0
	.set _Z6kernelI26subtract_left_partial_tileLj256ELj1ELb1EJPiS1_S1_jEEvDpT3_.has_dyn_sized_stack, 0
	.set _Z6kernelI26subtract_left_partial_tileLj256ELj1ELb1EJPiS1_S1_jEEvDpT3_.has_recursion, 0
	.set _Z6kernelI26subtract_left_partial_tileLj256ELj1ELb1EJPiS1_S1_jEEvDpT3_.has_indirect_call, 0
	.section	.AMDGPU.csdata,"",@progbits
; Kernel info:
; codeLenInByte = 392
; TotalNumSgprs: 15
; NumVgprs: 5
; ScratchSize: 0
; MemoryBound: 0
; FloatMode: 240
; IeeeMode: 1
; LDSByteSize: 2048 bytes/workgroup (compile time only)
; SGPRBlocks: 0
; VGPRBlocks: 0
; NumSGPRsForWavesPerEU: 15
; NumVGPRsForWavesPerEU: 5
; NamedBarCnt: 0
; Occupancy: 16
; WaveLimiterHint : 0
; COMPUTE_PGM_RSRC2:SCRATCH_EN: 0
; COMPUTE_PGM_RSRC2:USER_SGPR: 2
; COMPUTE_PGM_RSRC2:TRAP_HANDLER: 0
; COMPUTE_PGM_RSRC2:TGID_X_EN: 1
; COMPUTE_PGM_RSRC2:TGID_Y_EN: 0
; COMPUTE_PGM_RSRC2:TGID_Z_EN: 0
; COMPUTE_PGM_RSRC2:TIDIG_COMP_CNT: 0
	.section	.text._Z6kernelI26subtract_left_partial_tileLj256ELj3ELb1EJPiS1_S1_jEEvDpT3_,"axG",@progbits,_Z6kernelI26subtract_left_partial_tileLj256ELj3ELb1EJPiS1_S1_jEEvDpT3_,comdat
	.protected	_Z6kernelI26subtract_left_partial_tileLj256ELj3ELb1EJPiS1_S1_jEEvDpT3_ ; -- Begin function _Z6kernelI26subtract_left_partial_tileLj256ELj3ELb1EJPiS1_S1_jEEvDpT3_
	.globl	_Z6kernelI26subtract_left_partial_tileLj256ELj3ELb1EJPiS1_S1_jEEvDpT3_
	.p2align	8
	.type	_Z6kernelI26subtract_left_partial_tileLj256ELj3ELb1EJPiS1_S1_jEEvDpT3_,@function
_Z6kernelI26subtract_left_partial_tileLj256ELj3ELb1EJPiS1_S1_jEEvDpT3_: ; @_Z6kernelI26subtract_left_partial_tileLj256ELj3ELb1EJPiS1_S1_jEEvDpT3_
; %bb.0:
	s_load_b128 s[8:11], s[0:1], 0x0
	s_bfe_u32 s2, ttmp6, 0x4000c
	s_and_b32 s3, ttmp6, 15
	s_add_co_i32 s2, s2, 1
	s_getreg_b32 s4, hwreg(HW_REG_IB_STS2, 6, 4)
	s_mul_i32 s2, ttmp9, s2
	v_mul_u32_u24_e32 v5, 3, v0
	s_add_co_i32 s3, s3, s2
	s_cmp_eq_u32 s4, 0
	v_mad_u32_u24 v6, v0, 3, 2
	s_cselect_b32 s12, ttmp9, s3
	s_mov_b32 s3, 0
	s_mul_i32 s2, s12, 0x300
	v_mad_u32_u24 v7, v0, 3, 1
	s_lshl_b64 s[4:5], s[2:3], 2
	s_wait_xcnt 0x0
	s_load_b96 s[0:2], s[0:1], 0x10
	v_cmp_ne_u32_e32 vcc_lo, 0, v0
	s_wait_kmcnt 0x0
	s_add_nc_u64 s[6:7], s[8:9], s[4:5]
	s_clause 0x2
	global_load_b32 v1, v0, s[6:7] scale_offset
	global_load_b32 v2, v0, s[6:7] offset:1024 scale_offset
	global_load_b32 v3, v0, s[6:7] offset:2048 scale_offset
	s_cvt_f32_u32 s3, s2
	s_wait_xcnt 0x0
	s_sub_co_i32 s6, 0, s2
	s_delay_alu instid0(SALU_CYCLE_1) | instskip(SKIP_1) | instid1(TRANS32_DEP_1)
	v_rcp_iflag_f32_e32 v4, s3
	v_nop
	v_readfirstlane_b32 s3, v4
	v_lshlrev_b32_e32 v4, 2, v0
	s_mul_f32 s3, s3, 0x4f7ffffe
	s_delay_alu instid0(VALU_DEP_1) | instskip(NEXT) | instid1(SALU_CYCLE_2)
	v_add_nc_u32_e32 v8, -4, v4
	s_cvt_u32_f32 s3, s3
	s_delay_alu instid0(SALU_CYCLE_3) | instskip(NEXT) | instid1(SALU_CYCLE_1)
	s_mul_i32 s6, s6, s3
	s_mul_hi_u32 s6, s3, s6
	s_delay_alu instid0(SALU_CYCLE_1) | instskip(NEXT) | instid1(SALU_CYCLE_1)
	s_add_co_i32 s3, s3, s6
	s_mul_hi_u32 s7, s3, 0x300
	s_load_b32 s3, s[10:11], s12 offset:0x0 scale_offset
	s_mul_i32 s6, s7, s2
	s_add_co_i32 s9, s7, 1
	s_sub_co_i32 s8, 0x300, s6
	s_mov_b32 s6, s0
	s_wait_xcnt 0x0
	s_sub_co_i32 s10, s8, s2
	s_cmp_ge_u32 s8, s2
	s_cselect_b32 s0, s9, s7
	s_cselect_b32 s7, s10, s8
	s_add_co_i32 s8, s0, 1
	s_cmp_ge_u32 s7, s2
	s_mov_b32 s7, s1
	s_cselect_b32 s0, s8, s0
	s_delay_alu instid0(SALU_CYCLE_1)
	s_add_co_i32 s1, s0, 1
	s_branch .LBB151_2
.LBB151_1:                              ;   in Loop: Header=BB151_2 Depth=1
	s_or_b32 exec_lo, exec_lo, s0
	s_wait_kmcnt 0x0
	v_cmp_gt_u32_e64 s0, s3, v5
	v_dual_sub_nc_u32 v10, v2, v1 :: v_dual_sub_nc_u32 v11, v3, v2
	s_add_co_i32 s8, s1, s3
	s_add_co_i32 s2, s2, -1
	s_wait_dscnt 0x0
	v_cndmask_b32_e64 v9, 0, v9, s0
	v_cmp_gt_u32_e64 s0, s3, v7
	s_barrier_signal -1
	s_barrier_wait -1
	s_delay_alu instid0(VALU_DEP_1) | instskip(SKIP_1) | instid1(VALU_DEP_2)
	v_cndmask_b32_e64 v10, v2, v10, s0
	v_cmp_gt_u32_e64 s0, s3, v6
	v_dual_sub_nc_u32 v9, v1, v9 :: v_dual_add_nc_u32 v2, v10, v2
	s_delay_alu instid0(VALU_DEP_2) | instskip(SKIP_1) | instid1(VALU_DEP_2)
	v_cndmask_b32_e64 v11, v3, v11, s0
	s_mul_hi_u32 s0, s8, 0xaaaaaaab
	v_add_nc_u32_e32 v1, v9, v1
	s_lshr_b32 s0, s0, 9
	s_delay_alu instid0(SALU_CYCLE_1)
	s_mulk_i32 s0, 0x300
	v_add_nc_u32_e32 v3, v11, v3
	s_sub_co_i32 s3, s8, s0
	s_cmp_lg_u32 s2, 0
	s_cbranch_scc0 .LBB151_4
.LBB151_2:                              ; =>This Inner Loop Header: Depth=1
	v_mov_b32_e32 v9, 0x7b
	s_wait_loadcnt 0x0
	ds_store_b32 v4, v3
	s_wait_dscnt 0x0
	s_barrier_signal -1
	s_barrier_wait -1
	s_and_saveexec_b32 s0, vcc_lo
	s_cbranch_execz .LBB151_1
; %bb.3:                                ;   in Loop: Header=BB151_2 Depth=1
	ds_load_b32 v9, v8
	s_branch .LBB151_1
.LBB151_4:
	s_add_nc_u64 s[0:1], s[6:7], s[4:5]
	s_clause 0x2
	global_store_b32 v0, v1, s[0:1] scale_offset
	global_store_b32 v0, v2, s[0:1] offset:1024 scale_offset
	global_store_b32 v0, v3, s[0:1] offset:2048 scale_offset
	s_endpgm
	.section	.rodata,"a",@progbits
	.p2align	6, 0x0
	.amdhsa_kernel _Z6kernelI26subtract_left_partial_tileLj256ELj3ELb1EJPiS1_S1_jEEvDpT3_
		.amdhsa_group_segment_fixed_size 2048
		.amdhsa_private_segment_fixed_size 0
		.amdhsa_kernarg_size 28
		.amdhsa_user_sgpr_count 2
		.amdhsa_user_sgpr_dispatch_ptr 0
		.amdhsa_user_sgpr_queue_ptr 0
		.amdhsa_user_sgpr_kernarg_segment_ptr 1
		.amdhsa_user_sgpr_dispatch_id 0
		.amdhsa_user_sgpr_kernarg_preload_length 0
		.amdhsa_user_sgpr_kernarg_preload_offset 0
		.amdhsa_user_sgpr_private_segment_size 0
		.amdhsa_wavefront_size32 1
		.amdhsa_uses_dynamic_stack 0
		.amdhsa_enable_private_segment 0
		.amdhsa_system_sgpr_workgroup_id_x 1
		.amdhsa_system_sgpr_workgroup_id_y 0
		.amdhsa_system_sgpr_workgroup_id_z 0
		.amdhsa_system_sgpr_workgroup_info 0
		.amdhsa_system_vgpr_workitem_id 0
		.amdhsa_next_free_vgpr 12
		.amdhsa_next_free_sgpr 13
		.amdhsa_named_barrier_count 0
		.amdhsa_reserve_vcc 1
		.amdhsa_float_round_mode_32 0
		.amdhsa_float_round_mode_16_64 0
		.amdhsa_float_denorm_mode_32 3
		.amdhsa_float_denorm_mode_16_64 3
		.amdhsa_fp16_overflow 0
		.amdhsa_memory_ordered 1
		.amdhsa_forward_progress 1
		.amdhsa_inst_pref_size 5
		.amdhsa_round_robin_scheduling 0
		.amdhsa_exception_fp_ieee_invalid_op 0
		.amdhsa_exception_fp_denorm_src 0
		.amdhsa_exception_fp_ieee_div_zero 0
		.amdhsa_exception_fp_ieee_overflow 0
		.amdhsa_exception_fp_ieee_underflow 0
		.amdhsa_exception_fp_ieee_inexact 0
		.amdhsa_exception_int_div_zero 0
	.end_amdhsa_kernel
	.section	.text._Z6kernelI26subtract_left_partial_tileLj256ELj3ELb1EJPiS1_S1_jEEvDpT3_,"axG",@progbits,_Z6kernelI26subtract_left_partial_tileLj256ELj3ELb1EJPiS1_S1_jEEvDpT3_,comdat
.Lfunc_end151:
	.size	_Z6kernelI26subtract_left_partial_tileLj256ELj3ELb1EJPiS1_S1_jEEvDpT3_, .Lfunc_end151-_Z6kernelI26subtract_left_partial_tileLj256ELj3ELb1EJPiS1_S1_jEEvDpT3_
                                        ; -- End function
	.set _Z6kernelI26subtract_left_partial_tileLj256ELj3ELb1EJPiS1_S1_jEEvDpT3_.num_vgpr, 12
	.set _Z6kernelI26subtract_left_partial_tileLj256ELj3ELb1EJPiS1_S1_jEEvDpT3_.num_agpr, 0
	.set _Z6kernelI26subtract_left_partial_tileLj256ELj3ELb1EJPiS1_S1_jEEvDpT3_.numbered_sgpr, 13
	.set _Z6kernelI26subtract_left_partial_tileLj256ELj3ELb1EJPiS1_S1_jEEvDpT3_.num_named_barrier, 0
	.set _Z6kernelI26subtract_left_partial_tileLj256ELj3ELb1EJPiS1_S1_jEEvDpT3_.private_seg_size, 0
	.set _Z6kernelI26subtract_left_partial_tileLj256ELj3ELb1EJPiS1_S1_jEEvDpT3_.uses_vcc, 1
	.set _Z6kernelI26subtract_left_partial_tileLj256ELj3ELb1EJPiS1_S1_jEEvDpT3_.uses_flat_scratch, 0
	.set _Z6kernelI26subtract_left_partial_tileLj256ELj3ELb1EJPiS1_S1_jEEvDpT3_.has_dyn_sized_stack, 0
	.set _Z6kernelI26subtract_left_partial_tileLj256ELj3ELb1EJPiS1_S1_jEEvDpT3_.has_recursion, 0
	.set _Z6kernelI26subtract_left_partial_tileLj256ELj3ELb1EJPiS1_S1_jEEvDpT3_.has_indirect_call, 0
	.section	.AMDGPU.csdata,"",@progbits
; Kernel info:
; codeLenInByte = 548
; TotalNumSgprs: 15
; NumVgprs: 12
; ScratchSize: 0
; MemoryBound: 0
; FloatMode: 240
; IeeeMode: 1
; LDSByteSize: 2048 bytes/workgroup (compile time only)
; SGPRBlocks: 0
; VGPRBlocks: 0
; NumSGPRsForWavesPerEU: 15
; NumVGPRsForWavesPerEU: 12
; NamedBarCnt: 0
; Occupancy: 16
; WaveLimiterHint : 1
; COMPUTE_PGM_RSRC2:SCRATCH_EN: 0
; COMPUTE_PGM_RSRC2:USER_SGPR: 2
; COMPUTE_PGM_RSRC2:TRAP_HANDLER: 0
; COMPUTE_PGM_RSRC2:TGID_X_EN: 1
; COMPUTE_PGM_RSRC2:TGID_Y_EN: 0
; COMPUTE_PGM_RSRC2:TGID_Z_EN: 0
; COMPUTE_PGM_RSRC2:TIDIG_COMP_CNT: 0
	.section	.text._Z6kernelI26subtract_left_partial_tileLj256ELj4ELb1EJPiS1_S1_jEEvDpT3_,"axG",@progbits,_Z6kernelI26subtract_left_partial_tileLj256ELj4ELb1EJPiS1_S1_jEEvDpT3_,comdat
	.protected	_Z6kernelI26subtract_left_partial_tileLj256ELj4ELb1EJPiS1_S1_jEEvDpT3_ ; -- Begin function _Z6kernelI26subtract_left_partial_tileLj256ELj4ELb1EJPiS1_S1_jEEvDpT3_
	.globl	_Z6kernelI26subtract_left_partial_tileLj256ELj4ELb1EJPiS1_S1_jEEvDpT3_
	.p2align	8
	.type	_Z6kernelI26subtract_left_partial_tileLj256ELj4ELb1EJPiS1_S1_jEEvDpT3_,@function
_Z6kernelI26subtract_left_partial_tileLj256ELj4ELb1EJPiS1_S1_jEEvDpT3_: ; @_Z6kernelI26subtract_left_partial_tileLj256ELj4ELb1EJPiS1_S1_jEEvDpT3_
; %bb.0:
	s_load_b128 s[8:11], s[0:1], 0x0
	s_bfe_u32 s2, ttmp6, 0x4000c
	s_and_b32 s3, ttmp6, 15
	s_add_co_i32 s2, s2, 1
	s_getreg_b32 s4, hwreg(HW_REG_IB_STS2, 6, 4)
	s_mul_i32 s2, ttmp9, s2
	v_cmp_ne_u32_e32 vcc_lo, 0, v0
	s_add_co_i32 s3, s3, s2
	s_cmp_eq_u32 s4, 0
	s_cselect_b32 s12, ttmp9, s3
	s_mov_b32 s3, 0
	s_lshl_b32 s2, s12, 10
	s_delay_alu instid0(SALU_CYCLE_1)
	s_lshl_b64 s[4:5], s[2:3], 2
	s_wait_xcnt 0x0
	s_load_b96 s[0:2], s[0:1], 0x10
	s_wait_kmcnt 0x0
	s_add_nc_u64 s[6:7], s[8:9], s[4:5]
	s_clause 0x3
	global_load_b32 v1, v0, s[6:7] scale_offset
	global_load_b32 v2, v0, s[6:7] offset:1024 scale_offset
	global_load_b32 v3, v0, s[6:7] offset:2048 scale_offset
	global_load_b32 v4, v0, s[6:7] offset:3072 scale_offset
	s_cvt_f32_u32 s3, s2
	s_wait_xcnt 0x0
	s_sub_co_i32 s6, 0, s2
	s_delay_alu instid0(SALU_CYCLE_1) | instskip(SKIP_1) | instid1(TRANS32_DEP_1)
	v_rcp_iflag_f32_e32 v5, s3
	v_nop
	v_readfirstlane_b32 s3, v5
	v_lshlrev_b32_e32 v5, 2, v0
	s_mul_f32 s3, s3, 0x4f7ffffe
	s_delay_alu instid0(VALU_DEP_1) | instskip(SKIP_1) | instid1(SALU_CYCLE_1)
	v_dual_add_nc_u32 v9, -4, v5 :: v_dual_bitop2_b32 v6, 3, v5 bitop3:0x54
	v_or_b32_e32 v7, 2, v5
	s_cvt_u32_f32 s3, s3
	v_or_b32_e32 v8, 1, v5
	s_delay_alu instid0(SALU_CYCLE_2) | instskip(NEXT) | instid1(SALU_CYCLE_1)
	s_mul_i32 s6, s6, s3
	s_mul_hi_u32 s6, s3, s6
	s_delay_alu instid0(SALU_CYCLE_1) | instskip(SKIP_4) | instid1(SALU_CYCLE_1)
	s_add_co_i32 s3, s3, s6
	s_mov_b32 s6, s0
	s_lshr_b32 s7, s3, 22
	s_load_b32 s3, s[10:11], s12 offset:0x0 scale_offset
	s_mul_i32 s8, s7, s2
	s_sub_co_i32 s0, 0x400, s8
	s_add_co_i32 s8, s7, 1
	s_sub_co_i32 s9, s0, s2
	s_cmp_ge_u32 s0, s2
	s_cselect_b32 s7, s8, s7
	s_cselect_b32 s0, s9, s0
	s_add_co_i32 s8, s7, 1
	s_cmp_ge_u32 s0, s2
	s_cselect_b32 s0, s8, s7
	s_mov_b32 s7, s1
	s_add_co_i32 s1, s0, 1
	s_branch .LBB152_2
.LBB152_1:                              ;   in Loop: Header=BB152_2 Depth=1
	s_or_b32 exec_lo, exec_lo, s0
	s_wait_kmcnt 0x0
	v_cmp_gt_u32_e64 s0, s3, v5
	v_dual_sub_nc_u32 v11, v2, v1 :: v_dual_sub_nc_u32 v12, v4, v3
	v_sub_nc_u32_e32 v13, v3, v2
	s_add_co_i32 s2, s2, -1
	s_wait_dscnt 0x0
	v_cndmask_b32_e64 v10, 0, v10, s0
	v_cmp_gt_u32_e64 s0, s3, v8
	s_barrier_signal -1
	s_barrier_wait -1
	s_delay_alu instid0(VALU_DEP_1) | instskip(SKIP_1) | instid1(VALU_DEP_2)
	v_dual_sub_nc_u32 v10, v1, v10 :: v_dual_cndmask_b32 v11, v2, v11, s0
	v_cmp_gt_u32_e64 s0, s3, v7
	v_dual_add_nc_u32 v1, v10, v1 :: v_dual_add_nc_u32 v2, v11, v2
	s_delay_alu instid0(VALU_DEP_2) | instskip(SKIP_1) | instid1(VALU_DEP_1)
	v_cndmask_b32_e64 v13, v3, v13, s0
	v_cmp_gt_u32_e64 s0, s3, v6
	v_dual_cndmask_b32 v12, v4, v12, s0 :: v_dual_add_nc_u32 v3, v13, v3
	s_add_co_i32 s0, s1, s3
	s_delay_alu instid0(SALU_CYCLE_1) | instskip(NEXT) | instid1(VALU_DEP_1)
	s_and_b32 s3, s0, 0x3ff
	v_add_nc_u32_e32 v4, v12, v4
	s_cmp_lg_u32 s2, 0
	s_cbranch_scc0 .LBB152_4
.LBB152_2:                              ; =>This Inner Loop Header: Depth=1
	v_mov_b32_e32 v10, 0x7b
	s_wait_loadcnt 0x0
	ds_store_b32 v5, v4
	s_wait_dscnt 0x0
	s_barrier_signal -1
	s_barrier_wait -1
	s_and_saveexec_b32 s0, vcc_lo
	s_cbranch_execz .LBB152_1
; %bb.3:                                ;   in Loop: Header=BB152_2 Depth=1
	ds_load_b32 v10, v9
	s_branch .LBB152_1
.LBB152_4:
	s_add_nc_u64 s[0:1], s[6:7], s[4:5]
	s_clause 0x3
	global_store_b32 v0, v1, s[0:1] scale_offset
	global_store_b32 v0, v2, s[0:1] offset:1024 scale_offset
	global_store_b32 v0, v3, s[0:1] offset:2048 scale_offset
	global_store_b32 v0, v4, s[0:1] offset:3072 scale_offset
	s_endpgm
	.section	.rodata,"a",@progbits
	.p2align	6, 0x0
	.amdhsa_kernel _Z6kernelI26subtract_left_partial_tileLj256ELj4ELb1EJPiS1_S1_jEEvDpT3_
		.amdhsa_group_segment_fixed_size 2048
		.amdhsa_private_segment_fixed_size 0
		.amdhsa_kernarg_size 28
		.amdhsa_user_sgpr_count 2
		.amdhsa_user_sgpr_dispatch_ptr 0
		.amdhsa_user_sgpr_queue_ptr 0
		.amdhsa_user_sgpr_kernarg_segment_ptr 1
		.amdhsa_user_sgpr_dispatch_id 0
		.amdhsa_user_sgpr_kernarg_preload_length 0
		.amdhsa_user_sgpr_kernarg_preload_offset 0
		.amdhsa_user_sgpr_private_segment_size 0
		.amdhsa_wavefront_size32 1
		.amdhsa_uses_dynamic_stack 0
		.amdhsa_enable_private_segment 0
		.amdhsa_system_sgpr_workgroup_id_x 1
		.amdhsa_system_sgpr_workgroup_id_y 0
		.amdhsa_system_sgpr_workgroup_id_z 0
		.amdhsa_system_sgpr_workgroup_info 0
		.amdhsa_system_vgpr_workitem_id 0
		.amdhsa_next_free_vgpr 14
		.amdhsa_next_free_sgpr 13
		.amdhsa_named_barrier_count 0
		.amdhsa_reserve_vcc 1
		.amdhsa_float_round_mode_32 0
		.amdhsa_float_round_mode_16_64 0
		.amdhsa_float_denorm_mode_32 3
		.amdhsa_float_denorm_mode_16_64 3
		.amdhsa_fp16_overflow 0
		.amdhsa_memory_ordered 1
		.amdhsa_forward_progress 1
		.amdhsa_inst_pref_size 5
		.amdhsa_round_robin_scheduling 0
		.amdhsa_exception_fp_ieee_invalid_op 0
		.amdhsa_exception_fp_denorm_src 0
		.amdhsa_exception_fp_ieee_div_zero 0
		.amdhsa_exception_fp_ieee_overflow 0
		.amdhsa_exception_fp_ieee_underflow 0
		.amdhsa_exception_fp_ieee_inexact 0
		.amdhsa_exception_int_div_zero 0
	.end_amdhsa_kernel
	.section	.text._Z6kernelI26subtract_left_partial_tileLj256ELj4ELb1EJPiS1_S1_jEEvDpT3_,"axG",@progbits,_Z6kernelI26subtract_left_partial_tileLj256ELj4ELb1EJPiS1_S1_jEEvDpT3_,comdat
.Lfunc_end152:
	.size	_Z6kernelI26subtract_left_partial_tileLj256ELj4ELb1EJPiS1_S1_jEEvDpT3_, .Lfunc_end152-_Z6kernelI26subtract_left_partial_tileLj256ELj4ELb1EJPiS1_S1_jEEvDpT3_
                                        ; -- End function
	.set _Z6kernelI26subtract_left_partial_tileLj256ELj4ELb1EJPiS1_S1_jEEvDpT3_.num_vgpr, 14
	.set _Z6kernelI26subtract_left_partial_tileLj256ELj4ELb1EJPiS1_S1_jEEvDpT3_.num_agpr, 0
	.set _Z6kernelI26subtract_left_partial_tileLj256ELj4ELb1EJPiS1_S1_jEEvDpT3_.numbered_sgpr, 13
	.set _Z6kernelI26subtract_left_partial_tileLj256ELj4ELb1EJPiS1_S1_jEEvDpT3_.num_named_barrier, 0
	.set _Z6kernelI26subtract_left_partial_tileLj256ELj4ELb1EJPiS1_S1_jEEvDpT3_.private_seg_size, 0
	.set _Z6kernelI26subtract_left_partial_tileLj256ELj4ELb1EJPiS1_S1_jEEvDpT3_.uses_vcc, 1
	.set _Z6kernelI26subtract_left_partial_tileLj256ELj4ELb1EJPiS1_S1_jEEvDpT3_.uses_flat_scratch, 0
	.set _Z6kernelI26subtract_left_partial_tileLj256ELj4ELb1EJPiS1_S1_jEEvDpT3_.has_dyn_sized_stack, 0
	.set _Z6kernelI26subtract_left_partial_tileLj256ELj4ELb1EJPiS1_S1_jEEvDpT3_.has_recursion, 0
	.set _Z6kernelI26subtract_left_partial_tileLj256ELj4ELb1EJPiS1_S1_jEEvDpT3_.has_indirect_call, 0
	.section	.AMDGPU.csdata,"",@progbits
; Kernel info:
; codeLenInByte = 568
; TotalNumSgprs: 15
; NumVgprs: 14
; ScratchSize: 0
; MemoryBound: 0
; FloatMode: 240
; IeeeMode: 1
; LDSByteSize: 2048 bytes/workgroup (compile time only)
; SGPRBlocks: 0
; VGPRBlocks: 0
; NumSGPRsForWavesPerEU: 15
; NumVGPRsForWavesPerEU: 14
; NamedBarCnt: 0
; Occupancy: 16
; WaveLimiterHint : 1
; COMPUTE_PGM_RSRC2:SCRATCH_EN: 0
; COMPUTE_PGM_RSRC2:USER_SGPR: 2
; COMPUTE_PGM_RSRC2:TRAP_HANDLER: 0
; COMPUTE_PGM_RSRC2:TGID_X_EN: 1
; COMPUTE_PGM_RSRC2:TGID_Y_EN: 0
; COMPUTE_PGM_RSRC2:TGID_Z_EN: 0
; COMPUTE_PGM_RSRC2:TIDIG_COMP_CNT: 0
	.section	.text._Z6kernelI26subtract_left_partial_tileLj256ELj8ELb1EJPiS1_S1_jEEvDpT3_,"axG",@progbits,_Z6kernelI26subtract_left_partial_tileLj256ELj8ELb1EJPiS1_S1_jEEvDpT3_,comdat
	.protected	_Z6kernelI26subtract_left_partial_tileLj256ELj8ELb1EJPiS1_S1_jEEvDpT3_ ; -- Begin function _Z6kernelI26subtract_left_partial_tileLj256ELj8ELb1EJPiS1_S1_jEEvDpT3_
	.globl	_Z6kernelI26subtract_left_partial_tileLj256ELj8ELb1EJPiS1_S1_jEEvDpT3_
	.p2align	8
	.type	_Z6kernelI26subtract_left_partial_tileLj256ELj8ELb1EJPiS1_S1_jEEvDpT3_,@function
_Z6kernelI26subtract_left_partial_tileLj256ELj8ELb1EJPiS1_S1_jEEvDpT3_: ; @_Z6kernelI26subtract_left_partial_tileLj256ELj8ELb1EJPiS1_S1_jEEvDpT3_
; %bb.0:
	s_load_b128 s[4:7], s[0:1], 0x0
	s_bfe_u32 s2, ttmp6, 0x4000c
	s_and_b32 s3, ttmp6, 15
	s_add_co_i32 s2, s2, 1
	s_getreg_b32 s8, hwreg(HW_REG_IB_STS2, 6, 4)
	s_mul_i32 s2, ttmp9, s2
	v_cmp_ne_u32_e32 vcc_lo, 0, v0
	s_add_co_i32 s3, s3, s2
	s_cmp_eq_u32 s8, 0
	v_lshlrev_b32_e32 v10, 2, v0
	s_cselect_b32 s10, ttmp9, s3
	s_mov_b32 s3, 0
	s_lshl_b32 s2, s10, 11
	s_delay_alu instid0(SALU_CYCLE_1)
	s_lshl_b64 s[8:9], s[2:3], 2
	s_wait_xcnt 0x0
	s_load_b96 s[0:2], s[0:1], 0x10
	v_add_nc_u32_e32 v18, -4, v10
	s_wait_kmcnt 0x0
	s_add_nc_u64 s[4:5], s[4:5], s[8:9]
	s_clause 0x7
	global_load_b32 v1, v0, s[4:5] scale_offset
	global_load_b32 v2, v0, s[4:5] offset:1024 scale_offset
	global_load_b32 v3, v0, s[4:5] offset:2048 scale_offset
	;; [unrolled: 1-line block ×7, first 2 shown]
	s_cvt_f32_u32 s3, s2
	s_wait_xcnt 0x0
	s_sub_co_i32 s4, 0, s2
	s_delay_alu instid0(SALU_CYCLE_1) | instskip(SKIP_1) | instid1(TRANS32_DEP_1)
	v_rcp_iflag_f32_e32 v9, s3
	v_nop
	v_readfirstlane_b32 s3, v9
	v_lshlrev_b32_e32 v9, 3, v0
	s_mul_f32 s3, s3, 0x4f7ffffe
	s_delay_alu instid0(VALU_DEP_1)
	v_or_b32_e32 v11, 7, v9
	v_or_b32_e32 v12, 6, v9
	;; [unrolled: 1-line block ×3, first 2 shown]
	s_cvt_u32_f32 s3, s3
	v_or_b32_e32 v14, 4, v9
	v_or_b32_e32 v15, 3, v9
	;; [unrolled: 1-line block ×3, first 2 shown]
	s_mul_i32 s4, s4, s3
	v_or_b32_e32 v17, 1, v9
	s_mul_hi_u32 s4, s3, s4
	s_delay_alu instid0(SALU_CYCLE_1) | instskip(SKIP_2) | instid1(SALU_CYCLE_1)
	s_add_co_i32 s3, s3, s4
	s_mov_b32 s4, s0
	s_lshr_b32 s5, s3, 21
	s_mul_i32 s3, s5, s2
	s_add_co_i32 s11, s5, 1
	s_sub_co_i32 s0, 0x800, s3
	s_load_b32 s3, s[6:7], s10 offset:0x0 scale_offset
	s_sub_co_i32 s12, s0, s2
	s_cmp_ge_u32 s0, s2
	s_cselect_b32 s5, s11, s5
	s_cselect_b32 s0, s12, s0
	s_wait_xcnt 0x0
	s_add_co_i32 s6, s5, 1
	s_cmp_ge_u32 s0, s2
	s_cselect_b32 s0, s6, s5
	s_mov_b32 s5, s1
	s_add_co_i32 s1, s0, 1
	s_branch .LBB153_2
.LBB153_1:                              ;   in Loop: Header=BB153_2 Depth=1
	s_or_b32 exec_lo, exec_lo, s0
	s_wait_kmcnt 0x0
	v_cmp_gt_u32_e64 s0, s3, v11
	s_add_co_i32 s2, s2, -1
	s_wait_dscnt 0x0
	s_barrier_signal -1
	s_barrier_wait -1
	v_cndmask_b32_e64 v20, 0, v7, s0
	v_cmp_gt_u32_e64 s0, s3, v12
	s_delay_alu instid0(VALU_DEP_1) | instskip(SKIP_1) | instid1(VALU_DEP_1)
	v_cndmask_b32_e64 v21, 0, v6, s0
	v_cmp_gt_u32_e64 s0, s3, v13
	v_dual_sub_nc_u32 v20, v8, v20 :: v_dual_cndmask_b32 v22, 0, v5, s0
	v_cmp_gt_u32_e64 s0, s3, v15
	s_delay_alu instid0(VALU_DEP_2) | instskip(NEXT) | instid1(VALU_DEP_2)
	v_dual_sub_nc_u32 v21, v7, v21 :: v_dual_add_nc_u32 v8, v20, v8
	v_dual_sub_nc_u32 v22, v6, v22 :: v_dual_cndmask_b32 v23, 0, v3, s0
	v_cmp_gt_u32_e64 s0, s3, v17
	s_delay_alu instid0(VALU_DEP_2) | instskip(NEXT) | instid1(VALU_DEP_2)
	v_dual_add_nc_u32 v7, v21, v7 :: v_dual_add_nc_u32 v6, v22, v6
	v_cndmask_b32_e64 v24, 0, v1, s0
	v_cmp_gt_u32_e64 s0, s3, v9
	s_delay_alu instid0(VALU_DEP_1) | instskip(SKIP_1) | instid1(VALU_DEP_1)
	v_cndmask_b32_e64 v19, 0, v19, s0
	v_cmp_gt_u32_e64 s0, s3, v16
	v_cndmask_b32_e64 v25, 0, v2, s0
	v_cmp_gt_u32_e64 s0, s3, v14
	s_delay_alu instid0(VALU_DEP_4) | instskip(NEXT) | instid1(VALU_DEP_2)
	v_dual_sub_nc_u32 v19, v1, v19 :: v_dual_sub_nc_u32 v24, v2, v24
	v_dual_sub_nc_u32 v25, v3, v25 :: v_dual_cndmask_b32 v26, 0, v4, s0
	s_delay_alu instid0(VALU_DEP_2) | instskip(NEXT) | instid1(VALU_DEP_3)
	v_dual_sub_nc_u32 v23, v4, v23 :: v_dual_add_nc_u32 v1, v19, v1
	v_add_nc_u32_e32 v2, v24, v2
	s_add_co_i32 s0, s1, s3
	s_delay_alu instid0(VALU_DEP_3) | instskip(NEXT) | instid1(VALU_DEP_3)
	v_sub_nc_u32_e32 v26, v5, v26
	v_dual_add_nc_u32 v3, v25, v3 :: v_dual_add_nc_u32 v4, v23, v4
	s_and_b32 s3, s0, 0x7ff
	s_cmp_lg_u32 s2, 0
	s_delay_alu instid0(VALU_DEP_2)
	v_add_nc_u32_e32 v5, v26, v5
	s_cbranch_scc0 .LBB153_4
.LBB153_2:                              ; =>This Inner Loop Header: Depth=1
	v_mov_b32_e32 v19, 0x7b
	s_wait_loadcnt 0x0
	ds_store_b32 v10, v8
	s_wait_dscnt 0x0
	s_barrier_signal -1
	s_barrier_wait -1
	s_and_saveexec_b32 s0, vcc_lo
	s_cbranch_execz .LBB153_1
; %bb.3:                                ;   in Loop: Header=BB153_2 Depth=1
	ds_load_b32 v19, v18
	s_branch .LBB153_1
.LBB153_4:
	s_add_nc_u64 s[0:1], s[4:5], s[8:9]
	s_clause 0x7
	global_store_b32 v0, v1, s[0:1] scale_offset
	global_store_b32 v0, v2, s[0:1] offset:1024 scale_offset
	global_store_b32 v0, v3, s[0:1] offset:2048 scale_offset
	;; [unrolled: 1-line block ×7, first 2 shown]
	s_endpgm
	.section	.rodata,"a",@progbits
	.p2align	6, 0x0
	.amdhsa_kernel _Z6kernelI26subtract_left_partial_tileLj256ELj8ELb1EJPiS1_S1_jEEvDpT3_
		.amdhsa_group_segment_fixed_size 2048
		.amdhsa_private_segment_fixed_size 0
		.amdhsa_kernarg_size 28
		.amdhsa_user_sgpr_count 2
		.amdhsa_user_sgpr_dispatch_ptr 0
		.amdhsa_user_sgpr_queue_ptr 0
		.amdhsa_user_sgpr_kernarg_segment_ptr 1
		.amdhsa_user_sgpr_dispatch_id 0
		.amdhsa_user_sgpr_kernarg_preload_length 0
		.amdhsa_user_sgpr_kernarg_preload_offset 0
		.amdhsa_user_sgpr_private_segment_size 0
		.amdhsa_wavefront_size32 1
		.amdhsa_uses_dynamic_stack 0
		.amdhsa_enable_private_segment 0
		.amdhsa_system_sgpr_workgroup_id_x 1
		.amdhsa_system_sgpr_workgroup_id_y 0
		.amdhsa_system_sgpr_workgroup_id_z 0
		.amdhsa_system_sgpr_workgroup_info 0
		.amdhsa_system_vgpr_workitem_id 0
		.amdhsa_next_free_vgpr 27
		.amdhsa_next_free_sgpr 13
		.amdhsa_named_barrier_count 0
		.amdhsa_reserve_vcc 1
		.amdhsa_float_round_mode_32 0
		.amdhsa_float_round_mode_16_64 0
		.amdhsa_float_denorm_mode_32 3
		.amdhsa_float_denorm_mode_16_64 3
		.amdhsa_fp16_overflow 0
		.amdhsa_memory_ordered 1
		.amdhsa_forward_progress 1
		.amdhsa_inst_pref_size 7
		.amdhsa_round_robin_scheduling 0
		.amdhsa_exception_fp_ieee_invalid_op 0
		.amdhsa_exception_fp_denorm_src 0
		.amdhsa_exception_fp_ieee_div_zero 0
		.amdhsa_exception_fp_ieee_overflow 0
		.amdhsa_exception_fp_ieee_underflow 0
		.amdhsa_exception_fp_ieee_inexact 0
		.amdhsa_exception_int_div_zero 0
	.end_amdhsa_kernel
	.section	.text._Z6kernelI26subtract_left_partial_tileLj256ELj8ELb1EJPiS1_S1_jEEvDpT3_,"axG",@progbits,_Z6kernelI26subtract_left_partial_tileLj256ELj8ELb1EJPiS1_S1_jEEvDpT3_,comdat
.Lfunc_end153:
	.size	_Z6kernelI26subtract_left_partial_tileLj256ELj8ELb1EJPiS1_S1_jEEvDpT3_, .Lfunc_end153-_Z6kernelI26subtract_left_partial_tileLj256ELj8ELb1EJPiS1_S1_jEEvDpT3_
                                        ; -- End function
	.set _Z6kernelI26subtract_left_partial_tileLj256ELj8ELb1EJPiS1_S1_jEEvDpT3_.num_vgpr, 27
	.set _Z6kernelI26subtract_left_partial_tileLj256ELj8ELb1EJPiS1_S1_jEEvDpT3_.num_agpr, 0
	.set _Z6kernelI26subtract_left_partial_tileLj256ELj8ELb1EJPiS1_S1_jEEvDpT3_.numbered_sgpr, 13
	.set _Z6kernelI26subtract_left_partial_tileLj256ELj8ELb1EJPiS1_S1_jEEvDpT3_.num_named_barrier, 0
	.set _Z6kernelI26subtract_left_partial_tileLj256ELj8ELb1EJPiS1_S1_jEEvDpT3_.private_seg_size, 0
	.set _Z6kernelI26subtract_left_partial_tileLj256ELj8ELb1EJPiS1_S1_jEEvDpT3_.uses_vcc, 1
	.set _Z6kernelI26subtract_left_partial_tileLj256ELj8ELb1EJPiS1_S1_jEEvDpT3_.uses_flat_scratch, 0
	.set _Z6kernelI26subtract_left_partial_tileLj256ELj8ELb1EJPiS1_S1_jEEvDpT3_.has_dyn_sized_stack, 0
	.set _Z6kernelI26subtract_left_partial_tileLj256ELj8ELb1EJPiS1_S1_jEEvDpT3_.has_recursion, 0
	.set _Z6kernelI26subtract_left_partial_tileLj256ELj8ELb1EJPiS1_S1_jEEvDpT3_.has_indirect_call, 0
	.section	.AMDGPU.csdata,"",@progbits
; Kernel info:
; codeLenInByte = 808
; TotalNumSgprs: 15
; NumVgprs: 27
; ScratchSize: 0
; MemoryBound: 0
; FloatMode: 240
; IeeeMode: 1
; LDSByteSize: 2048 bytes/workgroup (compile time only)
; SGPRBlocks: 0
; VGPRBlocks: 1
; NumSGPRsForWavesPerEU: 15
; NumVGPRsForWavesPerEU: 27
; NamedBarCnt: 0
; Occupancy: 16
; WaveLimiterHint : 1
; COMPUTE_PGM_RSRC2:SCRATCH_EN: 0
; COMPUTE_PGM_RSRC2:USER_SGPR: 2
; COMPUTE_PGM_RSRC2:TRAP_HANDLER: 0
; COMPUTE_PGM_RSRC2:TGID_X_EN: 1
; COMPUTE_PGM_RSRC2:TGID_Y_EN: 0
; COMPUTE_PGM_RSRC2:TGID_Z_EN: 0
; COMPUTE_PGM_RSRC2:TIDIG_COMP_CNT: 0
	.section	.text._Z6kernelI26subtract_left_partial_tileLj256ELj16ELb1EJPiS1_S1_jEEvDpT3_,"axG",@progbits,_Z6kernelI26subtract_left_partial_tileLj256ELj16ELb1EJPiS1_S1_jEEvDpT3_,comdat
	.protected	_Z6kernelI26subtract_left_partial_tileLj256ELj16ELb1EJPiS1_S1_jEEvDpT3_ ; -- Begin function _Z6kernelI26subtract_left_partial_tileLj256ELj16ELb1EJPiS1_S1_jEEvDpT3_
	.globl	_Z6kernelI26subtract_left_partial_tileLj256ELj16ELb1EJPiS1_S1_jEEvDpT3_
	.p2align	8
	.type	_Z6kernelI26subtract_left_partial_tileLj256ELj16ELb1EJPiS1_S1_jEEvDpT3_,@function
_Z6kernelI26subtract_left_partial_tileLj256ELj16ELb1EJPiS1_S1_jEEvDpT3_: ; @_Z6kernelI26subtract_left_partial_tileLj256ELj16ELb1EJPiS1_S1_jEEvDpT3_
; %bb.0:
	s_load_b128 s[4:7], s[0:1], 0x0
	s_bfe_u32 s2, ttmp6, 0x4000c
	s_and_b32 s3, ttmp6, 15
	s_add_co_i32 s2, s2, 1
	s_getreg_b32 s8, hwreg(HW_REG_IB_STS2, 6, 4)
	s_mul_i32 s2, ttmp9, s2
	v_cmp_ne_u32_e32 vcc_lo, 0, v0
	s_add_co_i32 s3, s3, s2
	s_cmp_eq_u32 s8, 0
	v_lshlrev_b32_e32 v18, 2, v0
	s_cselect_b32 s10, ttmp9, s3
	s_mov_b32 s3, 0
	s_lshl_b32 s2, s10, 12
	s_delay_alu instid0(SALU_CYCLE_1)
	s_lshl_b64 s[8:9], s[2:3], 2
	s_wait_xcnt 0x0
	s_load_b96 s[0:2], s[0:1], 0x10
	v_add_nc_u32_e32 v34, -4, v18
	s_wait_kmcnt 0x0
	s_add_nc_u64 s[4:5], s[4:5], s[8:9]
	s_clause 0xf
	global_load_b32 v15, v0, s[4:5] scale_offset
	global_load_b32 v14, v0, s[4:5] offset:1024 scale_offset
	global_load_b32 v13, v0, s[4:5] offset:2048 scale_offset
	;; [unrolled: 1-line block ×15, first 2 shown]
	s_cvt_f32_u32 s3, s2
	s_wait_xcnt 0x0
	s_sub_co_i32 s4, 0, s2
	s_delay_alu instid0(SALU_CYCLE_1) | instskip(SKIP_1) | instid1(TRANS32_DEP_1)
	v_rcp_iflag_f32_e32 v17, s3
	v_nop
	v_readfirstlane_b32 s3, v17
	v_lshlrev_b32_e32 v17, 4, v0
	s_mul_f32 s3, s3, 0x4f7ffffe
	s_delay_alu instid0(VALU_DEP_1)
	v_or_b32_e32 v19, 15, v17
	v_or_b32_e32 v20, 14, v17
	;; [unrolled: 1-line block ×3, first 2 shown]
	s_cvt_u32_f32 s3, s3
	v_or_b32_e32 v22, 12, v17
	v_or_b32_e32 v23, 11, v17
	;; [unrolled: 1-line block ×3, first 2 shown]
	s_mul_i32 s4, s4, s3
	v_or_b32_e32 v25, 9, v17
	s_mul_hi_u32 s4, s3, s4
	v_or_b32_e32 v26, 8, v17
	s_add_co_i32 s3, s3, s4
	s_mov_b32 s4, s0
	s_lshr_b32 s5, s3, 20
	v_or_b32_e32 v27, 7, v17
	s_mul_i32 s3, s5, s2
	s_add_co_i32 s11, s5, 1
	s_sub_co_i32 s0, 0x1000, s3
	s_load_b32 s3, s[6:7], s10 offset:0x0 scale_offset
	s_sub_co_i32 s12, s0, s2
	s_cmp_ge_u32 s0, s2
	v_or_b32_e32 v28, 6, v17
	s_cselect_b32 s5, s11, s5
	s_cselect_b32 s0, s12, s0
	s_wait_xcnt 0x0
	s_add_co_i32 s6, s5, 1
	s_cmp_ge_u32 s0, s2
	v_or_b32_e32 v29, 5, v17
	v_or_b32_e32 v30, 4, v17
	;; [unrolled: 1-line block ×5, first 2 shown]
	s_cselect_b32 s0, s6, s5
	s_mov_b32 s5, s1
	s_add_co_i32 s1, s0, 1
	s_branch .LBB154_2
.LBB154_1:                              ;   in Loop: Header=BB154_2 Depth=1
	s_or_b32 exec_lo, exec_lo, s0
	s_wait_kmcnt 0x0
	v_cmp_gt_u32_e64 s0, s3, v19
	s_add_co_i32 s2, s2, -1
	s_wait_dscnt 0x0
	s_barrier_signal -1
	s_barrier_wait -1
	v_cndmask_b32_e64 v36, 0, v1, s0
	v_cmp_gt_u32_e64 s0, s3, v20
	s_delay_alu instid0(VALU_DEP_1) | instskip(SKIP_1) | instid1(VALU_DEP_2)
	v_cndmask_b32_e64 v37, 0, v2, s0
	v_cmp_gt_u32_e64 s0, s3, v21
	v_dual_sub_nc_u32 v36, v16, v36 :: v_dual_sub_nc_u32 v37, v1, v37
	s_delay_alu instid0(VALU_DEP_2) | instskip(SKIP_1) | instid1(VALU_DEP_3)
	v_cndmask_b32_e64 v38, 0, v3, s0
	v_cmp_gt_u32_e64 s0, s3, v22
	v_dual_add_nc_u32 v16, v36, v16 :: v_dual_add_nc_u32 v1, v37, v1
	s_delay_alu instid0(VALU_DEP_2) | instskip(SKIP_1) | instid1(VALU_DEP_1)
	v_cndmask_b32_e64 v39, 0, v4, s0
	v_cmp_gt_u32_e64 s0, s3, v23
	v_cndmask_b32_e64 v40, 0, v5, s0
	v_cmp_gt_u32_e64 s0, s3, v24
	s_delay_alu instid0(VALU_DEP_4) | instskip(NEXT) | instid1(VALU_DEP_2)
	v_dual_sub_nc_u32 v38, v2, v38 :: v_dual_sub_nc_u32 v39, v3, v39
	v_cndmask_b32_e64 v41, 0, v6, s0
	v_cmp_gt_u32_e64 s0, s3, v25
	s_delay_alu instid0(VALU_DEP_3) | instskip(NEXT) | instid1(VALU_DEP_3)
	v_dual_sub_nc_u32 v40, v4, v40 :: v_dual_add_nc_u32 v3, v39, v3
	v_dual_add_nc_u32 v2, v38, v2 :: v_dual_sub_nc_u32 v41, v5, v41
	s_delay_alu instid0(VALU_DEP_3) | instskip(SKIP_1) | instid1(VALU_DEP_3)
	v_cndmask_b32_e64 v42, 0, v7, s0
	v_cmp_gt_u32_e64 s0, s3, v26
	v_dual_add_nc_u32 v4, v40, v4 :: v_dual_add_nc_u32 v5, v41, v5
	s_delay_alu instid0(VALU_DEP_2) | instskip(SKIP_1) | instid1(VALU_DEP_1)
	v_cndmask_b32_e64 v43, 0, v8, s0
	v_cmp_gt_u32_e64 s0, s3, v27
	v_dual_sub_nc_u32 v42, v6, v42 :: v_dual_cndmask_b32 v44, 0, v9, s0
	v_cmp_gt_u32_e64 s0, s3, v28
	s_delay_alu instid0(VALU_DEP_2) | instskip(NEXT) | instid1(VALU_DEP_2)
	v_add_nc_u32_e32 v6, v42, v6
	v_cndmask_b32_e64 v45, 0, v10, s0
	v_cmp_gt_u32_e64 s0, s3, v29
	v_dual_sub_nc_u32 v43, v7, v43 :: v_dual_sub_nc_u32 v44, v8, v44
	s_delay_alu instid0(VALU_DEP_2) | instskip(SKIP_1) | instid1(VALU_DEP_3)
	v_cndmask_b32_e64 v46, 0, v11, s0
	v_cmp_gt_u32_e64 s0, s3, v31
	v_dual_sub_nc_u32 v45, v9, v45 :: v_dual_add_nc_u32 v8, v44, v8
	s_delay_alu instid0(VALU_DEP_3) | instskip(NEXT) | instid1(VALU_DEP_3)
	v_dual_add_nc_u32 v7, v43, v7 :: v_dual_sub_nc_u32 v46, v10, v46
	v_cndmask_b32_e64 v47, 0, v13, s0
	v_cmp_gt_u32_e64 s0, s3, v33
	s_delay_alu instid0(VALU_DEP_3) | instskip(NEXT) | instid1(VALU_DEP_2)
	v_dual_add_nc_u32 v9, v45, v9 :: v_dual_add_nc_u32 v10, v46, v10
	v_cndmask_b32_e64 v48, 0, v15, s0
	v_cmp_gt_u32_e64 s0, s3, v17
	s_delay_alu instid0(VALU_DEP_1) | instskip(SKIP_1) | instid1(VALU_DEP_1)
	v_cndmask_b32_e64 v35, 0, v35, s0
	v_cmp_gt_u32_e64 s0, s3, v32
	v_cndmask_b32_e64 v49, 0, v14, s0
	v_cmp_gt_u32_e64 s0, s3, v30
	s_delay_alu instid0(VALU_DEP_4) | instskip(NEXT) | instid1(VALU_DEP_2)
	v_dual_sub_nc_u32 v35, v15, v35 :: v_dual_sub_nc_u32 v48, v14, v48
	v_dual_sub_nc_u32 v49, v13, v49 :: v_dual_cndmask_b32 v50, 0, v12, s0
	v_sub_nc_u32_e32 v47, v12, v47
	s_delay_alu instid0(VALU_DEP_3) | instskip(SKIP_1) | instid1(VALU_DEP_3)
	v_dual_add_nc_u32 v15, v35, v15 :: v_dual_add_nc_u32 v14, v48, v14
	s_add_co_i32 s0, s1, s3
	v_dual_sub_nc_u32 v50, v11, v50 :: v_dual_add_nc_u32 v13, v49, v13
	s_delay_alu instid0(VALU_DEP_3) | instskip(SKIP_2) | instid1(VALU_DEP_2)
	v_add_nc_u32_e32 v12, v47, v12
	s_and_b32 s3, s0, 0xfff
	s_cmp_lg_u32 s2, 0
	v_add_nc_u32_e32 v11, v50, v11
	s_cbranch_scc0 .LBB154_4
.LBB154_2:                              ; =>This Inner Loop Header: Depth=1
	v_mov_b32_e32 v35, 0x7b
	s_wait_loadcnt 0x0
	ds_store_b32 v18, v16
	s_wait_dscnt 0x0
	s_barrier_signal -1
	s_barrier_wait -1
	s_and_saveexec_b32 s0, vcc_lo
	s_cbranch_execz .LBB154_1
; %bb.3:                                ;   in Loop: Header=BB154_2 Depth=1
	ds_load_b32 v35, v34
	s_branch .LBB154_1
.LBB154_4:
	s_add_nc_u64 s[0:1], s[4:5], s[8:9]
	s_clause 0xf
	global_store_b32 v0, v15, s[0:1] scale_offset
	global_store_b32 v0, v14, s[0:1] offset:1024 scale_offset
	global_store_b32 v0, v13, s[0:1] offset:2048 scale_offset
	;; [unrolled: 1-line block ×15, first 2 shown]
	s_endpgm
	.section	.rodata,"a",@progbits
	.p2align	6, 0x0
	.amdhsa_kernel _Z6kernelI26subtract_left_partial_tileLj256ELj16ELb1EJPiS1_S1_jEEvDpT3_
		.amdhsa_group_segment_fixed_size 2048
		.amdhsa_private_segment_fixed_size 0
		.amdhsa_kernarg_size 28
		.amdhsa_user_sgpr_count 2
		.amdhsa_user_sgpr_dispatch_ptr 0
		.amdhsa_user_sgpr_queue_ptr 0
		.amdhsa_user_sgpr_kernarg_segment_ptr 1
		.amdhsa_user_sgpr_dispatch_id 0
		.amdhsa_user_sgpr_kernarg_preload_length 0
		.amdhsa_user_sgpr_kernarg_preload_offset 0
		.amdhsa_user_sgpr_private_segment_size 0
		.amdhsa_wavefront_size32 1
		.amdhsa_uses_dynamic_stack 0
		.amdhsa_enable_private_segment 0
		.amdhsa_system_sgpr_workgroup_id_x 1
		.amdhsa_system_sgpr_workgroup_id_y 0
		.amdhsa_system_sgpr_workgroup_id_z 0
		.amdhsa_system_sgpr_workgroup_info 0
		.amdhsa_system_vgpr_workitem_id 0
		.amdhsa_next_free_vgpr 51
		.amdhsa_next_free_sgpr 13
		.amdhsa_named_barrier_count 0
		.amdhsa_reserve_vcc 1
		.amdhsa_float_round_mode_32 0
		.amdhsa_float_round_mode_16_64 0
		.amdhsa_float_denorm_mode_32 3
		.amdhsa_float_denorm_mode_16_64 3
		.amdhsa_fp16_overflow 0
		.amdhsa_memory_ordered 1
		.amdhsa_forward_progress 1
		.amdhsa_inst_pref_size 10
		.amdhsa_round_robin_scheduling 0
		.amdhsa_exception_fp_ieee_invalid_op 0
		.amdhsa_exception_fp_denorm_src 0
		.amdhsa_exception_fp_ieee_div_zero 0
		.amdhsa_exception_fp_ieee_overflow 0
		.amdhsa_exception_fp_ieee_underflow 0
		.amdhsa_exception_fp_ieee_inexact 0
		.amdhsa_exception_int_div_zero 0
	.end_amdhsa_kernel
	.section	.text._Z6kernelI26subtract_left_partial_tileLj256ELj16ELb1EJPiS1_S1_jEEvDpT3_,"axG",@progbits,_Z6kernelI26subtract_left_partial_tileLj256ELj16ELb1EJPiS1_S1_jEEvDpT3_,comdat
.Lfunc_end154:
	.size	_Z6kernelI26subtract_left_partial_tileLj256ELj16ELb1EJPiS1_S1_jEEvDpT3_, .Lfunc_end154-_Z6kernelI26subtract_left_partial_tileLj256ELj16ELb1EJPiS1_S1_jEEvDpT3_
                                        ; -- End function
	.set _Z6kernelI26subtract_left_partial_tileLj256ELj16ELb1EJPiS1_S1_jEEvDpT3_.num_vgpr, 51
	.set _Z6kernelI26subtract_left_partial_tileLj256ELj16ELb1EJPiS1_S1_jEEvDpT3_.num_agpr, 0
	.set _Z6kernelI26subtract_left_partial_tileLj256ELj16ELb1EJPiS1_S1_jEEvDpT3_.numbered_sgpr, 13
	.set _Z6kernelI26subtract_left_partial_tileLj256ELj16ELb1EJPiS1_S1_jEEvDpT3_.num_named_barrier, 0
	.set _Z6kernelI26subtract_left_partial_tileLj256ELj16ELb1EJPiS1_S1_jEEvDpT3_.private_seg_size, 0
	.set _Z6kernelI26subtract_left_partial_tileLj256ELj16ELb1EJPiS1_S1_jEEvDpT3_.uses_vcc, 1
	.set _Z6kernelI26subtract_left_partial_tileLj256ELj16ELb1EJPiS1_S1_jEEvDpT3_.uses_flat_scratch, 0
	.set _Z6kernelI26subtract_left_partial_tileLj256ELj16ELb1EJPiS1_S1_jEEvDpT3_.has_dyn_sized_stack, 0
	.set _Z6kernelI26subtract_left_partial_tileLj256ELj16ELb1EJPiS1_S1_jEEvDpT3_.has_recursion, 0
	.set _Z6kernelI26subtract_left_partial_tileLj256ELj16ELb1EJPiS1_S1_jEEvDpT3_.has_indirect_call, 0
	.section	.AMDGPU.csdata,"",@progbits
; Kernel info:
; codeLenInByte = 1280
; TotalNumSgprs: 15
; NumVgprs: 51
; ScratchSize: 0
; MemoryBound: 0
; FloatMode: 240
; IeeeMode: 1
; LDSByteSize: 2048 bytes/workgroup (compile time only)
; SGPRBlocks: 0
; VGPRBlocks: 3
; NumSGPRsForWavesPerEU: 15
; NumVGPRsForWavesPerEU: 51
; NamedBarCnt: 0
; Occupancy: 16
; WaveLimiterHint : 1
; COMPUTE_PGM_RSRC2:SCRATCH_EN: 0
; COMPUTE_PGM_RSRC2:USER_SGPR: 2
; COMPUTE_PGM_RSRC2:TRAP_HANDLER: 0
; COMPUTE_PGM_RSRC2:TGID_X_EN: 1
; COMPUTE_PGM_RSRC2:TGID_Y_EN: 0
; COMPUTE_PGM_RSRC2:TGID_Z_EN: 0
; COMPUTE_PGM_RSRC2:TIDIG_COMP_CNT: 0
	.section	.text._Z6kernelI26subtract_left_partial_tileLj256ELj32ELb1EJPiS1_S1_jEEvDpT3_,"axG",@progbits,_Z6kernelI26subtract_left_partial_tileLj256ELj32ELb1EJPiS1_S1_jEEvDpT3_,comdat
	.protected	_Z6kernelI26subtract_left_partial_tileLj256ELj32ELb1EJPiS1_S1_jEEvDpT3_ ; -- Begin function _Z6kernelI26subtract_left_partial_tileLj256ELj32ELb1EJPiS1_S1_jEEvDpT3_
	.globl	_Z6kernelI26subtract_left_partial_tileLj256ELj32ELb1EJPiS1_S1_jEEvDpT3_
	.p2align	8
	.type	_Z6kernelI26subtract_left_partial_tileLj256ELj32ELb1EJPiS1_S1_jEEvDpT3_,@function
_Z6kernelI26subtract_left_partial_tileLj256ELj32ELb1EJPiS1_S1_jEEvDpT3_: ; @_Z6kernelI26subtract_left_partial_tileLj256ELj32ELb1EJPiS1_S1_jEEvDpT3_
; %bb.0:
	s_load_b128 s[4:7], s[0:1], 0x0
	s_bfe_u32 s2, ttmp6, 0x4000c
	s_and_b32 s3, ttmp6, 15
	s_add_co_i32 s2, s2, 1
	s_getreg_b32 s8, hwreg(HW_REG_IB_STS2, 6, 4)
	s_mul_i32 s2, ttmp9, s2
	v_cmp_ne_u32_e32 vcc_lo, 0, v0
	s_add_co_i32 s3, s3, s2
	s_cmp_eq_u32 s8, 0
	v_lshlrev_b32_e32 v34, 2, v0
	s_cselect_b32 s10, ttmp9, s3
	s_mov_b32 s3, 0
	s_lshl_b32 s2, s10, 13
	s_delay_alu instid0(SALU_CYCLE_1)
	s_lshl_b64 s[8:9], s[2:3], 2
	s_wait_xcnt 0x0
	s_load_b96 s[0:2], s[0:1], 0x10
	v_add_nc_u32_e32 v50, -4, v34
	s_wait_kmcnt 0x0
	s_add_nc_u64 s[4:5], s[4:5], s[8:9]
	s_clause 0x1f
	global_load_b32 v31, v0, s[4:5] scale_offset
	global_load_b32 v30, v0, s[4:5] offset:1024 scale_offset
	global_load_b32 v29, v0, s[4:5] offset:2048 scale_offset
	;; [unrolled: 1-line block ×31, first 2 shown]
	s_cvt_f32_u32 s3, s2
	s_wait_xcnt 0x0
	s_sub_co_i32 s4, 0, s2
	s_delay_alu instid0(SALU_CYCLE_1) | instskip(SKIP_1) | instid1(TRANS32_DEP_1)
	v_rcp_iflag_f32_e32 v33, s3
	v_nop
	v_readfirstlane_b32 s3, v33
	v_lshlrev_b32_e32 v33, 5, v0
	s_mul_f32 s3, s3, 0x4f7ffffe
	s_delay_alu instid0(VALU_DEP_1)
	v_or_b32_e32 v35, 15, v33
	v_or_b32_e32 v36, 14, v33
	;; [unrolled: 1-line block ×3, first 2 shown]
	s_cvt_u32_f32 s3, s3
	v_or_b32_e32 v38, 12, v33
	v_or_b32_e32 v39, 11, v33
	v_or_b32_e32 v40, 10, v33
	s_mul_i32 s4, s4, s3
	v_or_b32_e32 v41, 9, v33
	s_mul_hi_u32 s4, s3, s4
	v_or_b32_e32 v42, 8, v33
	s_add_co_i32 s3, s3, s4
	v_or_b32_e32 v43, 7, v33
	s_lshr_b32 s3, s3, 19
	v_or_b32_e32 v44, 6, v33
	s_mul_i32 s4, s3, s2
	s_add_co_i32 s11, s3, 1
	s_sub_co_i32 s5, 0x2000, s4
	s_mov_b32 s4, s0
	s_sub_co_i32 s12, s5, s2
	s_cmp_ge_u32 s5, s2
	v_or_b32_e32 v45, 5, v33
	s_cselect_b32 s0, s11, s3
	s_cselect_b32 s3, s12, s5
	s_add_co_i32 s5, s0, 1
	s_cmp_ge_u32 s3, s2
	s_load_b32 s3, s[6:7], s10 offset:0x0 scale_offset
	v_or_b32_e32 v46, 4, v33
	v_or_b32_e32 v47, 3, v33
	;; [unrolled: 1-line block ×4, first 2 shown]
	s_cselect_b32 s0, s5, s0
	s_mov_b32 s5, s1
	s_add_co_i32 s1, s0, 1
	s_branch .LBB155_2
.LBB155_1:                              ;   in Loop: Header=BB155_2 Depth=1
	s_or_b32 exec_lo, exec_lo, s0
	v_or_b32_e32 v52, 31, v33
	v_or_b32_e32 v54, 29, v33
	;; [unrolled: 1-line block ×3, first 2 shown]
	s_add_co_i32 s2, s2, -1
	s_wait_dscnt 0x0
	s_wait_kmcnt 0x0
	v_cmp_gt_u32_e64 s0, s3, v52
	s_barrier_signal -1
	s_barrier_wait -1
	s_delay_alu instid0(VALU_DEP_1) | instskip(NEXT) | instid1(VALU_DEP_1)
	v_cndmask_b32_e64 v52, 0, v1, s0
	v_dual_sub_nc_u32 v52, v32, v52 :: v_dual_bitop2_b32 v53, 30, v33 bitop3:0x54
	s_delay_alu instid0(VALU_DEP_1) | instskip(NEXT) | instid1(VALU_DEP_1)
	v_cmp_gt_u32_e64 s0, s3, v53
	v_dual_add_nc_u32 v32, v52, v32 :: v_dual_cndmask_b32 v53, 0, v2, s0
	v_cmp_gt_u32_e64 s0, s3, v54
	s_delay_alu instid0(VALU_DEP_1) | instskip(SKIP_1) | instid1(VALU_DEP_1)
	v_dual_cndmask_b32 v54, 0, v3, s0 :: v_dual_bitop2_b32 v56, 27, v33 bitop3:0x54
	v_cmp_gt_u32_e64 s0, s3, v55
	v_dual_sub_nc_u32 v54, v2, v54 :: v_dual_cndmask_b32 v55, 0, v4, s0
	v_or_b32_e32 v57, 26, v33
	s_delay_alu instid0(VALU_DEP_4) | instskip(NEXT) | instid1(VALU_DEP_3)
	v_cmp_gt_u32_e64 s0, s3, v56
	v_dual_add_nc_u32 v2, v54, v2 :: v_dual_sub_nc_u32 v55, v3, v55
	s_delay_alu instid0(VALU_DEP_2) | instskip(SKIP_2) | instid1(VALU_DEP_3)
	v_cndmask_b32_e64 v56, 0, v5, s0
	v_or_b32_e32 v58, 25, v33
	v_cmp_gt_u32_e64 s0, s3, v57
	v_dual_add_nc_u32 v3, v55, v3 :: v_dual_sub_nc_u32 v56, v4, v56
	s_delay_alu instid0(VALU_DEP_2) | instskip(NEXT) | instid1(VALU_DEP_4)
	v_cndmask_b32_e64 v57, 0, v6, s0
	v_cmp_gt_u32_e64 s0, s3, v58
	s_delay_alu instid0(VALU_DEP_3) | instskip(NEXT) | instid1(VALU_DEP_2)
	v_dual_sub_nc_u32 v53, v1, v53 :: v_dual_add_nc_u32 v4, v56, v4
	v_cndmask_b32_e64 v58, 0, v7, s0
	v_cmp_gt_u32_e64 s0, s3, v33
	v_sub_nc_u32_e32 v57, v5, v57
	s_delay_alu instid0(VALU_DEP_3) | instskip(NEXT) | instid1(VALU_DEP_3)
	v_dual_add_nc_u32 v1, v53, v1 :: v_dual_sub_nc_u32 v58, v6, v58
	v_cndmask_b32_e64 v51, 0, v51, s0
	v_cmp_gt_u32_e64 s0, s3, v49
	v_or_b32_e32 v59, 23, v33
	s_delay_alu instid0(VALU_DEP_4) | instskip(NEXT) | instid1(VALU_DEP_3)
	v_dual_add_nc_u32 v5, v57, v5 :: v_dual_add_nc_u32 v6, v58, v6
	v_cndmask_b32_e64 v60, 0, v31, s0
	s_delay_alu instid0(VALU_DEP_3) | instskip(NEXT) | instid1(VALU_DEP_2)
	v_cmp_gt_u32_e64 s0, s3, v59
	v_dual_sub_nc_u32 v51, v31, v51 :: v_dual_sub_nc_u32 v60, v30, v60
	s_delay_alu instid0(VALU_DEP_2) | instskip(SKIP_1) | instid1(VALU_DEP_1)
	v_cndmask_b32_e64 v59, 0, v9, s0
	v_cmp_gt_u32_e64 s0, s3, v48
	v_cndmask_b32_e64 v61, 0, v30, s0
	v_cmp_gt_u32_e64 s0, s3, v47
	v_dual_add_nc_u32 v31, v51, v31 :: v_dual_add_nc_u32 v30, v60, v30
	s_delay_alu instid0(VALU_DEP_3) | instskip(NEXT) | instid1(VALU_DEP_3)
	v_sub_nc_u32_e32 v61, v29, v61
	v_cndmask_b32_e64 v51, 0, v29, s0
	v_cmp_gt_u32_e64 s0, s3, v46
	s_delay_alu instid0(VALU_DEP_1) | instskip(SKIP_1) | instid1(VALU_DEP_1)
	v_dual_sub_nc_u32 v51, v28, v51 :: v_dual_cndmask_b32 v60, 0, v28, s0
	v_cmp_gt_u32_e64 s0, s3, v45
	v_dual_add_nc_u32 v29, v61, v29 :: v_dual_cndmask_b32 v61, 0, v27, s0
	v_cmp_gt_u32_e64 s0, s3, v44
	s_delay_alu instid0(VALU_DEP_4) | instskip(NEXT) | instid1(VALU_DEP_3)
	v_sub_nc_u32_e32 v60, v27, v60
	v_dual_add_nc_u32 v28, v51, v28 :: v_dual_sub_nc_u32 v61, v26, v61
	s_delay_alu instid0(VALU_DEP_3) | instskip(SKIP_1) | instid1(VALU_DEP_1)
	v_cndmask_b32_e64 v51, 0, v26, s0
	v_cmp_gt_u32_e64 s0, s3, v43
	v_dual_add_nc_u32 v27, v60, v27 :: v_dual_cndmask_b32 v60, 0, v25, s0
	v_cmp_gt_u32_e64 s0, s3, v42
	s_delay_alu instid0(VALU_DEP_4) | instskip(NEXT) | instid1(VALU_DEP_3)
	v_sub_nc_u32_e32 v51, v25, v51
	v_dual_add_nc_u32 v26, v61, v26 :: v_dual_sub_nc_u32 v60, v24, v60
	s_delay_alu instid0(VALU_DEP_3) | instskip(SKIP_1) | instid1(VALU_DEP_3)
	v_cndmask_b32_e64 v61, 0, v24, s0
	v_cmp_gt_u32_e64 s0, s3, v41
	v_dual_add_nc_u32 v25, v51, v25 :: v_dual_add_nc_u32 v24, v60, v24
	s_delay_alu instid0(VALU_DEP_2) | instskip(SKIP_1) | instid1(VALU_DEP_1)
	v_dual_sub_nc_u32 v61, v23, v61 :: v_dual_cndmask_b32 v51, 0, v23, s0
	v_cmp_gt_u32_e64 s0, s3, v40
	v_dual_sub_nc_u32 v51, v22, v51 :: v_dual_cndmask_b32 v60, 0, v22, s0
	v_cmp_gt_u32_e64 s0, s3, v39
	s_delay_alu instid0(VALU_DEP_2) | instskip(NEXT) | instid1(VALU_DEP_2)
	v_dual_add_nc_u32 v23, v61, v23 :: v_dual_add_nc_u32 v22, v51, v22
	v_dual_sub_nc_u32 v60, v21, v60 :: v_dual_cndmask_b32 v61, 0, v21, s0
	v_cmp_gt_u32_e64 s0, s3, v38
	s_delay_alu instid0(VALU_DEP_1) | instskip(SKIP_1) | instid1(VALU_DEP_2)
	v_dual_sub_nc_u32 v61, v20, v61 :: v_dual_cndmask_b32 v51, 0, v20, s0
	v_cmp_gt_u32_e64 s0, s3, v37
	v_dual_add_nc_u32 v21, v60, v21 :: v_dual_add_nc_u32 v20, v61, v20
	s_delay_alu instid0(VALU_DEP_3) | instskip(NEXT) | instid1(VALU_DEP_3)
	v_sub_nc_u32_e32 v51, v19, v51
	v_cndmask_b32_e64 v60, 0, v19, s0
	v_cmp_gt_u32_e64 s0, s3, v36
	s_delay_alu instid0(VALU_DEP_3) | instskip(NEXT) | instid1(VALU_DEP_2)
	v_dual_add_nc_u32 v19, v51, v19 :: v_dual_bitop2_b32 v51, 16, v33 bitop3:0x54
	v_dual_cndmask_b32 v61, 0, v18, s0 :: v_dual_sub_nc_u32 v60, v18, v60
	v_cmp_gt_u32_e64 s0, s3, v35
	s_delay_alu instid0(VALU_DEP_1) | instskip(SKIP_2) | instid1(VALU_DEP_3)
	v_dual_add_nc_u32 v18, v60, v18 :: v_dual_cndmask_b32 v62, 0, v17, s0
	v_or_b32_e32 v60, 17, v33
	v_cmp_gt_u32_e64 s0, s3, v51
	v_dual_sub_nc_u32 v61, v17, v61 :: v_dual_sub_nc_u32 v62, v16, v62
	s_delay_alu instid0(VALU_DEP_2) | instskip(NEXT) | instid1(VALU_DEP_4)
	v_cndmask_b32_e64 v51, 0, v16, s0
	v_cmp_gt_u32_e64 s0, s3, v60
	s_delay_alu instid0(VALU_DEP_3) | instskip(NEXT) | instid1(VALU_DEP_4)
	v_add_nc_u32_e32 v17, v61, v17
	v_dual_add_nc_u32 v16, v62, v16 :: v_dual_bitop2_b32 v61, 18, v33 bitop3:0x54
	s_delay_alu instid0(VALU_DEP_4) | instskip(NEXT) | instid1(VALU_DEP_4)
	v_dual_sub_nc_u32 v51, v15, v51 :: v_dual_bitop2_b32 v62, 19, v33 bitop3:0x54
	v_cndmask_b32_e64 v60, 0, v15, s0
	s_delay_alu instid0(VALU_DEP_3) | instskip(NEXT) | instid1(VALU_DEP_2)
	v_cmp_gt_u32_e64 s0, s3, v61
	v_dual_add_nc_u32 v15, v51, v15 :: v_dual_sub_nc_u32 v60, v14, v60
	s_delay_alu instid0(VALU_DEP_2) | instskip(SKIP_1) | instid1(VALU_DEP_2)
	v_cndmask_b32_e64 v61, 0, v14, s0
	v_cmp_gt_u32_e64 s0, s3, v62
	v_dual_add_nc_u32 v14, v60, v14 :: v_dual_sub_nc_u32 v51, v13, v61
	s_delay_alu instid0(VALU_DEP_2) | instskip(NEXT) | instid1(VALU_DEP_1)
	v_cndmask_b32_e64 v62, 0, v13, s0
	v_dual_sub_nc_u32 v62, v12, v62 :: v_dual_bitop2_b32 v60, 20, v33 bitop3:0x54
	s_delay_alu instid0(VALU_DEP_3) | instskip(SKIP_1) | instid1(VALU_DEP_3)
	v_add_nc_u32_e32 v13, v51, v13
	v_or_b32_e32 v51, 21, v33
	v_cmp_gt_u32_e64 s0, s3, v60
	s_delay_alu instid0(VALU_DEP_1) | instskip(NEXT) | instid1(VALU_DEP_3)
	v_dual_cndmask_b32 v60, 0, v12, s0 :: v_dual_bitop2_b32 v61, 22, v33 bitop3:0x54
	v_cmp_gt_u32_e64 s0, s3, v51
	v_dual_add_nc_u32 v12, v62, v12 :: v_dual_bitop2_b32 v62, 24, v33 bitop3:0x54
	s_delay_alu instid0(VALU_DEP_2) | instskip(NEXT) | instid1(VALU_DEP_4)
	v_cndmask_b32_e64 v51, 0, v11, s0
	v_cmp_gt_u32_e64 s0, s3, v61
	s_delay_alu instid0(VALU_DEP_1) | instskip(NEXT) | instid1(VALU_DEP_4)
	v_dual_sub_nc_u32 v51, v10, v51 :: v_dual_cndmask_b32 v61, 0, v10, s0
	v_cmp_gt_u32_e64 s0, s3, v62
	v_sub_nc_u32_e32 v60, v11, v60
	s_delay_alu instid0(VALU_DEP_3) | instskip(NEXT) | instid1(VALU_DEP_3)
	v_dual_add_nc_u32 v10, v51, v10 :: v_dual_sub_nc_u32 v61, v9, v61
	v_dual_cndmask_b32 v62, 0, v8, s0 :: v_dual_sub_nc_u32 v59, v8, v59
	s_delay_alu instid0(VALU_DEP_3) | instskip(SKIP_1) | instid1(VALU_DEP_2)
	v_add_nc_u32_e32 v11, v60, v11
	s_add_co_i32 s0, s1, s3
	v_dual_sub_nc_u32 v62, v7, v62 :: v_dual_add_nc_u32 v9, v61, v9
	s_delay_alu instid0(VALU_DEP_3) | instskip(SKIP_2) | instid1(VALU_DEP_2)
	v_add_nc_u32_e32 v8, v59, v8
	s_and_b32 s3, s0, 0x1fff
	s_cmp_lg_u32 s2, 0
	v_add_nc_u32_e32 v7, v62, v7
	s_cbranch_scc0 .LBB155_4
.LBB155_2:                              ; =>This Inner Loop Header: Depth=1
	v_mov_b32_e32 v51, 0x7b
	s_wait_loadcnt 0x0
	ds_store_b32 v34, v32
	s_wait_dscnt 0x0
	s_barrier_signal -1
	s_barrier_wait -1
	s_and_saveexec_b32 s0, vcc_lo
	s_cbranch_execz .LBB155_1
; %bb.3:                                ;   in Loop: Header=BB155_2 Depth=1
	ds_load_b32 v51, v50
	s_branch .LBB155_1
.LBB155_4:
	s_add_nc_u64 s[0:1], s[4:5], s[8:9]
	s_clause 0x1f
	global_store_b32 v0, v31, s[0:1] scale_offset
	global_store_b32 v0, v30, s[0:1] offset:1024 scale_offset
	global_store_b32 v0, v29, s[0:1] offset:2048 scale_offset
	;; [unrolled: 1-line block ×31, first 2 shown]
	s_endpgm
	.section	.rodata,"a",@progbits
	.p2align	6, 0x0
	.amdhsa_kernel _Z6kernelI26subtract_left_partial_tileLj256ELj32ELb1EJPiS1_S1_jEEvDpT3_
		.amdhsa_group_segment_fixed_size 2048
		.amdhsa_private_segment_fixed_size 0
		.amdhsa_kernarg_size 28
		.amdhsa_user_sgpr_count 2
		.amdhsa_user_sgpr_dispatch_ptr 0
		.amdhsa_user_sgpr_queue_ptr 0
		.amdhsa_user_sgpr_kernarg_segment_ptr 1
		.amdhsa_user_sgpr_dispatch_id 0
		.amdhsa_user_sgpr_kernarg_preload_length 0
		.amdhsa_user_sgpr_kernarg_preload_offset 0
		.amdhsa_user_sgpr_private_segment_size 0
		.amdhsa_wavefront_size32 1
		.amdhsa_uses_dynamic_stack 0
		.amdhsa_enable_private_segment 0
		.amdhsa_system_sgpr_workgroup_id_x 1
		.amdhsa_system_sgpr_workgroup_id_y 0
		.amdhsa_system_sgpr_workgroup_id_z 0
		.amdhsa_system_sgpr_workgroup_info 0
		.amdhsa_system_vgpr_workitem_id 0
		.amdhsa_next_free_vgpr 63
		.amdhsa_next_free_sgpr 13
		.amdhsa_named_barrier_count 0
		.amdhsa_reserve_vcc 1
		.amdhsa_float_round_mode_32 0
		.amdhsa_float_round_mode_16_64 0
		.amdhsa_float_denorm_mode_32 3
		.amdhsa_float_denorm_mode_16_64 3
		.amdhsa_fp16_overflow 0
		.amdhsa_memory_ordered 1
		.amdhsa_forward_progress 1
		.amdhsa_inst_pref_size 18
		.amdhsa_round_robin_scheduling 0
		.amdhsa_exception_fp_ieee_invalid_op 0
		.amdhsa_exception_fp_denorm_src 0
		.amdhsa_exception_fp_ieee_div_zero 0
		.amdhsa_exception_fp_ieee_overflow 0
		.amdhsa_exception_fp_ieee_underflow 0
		.amdhsa_exception_fp_ieee_inexact 0
		.amdhsa_exception_int_div_zero 0
	.end_amdhsa_kernel
	.section	.text._Z6kernelI26subtract_left_partial_tileLj256ELj32ELb1EJPiS1_S1_jEEvDpT3_,"axG",@progbits,_Z6kernelI26subtract_left_partial_tileLj256ELj32ELb1EJPiS1_S1_jEEvDpT3_,comdat
.Lfunc_end155:
	.size	_Z6kernelI26subtract_left_partial_tileLj256ELj32ELb1EJPiS1_S1_jEEvDpT3_, .Lfunc_end155-_Z6kernelI26subtract_left_partial_tileLj256ELj32ELb1EJPiS1_S1_jEEvDpT3_
                                        ; -- End function
	.set _Z6kernelI26subtract_left_partial_tileLj256ELj32ELb1EJPiS1_S1_jEEvDpT3_.num_vgpr, 63
	.set _Z6kernelI26subtract_left_partial_tileLj256ELj32ELb1EJPiS1_S1_jEEvDpT3_.num_agpr, 0
	.set _Z6kernelI26subtract_left_partial_tileLj256ELj32ELb1EJPiS1_S1_jEEvDpT3_.numbered_sgpr, 13
	.set _Z6kernelI26subtract_left_partial_tileLj256ELj32ELb1EJPiS1_S1_jEEvDpT3_.num_named_barrier, 0
	.set _Z6kernelI26subtract_left_partial_tileLj256ELj32ELb1EJPiS1_S1_jEEvDpT3_.private_seg_size, 0
	.set _Z6kernelI26subtract_left_partial_tileLj256ELj32ELb1EJPiS1_S1_jEEvDpT3_.uses_vcc, 1
	.set _Z6kernelI26subtract_left_partial_tileLj256ELj32ELb1EJPiS1_S1_jEEvDpT3_.uses_flat_scratch, 0
	.set _Z6kernelI26subtract_left_partial_tileLj256ELj32ELb1EJPiS1_S1_jEEvDpT3_.has_dyn_sized_stack, 0
	.set _Z6kernelI26subtract_left_partial_tileLj256ELj32ELb1EJPiS1_S1_jEEvDpT3_.has_recursion, 0
	.set _Z6kernelI26subtract_left_partial_tileLj256ELj32ELb1EJPiS1_S1_jEEvDpT3_.has_indirect_call, 0
	.section	.AMDGPU.csdata,"",@progbits
; Kernel info:
; codeLenInByte = 2232
; TotalNumSgprs: 15
; NumVgprs: 63
; ScratchSize: 0
; MemoryBound: 0
; FloatMode: 240
; IeeeMode: 1
; LDSByteSize: 2048 bytes/workgroup (compile time only)
; SGPRBlocks: 0
; VGPRBlocks: 3
; NumSGPRsForWavesPerEU: 15
; NumVGPRsForWavesPerEU: 63
; NamedBarCnt: 0
; Occupancy: 16
; WaveLimiterHint : 1
; COMPUTE_PGM_RSRC2:SCRATCH_EN: 0
; COMPUTE_PGM_RSRC2:USER_SGPR: 2
; COMPUTE_PGM_RSRC2:TRAP_HANDLER: 0
; COMPUTE_PGM_RSRC2:TGID_X_EN: 1
; COMPUTE_PGM_RSRC2:TGID_Y_EN: 0
; COMPUTE_PGM_RSRC2:TGID_Z_EN: 0
; COMPUTE_PGM_RSRC2:TIDIG_COMP_CNT: 0
	.section	.text._Z6kernelI26subtract_left_partial_tileLj256ELj1ELb1EJPfPiS1_jEEvDpT3_,"axG",@progbits,_Z6kernelI26subtract_left_partial_tileLj256ELj1ELb1EJPfPiS1_jEEvDpT3_,comdat
	.protected	_Z6kernelI26subtract_left_partial_tileLj256ELj1ELb1EJPfPiS1_jEEvDpT3_ ; -- Begin function _Z6kernelI26subtract_left_partial_tileLj256ELj1ELb1EJPfPiS1_jEEvDpT3_
	.globl	_Z6kernelI26subtract_left_partial_tileLj256ELj1ELb1EJPfPiS1_jEEvDpT3_
	.p2align	8
	.type	_Z6kernelI26subtract_left_partial_tileLj256ELj1ELb1EJPfPiS1_jEEvDpT3_,@function
_Z6kernelI26subtract_left_partial_tileLj256ELj1ELb1EJPfPiS1_jEEvDpT3_: ; @_Z6kernelI26subtract_left_partial_tileLj256ELj1ELb1EJPfPiS1_jEEvDpT3_
; %bb.0:
	s_load_b128 s[8:11], s[0:1], 0x0
	s_bfe_u32 s2, ttmp6, 0x4000c
	s_and_b32 s3, ttmp6, 15
	s_add_co_i32 s2, s2, 1
	s_getreg_b32 s4, hwreg(HW_REG_IB_STS2, 6, 4)
	s_mul_i32 s2, ttmp9, s2
	v_cmp_ne_u32_e32 vcc_lo, 0, v0
	s_add_co_i32 s3, s3, s2
	s_cmp_eq_u32 s4, 0
	s_cselect_b32 s12, ttmp9, s3
	s_mov_b32 s3, 0
	s_lshl_b32 s2, s12, 8
	s_delay_alu instid0(SALU_CYCLE_1)
	s_lshl_b64 s[4:5], s[2:3], 2
	s_wait_xcnt 0x0
	s_load_b96 s[0:2], s[0:1], 0x10
	s_wait_kmcnt 0x0
	s_add_nc_u64 s[6:7], s[8:9], s[4:5]
	global_load_b32 v1, v0, s[6:7] scale_offset
	s_cvt_f32_u32 s3, s2
	s_wait_xcnt 0x0
	s_sub_co_i32 s6, 0, s2
	s_delay_alu instid0(SALU_CYCLE_1) | instskip(SKIP_1) | instid1(TRANS32_DEP_1)
	v_rcp_iflag_f32_e32 v2, s3
	v_nop
	v_readfirstlane_b32 s3, v2
	v_lshlrev_b32_e32 v2, 2, v0
	s_mul_f32 s3, s3, 0x4f7ffffe
	s_delay_alu instid0(VALU_DEP_1) | instskip(NEXT) | instid1(SALU_CYCLE_2)
	v_add_nc_u32_e32 v3, -4, v2
	s_cvt_u32_f32 s3, s3
	s_delay_alu instid0(SALU_CYCLE_3) | instskip(NEXT) | instid1(SALU_CYCLE_1)
	s_mul_i32 s6, s6, s3
	s_mul_hi_u32 s6, s3, s6
	s_delay_alu instid0(SALU_CYCLE_1) | instskip(SKIP_2) | instid1(SALU_CYCLE_1)
	s_add_co_i32 s6, s3, s6
	s_load_b32 s3, s[10:11], s12 offset:0x0 scale_offset
	s_lshr_b32 s7, s6, 24
	s_mul_i32 s6, s7, s2
	s_add_co_i32 s9, s7, 1
	s_sub_co_i32 s8, 0x100, s6
	s_mov_b32 s6, s0
	s_wait_xcnt 0x0
	s_sub_co_i32 s10, s8, s2
	s_cmp_ge_u32 s8, s2
	s_cselect_b32 s0, s9, s7
	s_cselect_b32 s7, s10, s8
	s_add_co_i32 s8, s0, 1
	s_cmp_ge_u32 s7, s2
	s_mov_b32 s7, s1
	s_cselect_b32 s0, s8, s0
	s_delay_alu instid0(SALU_CYCLE_1)
	s_add_co_i32 s1, s0, 1
	s_branch .LBB156_2
.LBB156_1:                              ;   in Loop: Header=BB156_2 Depth=1
	s_or_b32 exec_lo, exec_lo, s0
	s_wait_dscnt 0x0
	v_sub_f32_e32 v4, v1, v4
	s_wait_kmcnt 0x0
	v_cmp_gt_u32_e64 s0, s3, v0
	s_add_co_i32 s2, s2, -1
	s_barrier_signal -1
	s_barrier_wait -1
	v_cndmask_b32_e64 v4, v1, v4, s0
	s_add_co_i32 s0, s1, s3
	s_delay_alu instid0(SALU_CYCLE_1) | instskip(SKIP_1) | instid1(VALU_DEP_1)
	s_and_b32 s3, s0, 0xff
	s_cmp_lg_u32 s2, 0
	v_add_f32_e32 v1, v1, v4
	s_cbranch_scc0 .LBB156_4
.LBB156_2:                              ; =>This Inner Loop Header: Depth=1
	v_mov_b32_e32 v4, 0x42f60000
	s_wait_loadcnt 0x0
	ds_store_b32 v2, v1
	s_wait_dscnt 0x0
	s_barrier_signal -1
	s_barrier_wait -1
	s_and_saveexec_b32 s0, vcc_lo
	s_cbranch_execz .LBB156_1
; %bb.3:                                ;   in Loop: Header=BB156_2 Depth=1
	ds_load_b32 v4, v3
	s_branch .LBB156_1
.LBB156_4:
	s_add_nc_u64 s[0:1], s[6:7], s[4:5]
	global_store_b32 v0, v1, s[0:1] scale_offset
	s_endpgm
	.section	.rodata,"a",@progbits
	.p2align	6, 0x0
	.amdhsa_kernel _Z6kernelI26subtract_left_partial_tileLj256ELj1ELb1EJPfPiS1_jEEvDpT3_
		.amdhsa_group_segment_fixed_size 2048
		.amdhsa_private_segment_fixed_size 0
		.amdhsa_kernarg_size 28
		.amdhsa_user_sgpr_count 2
		.amdhsa_user_sgpr_dispatch_ptr 0
		.amdhsa_user_sgpr_queue_ptr 0
		.amdhsa_user_sgpr_kernarg_segment_ptr 1
		.amdhsa_user_sgpr_dispatch_id 0
		.amdhsa_user_sgpr_kernarg_preload_length 0
		.amdhsa_user_sgpr_kernarg_preload_offset 0
		.amdhsa_user_sgpr_private_segment_size 0
		.amdhsa_wavefront_size32 1
		.amdhsa_uses_dynamic_stack 0
		.amdhsa_enable_private_segment 0
		.amdhsa_system_sgpr_workgroup_id_x 1
		.amdhsa_system_sgpr_workgroup_id_y 0
		.amdhsa_system_sgpr_workgroup_id_z 0
		.amdhsa_system_sgpr_workgroup_info 0
		.amdhsa_system_vgpr_workitem_id 0
		.amdhsa_next_free_vgpr 5
		.amdhsa_next_free_sgpr 13
		.amdhsa_named_barrier_count 0
		.amdhsa_reserve_vcc 1
		.amdhsa_float_round_mode_32 0
		.amdhsa_float_round_mode_16_64 0
		.amdhsa_float_denorm_mode_32 3
		.amdhsa_float_denorm_mode_16_64 3
		.amdhsa_fp16_overflow 0
		.amdhsa_memory_ordered 1
		.amdhsa_forward_progress 1
		.amdhsa_inst_pref_size 4
		.amdhsa_round_robin_scheduling 0
		.amdhsa_exception_fp_ieee_invalid_op 0
		.amdhsa_exception_fp_denorm_src 0
		.amdhsa_exception_fp_ieee_div_zero 0
		.amdhsa_exception_fp_ieee_overflow 0
		.amdhsa_exception_fp_ieee_underflow 0
		.amdhsa_exception_fp_ieee_inexact 0
		.amdhsa_exception_int_div_zero 0
	.end_amdhsa_kernel
	.section	.text._Z6kernelI26subtract_left_partial_tileLj256ELj1ELb1EJPfPiS1_jEEvDpT3_,"axG",@progbits,_Z6kernelI26subtract_left_partial_tileLj256ELj1ELb1EJPfPiS1_jEEvDpT3_,comdat
.Lfunc_end156:
	.size	_Z6kernelI26subtract_left_partial_tileLj256ELj1ELb1EJPfPiS1_jEEvDpT3_, .Lfunc_end156-_Z6kernelI26subtract_left_partial_tileLj256ELj1ELb1EJPfPiS1_jEEvDpT3_
                                        ; -- End function
	.set _Z6kernelI26subtract_left_partial_tileLj256ELj1ELb1EJPfPiS1_jEEvDpT3_.num_vgpr, 5
	.set _Z6kernelI26subtract_left_partial_tileLj256ELj1ELb1EJPfPiS1_jEEvDpT3_.num_agpr, 0
	.set _Z6kernelI26subtract_left_partial_tileLj256ELj1ELb1EJPfPiS1_jEEvDpT3_.numbered_sgpr, 13
	.set _Z6kernelI26subtract_left_partial_tileLj256ELj1ELb1EJPfPiS1_jEEvDpT3_.num_named_barrier, 0
	.set _Z6kernelI26subtract_left_partial_tileLj256ELj1ELb1EJPfPiS1_jEEvDpT3_.private_seg_size, 0
	.set _Z6kernelI26subtract_left_partial_tileLj256ELj1ELb1EJPfPiS1_jEEvDpT3_.uses_vcc, 1
	.set _Z6kernelI26subtract_left_partial_tileLj256ELj1ELb1EJPfPiS1_jEEvDpT3_.uses_flat_scratch, 0
	.set _Z6kernelI26subtract_left_partial_tileLj256ELj1ELb1EJPfPiS1_jEEvDpT3_.has_dyn_sized_stack, 0
	.set _Z6kernelI26subtract_left_partial_tileLj256ELj1ELb1EJPfPiS1_jEEvDpT3_.has_recursion, 0
	.set _Z6kernelI26subtract_left_partial_tileLj256ELj1ELb1EJPfPiS1_jEEvDpT3_.has_indirect_call, 0
	.section	.AMDGPU.csdata,"",@progbits
; Kernel info:
; codeLenInByte = 392
; TotalNumSgprs: 15
; NumVgprs: 5
; ScratchSize: 0
; MemoryBound: 0
; FloatMode: 240
; IeeeMode: 1
; LDSByteSize: 2048 bytes/workgroup (compile time only)
; SGPRBlocks: 0
; VGPRBlocks: 0
; NumSGPRsForWavesPerEU: 15
; NumVGPRsForWavesPerEU: 5
; NamedBarCnt: 0
; Occupancy: 16
; WaveLimiterHint : 0
; COMPUTE_PGM_RSRC2:SCRATCH_EN: 0
; COMPUTE_PGM_RSRC2:USER_SGPR: 2
; COMPUTE_PGM_RSRC2:TRAP_HANDLER: 0
; COMPUTE_PGM_RSRC2:TGID_X_EN: 1
; COMPUTE_PGM_RSRC2:TGID_Y_EN: 0
; COMPUTE_PGM_RSRC2:TGID_Z_EN: 0
; COMPUTE_PGM_RSRC2:TIDIG_COMP_CNT: 0
	.section	.text._Z6kernelI26subtract_left_partial_tileLj256ELj3ELb1EJPfPiS1_jEEvDpT3_,"axG",@progbits,_Z6kernelI26subtract_left_partial_tileLj256ELj3ELb1EJPfPiS1_jEEvDpT3_,comdat
	.protected	_Z6kernelI26subtract_left_partial_tileLj256ELj3ELb1EJPfPiS1_jEEvDpT3_ ; -- Begin function _Z6kernelI26subtract_left_partial_tileLj256ELj3ELb1EJPfPiS1_jEEvDpT3_
	.globl	_Z6kernelI26subtract_left_partial_tileLj256ELj3ELb1EJPfPiS1_jEEvDpT3_
	.p2align	8
	.type	_Z6kernelI26subtract_left_partial_tileLj256ELj3ELb1EJPfPiS1_jEEvDpT3_,@function
_Z6kernelI26subtract_left_partial_tileLj256ELj3ELb1EJPfPiS1_jEEvDpT3_: ; @_Z6kernelI26subtract_left_partial_tileLj256ELj3ELb1EJPfPiS1_jEEvDpT3_
; %bb.0:
	s_load_b128 s[8:11], s[0:1], 0x0
	s_bfe_u32 s2, ttmp6, 0x4000c
	s_and_b32 s3, ttmp6, 15
	s_add_co_i32 s2, s2, 1
	s_getreg_b32 s4, hwreg(HW_REG_IB_STS2, 6, 4)
	s_mul_i32 s2, ttmp9, s2
	v_mul_u32_u24_e32 v5, 3, v0
	s_add_co_i32 s3, s3, s2
	s_cmp_eq_u32 s4, 0
	v_mad_u32_u24 v6, v0, 3, 2
	s_cselect_b32 s12, ttmp9, s3
	s_mov_b32 s3, 0
	s_mul_i32 s2, s12, 0x300
	v_mad_u32_u24 v7, v0, 3, 1
	s_lshl_b64 s[4:5], s[2:3], 2
	s_wait_xcnt 0x0
	s_load_b96 s[0:2], s[0:1], 0x10
	v_cmp_ne_u32_e32 vcc_lo, 0, v0
	s_wait_kmcnt 0x0
	s_add_nc_u64 s[6:7], s[8:9], s[4:5]
	s_clause 0x2
	global_load_b32 v2, v0, s[6:7] scale_offset
	global_load_b32 v3, v0, s[6:7] offset:1024 scale_offset
	global_load_b32 v1, v0, s[6:7] offset:2048 scale_offset
	s_cvt_f32_u32 s3, s2
	s_wait_xcnt 0x0
	s_sub_co_i32 s6, 0, s2
	s_delay_alu instid0(SALU_CYCLE_1) | instskip(SKIP_1) | instid1(TRANS32_DEP_1)
	v_rcp_iflag_f32_e32 v4, s3
	v_nop
	v_readfirstlane_b32 s3, v4
	v_lshlrev_b32_e32 v4, 2, v0
	s_mul_f32 s3, s3, 0x4f7ffffe
	s_delay_alu instid0(VALU_DEP_1) | instskip(NEXT) | instid1(SALU_CYCLE_2)
	v_add_nc_u32_e32 v8, -4, v4
	s_cvt_u32_f32 s3, s3
	s_delay_alu instid0(SALU_CYCLE_3) | instskip(NEXT) | instid1(SALU_CYCLE_1)
	s_mul_i32 s6, s6, s3
	s_mul_hi_u32 s6, s3, s6
	s_delay_alu instid0(SALU_CYCLE_1) | instskip(NEXT) | instid1(SALU_CYCLE_1)
	s_add_co_i32 s3, s3, s6
	s_mul_hi_u32 s7, s3, 0x300
	s_load_b32 s3, s[10:11], s12 offset:0x0 scale_offset
	s_mul_i32 s6, s7, s2
	s_add_co_i32 s9, s7, 1
	s_sub_co_i32 s8, 0x300, s6
	s_mov_b32 s6, s0
	s_wait_xcnt 0x0
	s_sub_co_i32 s10, s8, s2
	s_cmp_ge_u32 s8, s2
	s_cselect_b32 s0, s9, s7
	s_cselect_b32 s7, s10, s8
	s_add_co_i32 s8, s0, 1
	s_cmp_ge_u32 s7, s2
	s_mov_b32 s7, s1
	s_cselect_b32 s0, s8, s0
	s_delay_alu instid0(SALU_CYCLE_1)
	s_add_co_i32 s1, s0, 1
	s_branch .LBB157_2
.LBB157_1:                              ;   in Loop: Header=BB157_2 Depth=1
	s_or_b32 exec_lo, exec_lo, s0
	s_wait_dscnt 0x0
	v_dual_sub_f32 v10, v3, v2 :: v_dual_sub_f32 v9, v2, v9
	s_wait_kmcnt 0x0
	v_cmp_gt_u32_e64 s0, s3, v7
	v_sub_f32_e32 v12, v1, v3
	s_add_co_i32 s8, s1, s3
	s_add_co_i32 s2, s2, -1
	v_cndmask_b32_e64 v11, v3, v10, s0
	v_cmp_gt_u32_e64 s0, s3, v5
	s_barrier_signal -1
	s_barrier_wait -1
	s_delay_alu instid0(VALU_DEP_1) | instskip(SKIP_1) | instid1(VALU_DEP_1)
	v_cndmask_b32_e64 v10, v2, v9, s0
	v_cmp_gt_u32_e64 s0, s3, v6
	v_cndmask_b32_e64 v9, v1, v12, s0
	s_mul_hi_u32 s0, s8, 0xaaaaaaab
	s_delay_alu instid0(VALU_DEP_3) | instskip(SKIP_1) | instid1(SALU_CYCLE_1)
	v_pk_add_f32 v[2:3], v[2:3], v[10:11]
	s_lshr_b32 s0, s0, 9
	s_mulk_i32 s0, 0x300
	v_add_f32_e32 v1, v1, v9
	s_sub_co_i32 s3, s8, s0
	s_cmp_lg_u32 s2, 0
	s_cbranch_scc0 .LBB157_4
.LBB157_2:                              ; =>This Inner Loop Header: Depth=1
	v_mov_b32_e32 v9, 0x42f60000
	s_wait_loadcnt 0x0
	ds_store_b32 v4, v1
	s_wait_dscnt 0x0
	s_barrier_signal -1
	s_barrier_wait -1
	s_and_saveexec_b32 s0, vcc_lo
	s_cbranch_execz .LBB157_1
; %bb.3:                                ;   in Loop: Header=BB157_2 Depth=1
	ds_load_b32 v9, v8
	s_branch .LBB157_1
.LBB157_4:
	s_add_nc_u64 s[0:1], s[6:7], s[4:5]
	s_clause 0x2
	global_store_b32 v0, v2, s[0:1] scale_offset
	global_store_b32 v0, v3, s[0:1] offset:1024 scale_offset
	global_store_b32 v0, v1, s[0:1] offset:2048 scale_offset
	s_endpgm
	.section	.rodata,"a",@progbits
	.p2align	6, 0x0
	.amdhsa_kernel _Z6kernelI26subtract_left_partial_tileLj256ELj3ELb1EJPfPiS1_jEEvDpT3_
		.amdhsa_group_segment_fixed_size 2048
		.amdhsa_private_segment_fixed_size 0
		.amdhsa_kernarg_size 28
		.amdhsa_user_sgpr_count 2
		.amdhsa_user_sgpr_dispatch_ptr 0
		.amdhsa_user_sgpr_queue_ptr 0
		.amdhsa_user_sgpr_kernarg_segment_ptr 1
		.amdhsa_user_sgpr_dispatch_id 0
		.amdhsa_user_sgpr_kernarg_preload_length 0
		.amdhsa_user_sgpr_kernarg_preload_offset 0
		.amdhsa_user_sgpr_private_segment_size 0
		.amdhsa_wavefront_size32 1
		.amdhsa_uses_dynamic_stack 0
		.amdhsa_enable_private_segment 0
		.amdhsa_system_sgpr_workgroup_id_x 1
		.amdhsa_system_sgpr_workgroup_id_y 0
		.amdhsa_system_sgpr_workgroup_id_z 0
		.amdhsa_system_sgpr_workgroup_info 0
		.amdhsa_system_vgpr_workitem_id 0
		.amdhsa_next_free_vgpr 13
		.amdhsa_next_free_sgpr 13
		.amdhsa_named_barrier_count 0
		.amdhsa_reserve_vcc 1
		.amdhsa_float_round_mode_32 0
		.amdhsa_float_round_mode_16_64 0
		.amdhsa_float_denorm_mode_32 3
		.amdhsa_float_denorm_mode_16_64 3
		.amdhsa_fp16_overflow 0
		.amdhsa_memory_ordered 1
		.amdhsa_forward_progress 1
		.amdhsa_inst_pref_size 5
		.amdhsa_round_robin_scheduling 0
		.amdhsa_exception_fp_ieee_invalid_op 0
		.amdhsa_exception_fp_denorm_src 0
		.amdhsa_exception_fp_ieee_div_zero 0
		.amdhsa_exception_fp_ieee_overflow 0
		.amdhsa_exception_fp_ieee_underflow 0
		.amdhsa_exception_fp_ieee_inexact 0
		.amdhsa_exception_int_div_zero 0
	.end_amdhsa_kernel
	.section	.text._Z6kernelI26subtract_left_partial_tileLj256ELj3ELb1EJPfPiS1_jEEvDpT3_,"axG",@progbits,_Z6kernelI26subtract_left_partial_tileLj256ELj3ELb1EJPfPiS1_jEEvDpT3_,comdat
.Lfunc_end157:
	.size	_Z6kernelI26subtract_left_partial_tileLj256ELj3ELb1EJPfPiS1_jEEvDpT3_, .Lfunc_end157-_Z6kernelI26subtract_left_partial_tileLj256ELj3ELb1EJPfPiS1_jEEvDpT3_
                                        ; -- End function
	.set _Z6kernelI26subtract_left_partial_tileLj256ELj3ELb1EJPfPiS1_jEEvDpT3_.num_vgpr, 13
	.set _Z6kernelI26subtract_left_partial_tileLj256ELj3ELb1EJPfPiS1_jEEvDpT3_.num_agpr, 0
	.set _Z6kernelI26subtract_left_partial_tileLj256ELj3ELb1EJPfPiS1_jEEvDpT3_.numbered_sgpr, 13
	.set _Z6kernelI26subtract_left_partial_tileLj256ELj3ELb1EJPfPiS1_jEEvDpT3_.num_named_barrier, 0
	.set _Z6kernelI26subtract_left_partial_tileLj256ELj3ELb1EJPfPiS1_jEEvDpT3_.private_seg_size, 0
	.set _Z6kernelI26subtract_left_partial_tileLj256ELj3ELb1EJPfPiS1_jEEvDpT3_.uses_vcc, 1
	.set _Z6kernelI26subtract_left_partial_tileLj256ELj3ELb1EJPfPiS1_jEEvDpT3_.uses_flat_scratch, 0
	.set _Z6kernelI26subtract_left_partial_tileLj256ELj3ELb1EJPfPiS1_jEEvDpT3_.has_dyn_sized_stack, 0
	.set _Z6kernelI26subtract_left_partial_tileLj256ELj3ELb1EJPfPiS1_jEEvDpT3_.has_recursion, 0
	.set _Z6kernelI26subtract_left_partial_tileLj256ELj3ELb1EJPfPiS1_jEEvDpT3_.has_indirect_call, 0
	.section	.AMDGPU.csdata,"",@progbits
; Kernel info:
; codeLenInByte = 536
; TotalNumSgprs: 15
; NumVgprs: 13
; ScratchSize: 0
; MemoryBound: 0
; FloatMode: 240
; IeeeMode: 1
; LDSByteSize: 2048 bytes/workgroup (compile time only)
; SGPRBlocks: 0
; VGPRBlocks: 0
; NumSGPRsForWavesPerEU: 15
; NumVGPRsForWavesPerEU: 13
; NamedBarCnt: 0
; Occupancy: 16
; WaveLimiterHint : 1
; COMPUTE_PGM_RSRC2:SCRATCH_EN: 0
; COMPUTE_PGM_RSRC2:USER_SGPR: 2
; COMPUTE_PGM_RSRC2:TRAP_HANDLER: 0
; COMPUTE_PGM_RSRC2:TGID_X_EN: 1
; COMPUTE_PGM_RSRC2:TGID_Y_EN: 0
; COMPUTE_PGM_RSRC2:TGID_Z_EN: 0
; COMPUTE_PGM_RSRC2:TIDIG_COMP_CNT: 0
	.section	.text._Z6kernelI26subtract_left_partial_tileLj256ELj4ELb1EJPfPiS1_jEEvDpT3_,"axG",@progbits,_Z6kernelI26subtract_left_partial_tileLj256ELj4ELb1EJPfPiS1_jEEvDpT3_,comdat
	.protected	_Z6kernelI26subtract_left_partial_tileLj256ELj4ELb1EJPfPiS1_jEEvDpT3_ ; -- Begin function _Z6kernelI26subtract_left_partial_tileLj256ELj4ELb1EJPfPiS1_jEEvDpT3_
	.globl	_Z6kernelI26subtract_left_partial_tileLj256ELj4ELb1EJPfPiS1_jEEvDpT3_
	.p2align	8
	.type	_Z6kernelI26subtract_left_partial_tileLj256ELj4ELb1EJPfPiS1_jEEvDpT3_,@function
_Z6kernelI26subtract_left_partial_tileLj256ELj4ELb1EJPfPiS1_jEEvDpT3_: ; @_Z6kernelI26subtract_left_partial_tileLj256ELj4ELb1EJPfPiS1_jEEvDpT3_
; %bb.0:
	s_load_b128 s[8:11], s[0:1], 0x0
	s_bfe_u32 s2, ttmp6, 0x4000c
	s_and_b32 s3, ttmp6, 15
	s_add_co_i32 s2, s2, 1
	s_getreg_b32 s4, hwreg(HW_REG_IB_STS2, 6, 4)
	s_mul_i32 s2, ttmp9, s2
	v_cmp_ne_u32_e32 vcc_lo, 0, v0
	s_add_co_i32 s3, s3, s2
	s_cmp_eq_u32 s4, 0
	s_cselect_b32 s12, ttmp9, s3
	s_mov_b32 s3, 0
	s_lshl_b32 s2, s12, 10
	s_delay_alu instid0(SALU_CYCLE_1)
	s_lshl_b64 s[4:5], s[2:3], 2
	s_wait_xcnt 0x0
	s_load_b96 s[0:2], s[0:1], 0x10
	s_wait_kmcnt 0x0
	s_add_nc_u64 s[6:7], s[8:9], s[4:5]
	s_clause 0x3
	global_load_b32 v4, v0, s[6:7] scale_offset
	global_load_b32 v5, v0, s[6:7] offset:1024 scale_offset
	global_load_b32 v2, v0, s[6:7] offset:2048 scale_offset
	;; [unrolled: 1-line block ×3, first 2 shown]
	s_cvt_f32_u32 s3, s2
	s_wait_xcnt 0x0
	s_sub_co_i32 s6, 0, s2
	s_delay_alu instid0(SALU_CYCLE_1) | instskip(SKIP_1) | instid1(TRANS32_DEP_1)
	v_rcp_iflag_f32_e32 v1, s3
	v_nop
	v_readfirstlane_b32 s3, v1
	v_lshlrev_b32_e32 v1, 2, v0
	s_mul_f32 s3, s3, 0x4f7ffffe
	s_delay_alu instid0(VALU_DEP_1) | instskip(SKIP_1) | instid1(SALU_CYCLE_1)
	v_dual_add_nc_u32 v9, -4, v1 :: v_dual_bitop2_b32 v6, 3, v1 bitop3:0x54
	v_or_b32_e32 v7, 2, v1
	s_cvt_u32_f32 s3, s3
	v_or_b32_e32 v8, 1, v1
	s_delay_alu instid0(SALU_CYCLE_2) | instskip(NEXT) | instid1(SALU_CYCLE_1)
	s_mul_i32 s6, s6, s3
	s_mul_hi_u32 s6, s3, s6
	s_delay_alu instid0(SALU_CYCLE_1) | instskip(SKIP_4) | instid1(SALU_CYCLE_1)
	s_add_co_i32 s3, s3, s6
	s_mov_b32 s6, s0
	s_lshr_b32 s7, s3, 22
	s_load_b32 s3, s[10:11], s12 offset:0x0 scale_offset
	s_mul_i32 s8, s7, s2
	s_sub_co_i32 s0, 0x400, s8
	s_add_co_i32 s8, s7, 1
	s_sub_co_i32 s9, s0, s2
	s_cmp_ge_u32 s0, s2
	s_cselect_b32 s7, s8, s7
	s_cselect_b32 s0, s9, s0
	s_add_co_i32 s8, s7, 1
	s_cmp_ge_u32 s0, s2
	s_cselect_b32 s0, s8, s7
	s_mov_b32 s7, s1
	s_add_co_i32 s1, s0, 1
	s_branch .LBB158_2
.LBB158_1:                              ;   in Loop: Header=BB158_2 Depth=1
	s_or_b32 exec_lo, exec_lo, s0
	v_dual_sub_f32 v11, v3, v2 :: v_dual_sub_f32 v14, v2, v5
	s_wait_kmcnt 0x0
	v_cmp_gt_u32_e64 s0, s3, v6
	s_wait_dscnt 0x0
	v_dual_sub_f32 v12, v5, v4 :: v_dual_sub_f32 v10, v4, v10
	s_add_co_i32 s2, s2, -1
	v_cndmask_b32_e64 v11, v3, v11, s0
	v_cmp_gt_u32_e64 s0, s3, v8
	s_barrier_signal -1
	s_barrier_wait -1
	s_delay_alu instid0(VALU_DEP_1) | instskip(SKIP_1) | instid1(VALU_DEP_1)
	v_cndmask_b32_e64 v13, v5, v12, s0
	v_cmp_gt_u32_e64 s0, s3, v1
	v_cndmask_b32_e64 v12, v4, v10, s0
	v_cmp_gt_u32_e64 s0, s3, v7
	s_delay_alu instid0(VALU_DEP_2) | instskip(NEXT) | instid1(VALU_DEP_2)
	v_pk_add_f32 v[4:5], v[4:5], v[12:13]
	v_cndmask_b32_e64 v10, v2, v14, s0
	s_add_co_i32 s0, s1, s3
	s_delay_alu instid0(SALU_CYCLE_1) | instskip(SKIP_1) | instid1(VALU_DEP_1)
	s_and_b32 s3, s0, 0x3ff
	s_cmp_lg_u32 s2, 0
	v_pk_add_f32 v[2:3], v[2:3], v[10:11]
	s_cbranch_scc0 .LBB158_4
.LBB158_2:                              ; =>This Inner Loop Header: Depth=1
	v_mov_b32_e32 v10, 0x42f60000
	s_wait_loadcnt 0x0
	ds_store_b32 v1, v3
	s_wait_dscnt 0x0
	s_barrier_signal -1
	s_barrier_wait -1
	s_and_saveexec_b32 s0, vcc_lo
	s_cbranch_execz .LBB158_1
; %bb.3:                                ;   in Loop: Header=BB158_2 Depth=1
	ds_load_b32 v10, v9
	s_branch .LBB158_1
.LBB158_4:
	s_add_nc_u64 s[0:1], s[6:7], s[4:5]
	s_clause 0x3
	global_store_b32 v0, v4, s[0:1] scale_offset
	global_store_b32 v0, v5, s[0:1] offset:1024 scale_offset
	global_store_b32 v0, v2, s[0:1] offset:2048 scale_offset
	;; [unrolled: 1-line block ×3, first 2 shown]
	s_endpgm
	.section	.rodata,"a",@progbits
	.p2align	6, 0x0
	.amdhsa_kernel _Z6kernelI26subtract_left_partial_tileLj256ELj4ELb1EJPfPiS1_jEEvDpT3_
		.amdhsa_group_segment_fixed_size 2048
		.amdhsa_private_segment_fixed_size 0
		.amdhsa_kernarg_size 28
		.amdhsa_user_sgpr_count 2
		.amdhsa_user_sgpr_dispatch_ptr 0
		.amdhsa_user_sgpr_queue_ptr 0
		.amdhsa_user_sgpr_kernarg_segment_ptr 1
		.amdhsa_user_sgpr_dispatch_id 0
		.amdhsa_user_sgpr_kernarg_preload_length 0
		.amdhsa_user_sgpr_kernarg_preload_offset 0
		.amdhsa_user_sgpr_private_segment_size 0
		.amdhsa_wavefront_size32 1
		.amdhsa_uses_dynamic_stack 0
		.amdhsa_enable_private_segment 0
		.amdhsa_system_sgpr_workgroup_id_x 1
		.amdhsa_system_sgpr_workgroup_id_y 0
		.amdhsa_system_sgpr_workgroup_id_z 0
		.amdhsa_system_sgpr_workgroup_info 0
		.amdhsa_system_vgpr_workitem_id 0
		.amdhsa_next_free_vgpr 15
		.amdhsa_next_free_sgpr 13
		.amdhsa_named_barrier_count 0
		.amdhsa_reserve_vcc 1
		.amdhsa_float_round_mode_32 0
		.amdhsa_float_round_mode_16_64 0
		.amdhsa_float_denorm_mode_32 3
		.amdhsa_float_denorm_mode_16_64 3
		.amdhsa_fp16_overflow 0
		.amdhsa_memory_ordered 1
		.amdhsa_forward_progress 1
		.amdhsa_inst_pref_size 5
		.amdhsa_round_robin_scheduling 0
		.amdhsa_exception_fp_ieee_invalid_op 0
		.amdhsa_exception_fp_denorm_src 0
		.amdhsa_exception_fp_ieee_div_zero 0
		.amdhsa_exception_fp_ieee_overflow 0
		.amdhsa_exception_fp_ieee_underflow 0
		.amdhsa_exception_fp_ieee_inexact 0
		.amdhsa_exception_int_div_zero 0
	.end_amdhsa_kernel
	.section	.text._Z6kernelI26subtract_left_partial_tileLj256ELj4ELb1EJPfPiS1_jEEvDpT3_,"axG",@progbits,_Z6kernelI26subtract_left_partial_tileLj256ELj4ELb1EJPfPiS1_jEEvDpT3_,comdat
.Lfunc_end158:
	.size	_Z6kernelI26subtract_left_partial_tileLj256ELj4ELb1EJPfPiS1_jEEvDpT3_, .Lfunc_end158-_Z6kernelI26subtract_left_partial_tileLj256ELj4ELb1EJPfPiS1_jEEvDpT3_
                                        ; -- End function
	.set _Z6kernelI26subtract_left_partial_tileLj256ELj4ELb1EJPfPiS1_jEEvDpT3_.num_vgpr, 15
	.set _Z6kernelI26subtract_left_partial_tileLj256ELj4ELb1EJPfPiS1_jEEvDpT3_.num_agpr, 0
	.set _Z6kernelI26subtract_left_partial_tileLj256ELj4ELb1EJPfPiS1_jEEvDpT3_.numbered_sgpr, 13
	.set _Z6kernelI26subtract_left_partial_tileLj256ELj4ELb1EJPfPiS1_jEEvDpT3_.num_named_barrier, 0
	.set _Z6kernelI26subtract_left_partial_tileLj256ELj4ELb1EJPfPiS1_jEEvDpT3_.private_seg_size, 0
	.set _Z6kernelI26subtract_left_partial_tileLj256ELj4ELb1EJPfPiS1_jEEvDpT3_.uses_vcc, 1
	.set _Z6kernelI26subtract_left_partial_tileLj256ELj4ELb1EJPfPiS1_jEEvDpT3_.uses_flat_scratch, 0
	.set _Z6kernelI26subtract_left_partial_tileLj256ELj4ELb1EJPfPiS1_jEEvDpT3_.has_dyn_sized_stack, 0
	.set _Z6kernelI26subtract_left_partial_tileLj256ELj4ELb1EJPfPiS1_jEEvDpT3_.has_recursion, 0
	.set _Z6kernelI26subtract_left_partial_tileLj256ELj4ELb1EJPfPiS1_jEEvDpT3_.has_indirect_call, 0
	.section	.AMDGPU.csdata,"",@progbits
; Kernel info:
; codeLenInByte = 564
; TotalNumSgprs: 15
; NumVgprs: 15
; ScratchSize: 0
; MemoryBound: 0
; FloatMode: 240
; IeeeMode: 1
; LDSByteSize: 2048 bytes/workgroup (compile time only)
; SGPRBlocks: 0
; VGPRBlocks: 0
; NumSGPRsForWavesPerEU: 15
; NumVGPRsForWavesPerEU: 15
; NamedBarCnt: 0
; Occupancy: 16
; WaveLimiterHint : 1
; COMPUTE_PGM_RSRC2:SCRATCH_EN: 0
; COMPUTE_PGM_RSRC2:USER_SGPR: 2
; COMPUTE_PGM_RSRC2:TRAP_HANDLER: 0
; COMPUTE_PGM_RSRC2:TGID_X_EN: 1
; COMPUTE_PGM_RSRC2:TGID_Y_EN: 0
; COMPUTE_PGM_RSRC2:TGID_Z_EN: 0
; COMPUTE_PGM_RSRC2:TIDIG_COMP_CNT: 0
	.section	.text._Z6kernelI26subtract_left_partial_tileLj256ELj8ELb1EJPfPiS1_jEEvDpT3_,"axG",@progbits,_Z6kernelI26subtract_left_partial_tileLj256ELj8ELb1EJPfPiS1_jEEvDpT3_,comdat
	.protected	_Z6kernelI26subtract_left_partial_tileLj256ELj8ELb1EJPfPiS1_jEEvDpT3_ ; -- Begin function _Z6kernelI26subtract_left_partial_tileLj256ELj8ELb1EJPfPiS1_jEEvDpT3_
	.globl	_Z6kernelI26subtract_left_partial_tileLj256ELj8ELb1EJPfPiS1_jEEvDpT3_
	.p2align	8
	.type	_Z6kernelI26subtract_left_partial_tileLj256ELj8ELb1EJPfPiS1_jEEvDpT3_,@function
_Z6kernelI26subtract_left_partial_tileLj256ELj8ELb1EJPfPiS1_jEEvDpT3_: ; @_Z6kernelI26subtract_left_partial_tileLj256ELj8ELb1EJPfPiS1_jEEvDpT3_
; %bb.0:
	s_load_b128 s[4:7], s[0:1], 0x0
	s_bfe_u32 s2, ttmp6, 0x4000c
	s_and_b32 s3, ttmp6, 15
	s_add_co_i32 s2, s2, 1
	s_getreg_b32 s8, hwreg(HW_REG_IB_STS2, 6, 4)
	s_mul_i32 s2, ttmp9, s2
	v_dual_lshlrev_b32 v17, 3, v0 :: v_dual_lshlrev_b32 v22, 2, v0
	s_add_co_i32 s3, s3, s2
	s_cmp_eq_u32 s8, 0
	v_cmp_ne_u32_e32 vcc_lo, 0, v0
	s_cselect_b32 s10, ttmp9, s3
	s_mov_b32 s3, 0
	s_lshl_b32 s2, s10, 11
	v_or_b32_e32 v12, 6, v17
	s_lshl_b64 s[8:9], s[2:3], 2
	s_wait_xcnt 0x0
	s_load_b96 s[0:2], s[0:1], 0x10
	v_or_b32_e32 v13, 5, v17
	v_or_b32_e32 v14, 4, v17
	;; [unrolled: 1-line block ×3, first 2 shown]
	s_wait_kmcnt 0x0
	s_add_nc_u64 s[4:5], s[4:5], s[8:9]
	v_or_b32_e32 v16, 2, v17
	s_clause 0x7
	global_load_b32 v2, v0, s[4:5] scale_offset
	global_load_b32 v10, v0, s[4:5] offset:1024 scale_offset
	global_load_b32 v4, v0, s[4:5] offset:2048 scale_offset
	;; [unrolled: 1-line block ×7, first 2 shown]
	v_dual_add_nc_u32 v24, -4, v22 :: v_dual_bitop2_b32 v23, 1, v17 bitop3:0x54
	s_cvt_f32_u32 s3, s2
	s_wait_xcnt 0x0
	s_sub_co_i32 s4, 0, s2
	s_delay_alu instid0(SALU_CYCLE_1) | instskip(SKIP_1) | instid1(TRANS32_DEP_1)
	v_rcp_iflag_f32_e32 v1, s3
	v_nop
	v_readfirstlane_b32 s3, v1
	v_or_b32_e32 v1, 7, v17
	s_mul_f32 s3, s3, 0x4f7ffffe
	s_delay_alu instid0(SALU_CYCLE_3) | instskip(NEXT) | instid1(SALU_CYCLE_3)
	s_cvt_u32_f32 s3, s3
	s_mul_i32 s4, s4, s3
	s_delay_alu instid0(SALU_CYCLE_1) | instskip(NEXT) | instid1(SALU_CYCLE_1)
	s_mul_hi_u32 s4, s3, s4
	s_add_co_i32 s3, s3, s4
	s_mov_b32 s4, s0
	s_lshr_b32 s5, s3, 21
	s_delay_alu instid0(SALU_CYCLE_1)
	s_mul_i32 s3, s5, s2
	s_add_co_i32 s11, s5, 1
	s_sub_co_i32 s0, 0x800, s3
	s_load_b32 s3, s[6:7], s10 offset:0x0 scale_offset
	s_sub_co_i32 s12, s0, s2
	s_cmp_ge_u32 s0, s2
	s_cselect_b32 s5, s11, s5
	s_cselect_b32 s0, s12, s0
	s_wait_xcnt 0x0
	s_add_co_i32 s6, s5, 1
	s_cmp_ge_u32 s0, s2
	s_cselect_b32 s0, s6, s5
	s_mov_b32 s5, s1
	s_add_co_i32 s1, s0, 1
	s_branch .LBB159_2
.LBB159_1:                              ;   in Loop: Header=BB159_2 Depth=1
	s_or_b32 exec_lo, exec_lo, s0
	v_dual_mov_b32 v21, v8 :: v_dual_mov_b32 v7, v20
	v_dual_mov_b32 v19, v6 :: v_dual_mov_b32 v5, v18
	v_mov_b32_e32 v11, v4
	s_delay_alu instid0(VALU_DEP_3)
	v_pk_add_f32 v[26:27], v[8:9], v[20:21] neg_lo:[0,1] neg_hi:[0,1]
	s_wait_kmcnt 0x0
	v_cmp_gt_u32_e64 s0, s3, v1
	v_pk_add_f32 v[28:29], v[6:7], v[18:19] neg_lo:[0,1] neg_hi:[0,1]
	s_add_co_i32 s2, s2, -1
	v_pk_add_f32 v[30:31], v[4:5], v[10:11] neg_lo:[0,1] neg_hi:[0,1]
	s_wait_dscnt 0x0
	v_cndmask_b32_e64 v11, v9, v27, s0
	v_cmp_gt_u32_e64 s0, s3, v13
	s_barrier_signal -1
	s_barrier_wait -1
	s_delay_alu instid0(VALU_DEP_1) | instskip(SKIP_1) | instid1(VALU_DEP_1)
	v_cndmask_b32_e64 v19, v20, v29, s0
	v_cmp_gt_u32_e64 s0, s3, v15
	v_cndmask_b32_e64 v21, v18, v31, s0
	v_cmp_gt_u32_e64 s0, s3, v16
	v_sub_f32_e32 v18, v10, v2
	s_delay_alu instid0(VALU_DEP_2) | instskip(SKIP_1) | instid1(VALU_DEP_2)
	v_dual_sub_f32 v3, v2, v3 :: v_dual_cndmask_b32 v20, v4, v30, s0
	v_cmp_gt_u32_e64 s0, s3, v23
	v_pk_add_f32 v[4:5], v[4:5], v[20:21]
	s_delay_alu instid0(VALU_DEP_2) | instskip(SKIP_1) | instid1(VALU_DEP_1)
	v_cndmask_b32_e64 v31, v10, v18, s0
	v_cmp_gt_u32_e64 s0, s3, v17
	v_cndmask_b32_e64 v30, v2, v3, s0
	v_cmp_gt_u32_e64 s0, s3, v14
	v_mov_b32_e32 v3, v10
	s_delay_alu instid0(VALU_DEP_2) | instskip(SKIP_1) | instid1(VALU_DEP_2)
	v_cndmask_b32_e64 v18, v6, v28, s0
	v_cmp_gt_u32_e64 s0, s3, v12
	v_pk_add_f32 v[6:7], v[6:7], v[18:19]
	s_delay_alu instid0(VALU_DEP_2) | instskip(SKIP_2) | instid1(VALU_DEP_3)
	v_cndmask_b32_e64 v10, v8, v26, s0
	v_pk_add_f32 v[2:3], v[2:3], v[30:31]
	s_add_co_i32 s0, s1, s3
	v_dual_mov_b32 v18, v5 :: v_dual_mov_b32 v20, v7
	s_delay_alu instid0(VALU_DEP_3) | instskip(NEXT) | instid1(VALU_DEP_3)
	v_pk_add_f32 v[8:9], v[8:9], v[10:11]
	v_mov_b32_e32 v10, v3
	s_and_b32 s3, s0, 0x7ff
	s_cmp_lg_u32 s2, 0
	s_cbranch_scc0 .LBB159_4
.LBB159_2:                              ; =>This Inner Loop Header: Depth=1
	v_mov_b32_e32 v3, 0x42f60000
	s_wait_loadcnt 0x0
	ds_store_b32 v22, v9
	s_wait_dscnt 0x0
	s_barrier_signal -1
	s_barrier_wait -1
	s_and_saveexec_b32 s0, vcc_lo
	s_cbranch_execz .LBB159_1
; %bb.3:                                ;   in Loop: Header=BB159_2 Depth=1
	ds_load_b32 v3, v24
	s_branch .LBB159_1
.LBB159_4:
	s_add_nc_u64 s[0:1], s[4:5], s[8:9]
	s_clause 0x7
	global_store_b32 v0, v2, s[0:1] scale_offset
	global_store_b32 v0, v3, s[0:1] offset:1024 scale_offset
	global_store_b32 v0, v4, s[0:1] offset:2048 scale_offset
	;; [unrolled: 1-line block ×7, first 2 shown]
	s_endpgm
	.section	.rodata,"a",@progbits
	.p2align	6, 0x0
	.amdhsa_kernel _Z6kernelI26subtract_left_partial_tileLj256ELj8ELb1EJPfPiS1_jEEvDpT3_
		.amdhsa_group_segment_fixed_size 2048
		.amdhsa_private_segment_fixed_size 0
		.amdhsa_kernarg_size 28
		.amdhsa_user_sgpr_count 2
		.amdhsa_user_sgpr_dispatch_ptr 0
		.amdhsa_user_sgpr_queue_ptr 0
		.amdhsa_user_sgpr_kernarg_segment_ptr 1
		.amdhsa_user_sgpr_dispatch_id 0
		.amdhsa_user_sgpr_kernarg_preload_length 0
		.amdhsa_user_sgpr_kernarg_preload_offset 0
		.amdhsa_user_sgpr_private_segment_size 0
		.amdhsa_wavefront_size32 1
		.amdhsa_uses_dynamic_stack 0
		.amdhsa_enable_private_segment 0
		.amdhsa_system_sgpr_workgroup_id_x 1
		.amdhsa_system_sgpr_workgroup_id_y 0
		.amdhsa_system_sgpr_workgroup_id_z 0
		.amdhsa_system_sgpr_workgroup_info 0
		.amdhsa_system_vgpr_workitem_id 0
		.amdhsa_next_free_vgpr 32
		.amdhsa_next_free_sgpr 13
		.amdhsa_named_barrier_count 0
		.amdhsa_reserve_vcc 1
		.amdhsa_float_round_mode_32 0
		.amdhsa_float_round_mode_16_64 0
		.amdhsa_float_denorm_mode_32 3
		.amdhsa_float_denorm_mode_16_64 3
		.amdhsa_fp16_overflow 0
		.amdhsa_memory_ordered 1
		.amdhsa_forward_progress 1
		.amdhsa_inst_pref_size 7
		.amdhsa_round_robin_scheduling 0
		.amdhsa_exception_fp_ieee_invalid_op 0
		.amdhsa_exception_fp_denorm_src 0
		.amdhsa_exception_fp_ieee_div_zero 0
		.amdhsa_exception_fp_ieee_overflow 0
		.amdhsa_exception_fp_ieee_underflow 0
		.amdhsa_exception_fp_ieee_inexact 0
		.amdhsa_exception_int_div_zero 0
	.end_amdhsa_kernel
	.section	.text._Z6kernelI26subtract_left_partial_tileLj256ELj8ELb1EJPfPiS1_jEEvDpT3_,"axG",@progbits,_Z6kernelI26subtract_left_partial_tileLj256ELj8ELb1EJPfPiS1_jEEvDpT3_,comdat
.Lfunc_end159:
	.size	_Z6kernelI26subtract_left_partial_tileLj256ELj8ELb1EJPfPiS1_jEEvDpT3_, .Lfunc_end159-_Z6kernelI26subtract_left_partial_tileLj256ELj8ELb1EJPfPiS1_jEEvDpT3_
                                        ; -- End function
	.set _Z6kernelI26subtract_left_partial_tileLj256ELj8ELb1EJPfPiS1_jEEvDpT3_.num_vgpr, 32
	.set _Z6kernelI26subtract_left_partial_tileLj256ELj8ELb1EJPfPiS1_jEEvDpT3_.num_agpr, 0
	.set _Z6kernelI26subtract_left_partial_tileLj256ELj8ELb1EJPfPiS1_jEEvDpT3_.numbered_sgpr, 13
	.set _Z6kernelI26subtract_left_partial_tileLj256ELj8ELb1EJPfPiS1_jEEvDpT3_.num_named_barrier, 0
	.set _Z6kernelI26subtract_left_partial_tileLj256ELj8ELb1EJPfPiS1_jEEvDpT3_.private_seg_size, 0
	.set _Z6kernelI26subtract_left_partial_tileLj256ELj8ELb1EJPfPiS1_jEEvDpT3_.uses_vcc, 1
	.set _Z6kernelI26subtract_left_partial_tileLj256ELj8ELb1EJPfPiS1_jEEvDpT3_.uses_flat_scratch, 0
	.set _Z6kernelI26subtract_left_partial_tileLj256ELj8ELb1EJPfPiS1_jEEvDpT3_.has_dyn_sized_stack, 0
	.set _Z6kernelI26subtract_left_partial_tileLj256ELj8ELb1EJPfPiS1_jEEvDpT3_.has_recursion, 0
	.set _Z6kernelI26subtract_left_partial_tileLj256ELj8ELb1EJPfPiS1_jEEvDpT3_.has_indirect_call, 0
	.section	.AMDGPU.csdata,"",@progbits
; Kernel info:
; codeLenInByte = 840
; TotalNumSgprs: 15
; NumVgprs: 32
; ScratchSize: 0
; MemoryBound: 0
; FloatMode: 240
; IeeeMode: 1
; LDSByteSize: 2048 bytes/workgroup (compile time only)
; SGPRBlocks: 0
; VGPRBlocks: 1
; NumSGPRsForWavesPerEU: 15
; NumVGPRsForWavesPerEU: 32
; NamedBarCnt: 0
; Occupancy: 16
; WaveLimiterHint : 1
; COMPUTE_PGM_RSRC2:SCRATCH_EN: 0
; COMPUTE_PGM_RSRC2:USER_SGPR: 2
; COMPUTE_PGM_RSRC2:TRAP_HANDLER: 0
; COMPUTE_PGM_RSRC2:TGID_X_EN: 1
; COMPUTE_PGM_RSRC2:TGID_Y_EN: 0
; COMPUTE_PGM_RSRC2:TGID_Z_EN: 0
; COMPUTE_PGM_RSRC2:TIDIG_COMP_CNT: 0
	.section	.text._Z6kernelI26subtract_left_partial_tileLj256ELj16ELb1EJPfPiS1_jEEvDpT3_,"axG",@progbits,_Z6kernelI26subtract_left_partial_tileLj256ELj16ELb1EJPfPiS1_jEEvDpT3_,comdat
	.protected	_Z6kernelI26subtract_left_partial_tileLj256ELj16ELb1EJPfPiS1_jEEvDpT3_ ; -- Begin function _Z6kernelI26subtract_left_partial_tileLj256ELj16ELb1EJPfPiS1_jEEvDpT3_
	.globl	_Z6kernelI26subtract_left_partial_tileLj256ELj16ELb1EJPfPiS1_jEEvDpT3_
	.p2align	8
	.type	_Z6kernelI26subtract_left_partial_tileLj256ELj16ELb1EJPfPiS1_jEEvDpT3_,@function
_Z6kernelI26subtract_left_partial_tileLj256ELj16ELb1EJPfPiS1_jEEvDpT3_: ; @_Z6kernelI26subtract_left_partial_tileLj256ELj16ELb1EJPfPiS1_jEEvDpT3_
; %bb.0:
	s_load_b128 s[4:7], s[0:1], 0x0
	s_bfe_u32 s2, ttmp6, 0x4000c
	s_and_b32 s3, ttmp6, 15
	s_add_co_i32 s2, s2, 1
	s_getreg_b32 s8, hwreg(HW_REG_IB_STS2, 6, 4)
	s_mul_i32 s2, ttmp9, s2
	v_dual_lshlrev_b32 v20, 4, v0 :: v_dual_lshlrev_b32 v21, 2, v0
	s_add_co_i32 s3, s3, s2
	s_cmp_eq_u32 s8, 0
	v_cmp_ne_u32_e32 vcc_lo, 0, v0
	s_cselect_b32 s10, ttmp9, s3
	s_mov_b32 s3, 0
	s_lshl_b32 s2, s10, 12
	v_dual_add_nc_u32 v35, -4, v21 :: v_dual_bitop2_b32 v22, 15, v20 bitop3:0x54
	s_lshl_b64 s[8:9], s[2:3], 2
	s_wait_xcnt 0x0
	s_load_b96 s[0:2], s[0:1], 0x10
	v_or_b32_e32 v24, 13, v20
	v_or_b32_e32 v25, 12, v20
	s_wait_kmcnt 0x0
	s_add_nc_u64 s[4:5], s[4:5], s[8:9]
	v_or_b32_e32 v26, 11, v20
	s_clause 0xf
	global_load_b32 v5, v0, s[4:5] scale_offset
	global_load_b32 v3, v0, s[4:5] offset:1024 scale_offset
	global_load_b32 v2, v0, s[4:5] offset:2048 scale_offset
	;; [unrolled: 1-line block ×15, first 2 shown]
	v_or_b32_e32 v23, 14, v20
	v_or_b32_e32 v27, 10, v20
	v_or_b32_e32 v28, 9, v20
	v_or_b32_e32 v29, 8, v20
	v_or_b32_e32 v30, 7, v20
	v_or_b32_e32 v31, 6, v20
	v_or_b32_e32 v32, 5, v20
	v_or_b32_e32 v33, 4, v20
	v_or_b32_e32 v34, 3, v20
	v_or_b32_e32 v6, 2, v20
	s_cvt_f32_u32 s3, s2
	s_wait_xcnt 0x0
	s_sub_co_i32 s4, 0, s2
	s_delay_alu instid0(SALU_CYCLE_1) | instskip(SKIP_1) | instid1(TRANS32_DEP_1)
	v_rcp_iflag_f32_e32 v1, s3
	v_nop
	v_readfirstlane_b32 s3, v1
	v_or_b32_e32 v1, 1, v20
	s_mul_f32 s3, s3, 0x4f7ffffe
	s_delay_alu instid0(SALU_CYCLE_3) | instskip(NEXT) | instid1(SALU_CYCLE_3)
	s_cvt_u32_f32 s3, s3
	s_mul_i32 s4, s4, s3
	s_delay_alu instid0(SALU_CYCLE_1) | instskip(NEXT) | instid1(SALU_CYCLE_1)
	s_mul_hi_u32 s4, s3, s4
	s_add_co_i32 s3, s3, s4
	s_mov_b32 s4, s0
	s_lshr_b32 s5, s3, 20
	s_delay_alu instid0(SALU_CYCLE_1)
	s_mul_i32 s3, s5, s2
	s_add_co_i32 s11, s5, 1
	s_sub_co_i32 s0, 0x1000, s3
	s_load_b32 s3, s[6:7], s10 offset:0x0 scale_offset
	s_sub_co_i32 s12, s0, s2
	s_cmp_ge_u32 s0, s2
	s_cselect_b32 s5, s11, s5
	s_cselect_b32 s0, s12, s0
	s_wait_xcnt 0x0
	s_add_co_i32 s6, s5, 1
	s_cmp_ge_u32 s0, s2
	s_cselect_b32 s0, s6, s5
	s_mov_b32 s5, s1
	s_add_co_i32 s1, s0, 1
	s_wait_loadcnt 0xe
	v_mov_b32_e32 v4, v3
	s_branch .LBB160_2
.LBB160_1:                              ;   in Loop: Header=BB160_2 Depth=1
	s_or_b32 exec_lo, exec_lo, s0
	v_dual_sub_f32 v37, v19, v7 :: v_dual_sub_f32 v39, v8, v9
	s_wait_kmcnt 0x0
	v_cmp_gt_u32_e64 s0, s3, v22
	v_dual_sub_f32 v38, v7, v8 :: v_dual_sub_f32 v49, v17, v18
	v_sub_f32_e32 v51, v16, v17
	s_add_co_i32 s2, s2, -1
	v_cndmask_b32_e64 v40, v19, v37, s0
	v_cmp_gt_u32_e64 s0, s3, v23
	v_sub_f32_e32 v37, v9, v10
	s_wait_dscnt 0x0
	s_barrier_signal -1
	s_barrier_wait -1
	v_dual_cndmask_b32 v41, v7, v38, s0 :: v_dual_sub_f32 v38, v10, v11
	v_cmp_gt_u32_e64 s0, s3, v24
	s_delay_alu instid0(VALU_DEP_2) | instskip(NEXT) | instid1(VALU_DEP_2)
	v_dual_sub_f32 v52, v18, v2 :: v_dual_add_f32 v7, v7, v41
	v_cndmask_b32_e64 v42, v8, v39, s0
	v_cmp_gt_u32_e64 s0, s3, v25
	s_delay_alu instid0(VALU_DEP_2) | instskip(NEXT) | instid1(VALU_DEP_2)
	v_dual_add_f32 v19, v19, v40 :: v_dual_add_f32 v8, v8, v42
	v_dual_cndmask_b32 v43, v9, v37, s0 :: v_dual_sub_f32 v37, v11, v12
	v_cmp_gt_u32_e64 s0, s3, v26
	s_delay_alu instid0(VALU_DEP_1) | instskip(SKIP_2) | instid1(VALU_DEP_1)
	v_dual_add_f32 v9, v9, v43 :: v_dual_cndmask_b32 v44, v10, v38, s0
	v_sub_f32_e32 v38, v12, v13
	v_cmp_gt_u32_e64 s0, s3, v27
	v_dual_add_f32 v10, v10, v44 :: v_dual_cndmask_b32 v45, v11, v37, s0
	v_sub_f32_e32 v37, v13, v14
	v_cmp_gt_u32_e64 s0, s3, v28
	s_delay_alu instid0(VALU_DEP_1) | instskip(SKIP_2) | instid1(VALU_DEP_1)
	v_dual_add_f32 v11, v11, v45 :: v_dual_cndmask_b32 v46, v12, v38, s0
	v_sub_f32_e32 v38, v14, v15
	v_cmp_gt_u32_e64 s0, s3, v29
	v_dual_add_f32 v12, v12, v46 :: v_dual_cndmask_b32 v47, v13, v37, s0
	v_sub_f32_e32 v37, v15, v16
	v_cmp_gt_u32_e64 s0, s3, v30
	s_delay_alu instid0(VALU_DEP_1) | instskip(SKIP_2) | instid1(VALU_DEP_2)
	v_dual_add_f32 v13, v13, v47 :: v_dual_cndmask_b32 v48, v14, v38, s0
	v_cmp_gt_u32_e64 s0, s3, v31
	v_pk_add_f32 v[38:39], v[2:3], v[4:5] neg_lo:[0,1] neg_hi:[0,1]
	v_cndmask_b32_e64 v50, v15, v37, s0
	v_cmp_gt_u32_e64 s0, s3, v33
	s_delay_alu instid0(VALU_DEP_2) | instskip(NEXT) | instid1(VALU_DEP_2)
	v_dual_add_f32 v14, v14, v48 :: v_dual_add_f32 v15, v15, v50
	v_cndmask_b32_e64 v49, v17, v49, s0
	v_cmp_gt_u32_e64 s0, s3, v1
	s_delay_alu instid0(VALU_DEP_1) | instskip(SKIP_1) | instid1(VALU_DEP_1)
	v_dual_sub_f32 v53, v5, v36 :: v_dual_cndmask_b32 v37, v3, v39, s0
	v_cmp_gt_u32_e64 s0, s3, v6
	v_cndmask_b32_e64 v36, v2, v38, s0
	v_cmp_gt_u32_e64 s0, s3, v20
	s_delay_alu instid0(VALU_DEP_1) | instskip(SKIP_3) | instid1(VALU_DEP_3)
	v_cndmask_b32_e64 v39, v5, v53, s0
	v_cmp_gt_u32_e64 s0, s3, v34
	v_mov_b32_e32 v38, v37
	v_pk_add_f32 v[2:3], v[2:3], v[36:37]
	v_cndmask_b32_e64 v52, v18, v52, s0
	v_cmp_gt_u32_e64 s0, s3, v32
	s_delay_alu instid0(VALU_DEP_4) | instskip(NEXT) | instid1(VALU_DEP_2)
	v_pk_add_f32 v[4:5], v[4:5], v[38:39]
	v_dual_add_f32 v18, v18, v52 :: v_dual_cndmask_b32 v51, v16, v51, s0
	v_add_f32_e32 v17, v17, v49
	s_add_co_i32 s0, s1, s3
	s_delay_alu instid0(SALU_CYCLE_1) | instskip(NEXT) | instid1(VALU_DEP_2)
	s_and_b32 s3, s0, 0xfff
	v_add_f32_e32 v16, v16, v51
	s_cmp_lg_u32 s2, 0
	s_cbranch_scc0 .LBB160_4
.LBB160_2:                              ; =>This Inner Loop Header: Depth=1
	v_mov_b32_e32 v36, 0x42f60000
	s_wait_loadcnt 0x0
	ds_store_b32 v21, v19
	s_wait_dscnt 0x0
	s_barrier_signal -1
	s_barrier_wait -1
	s_and_saveexec_b32 s0, vcc_lo
	s_cbranch_execz .LBB160_1
; %bb.3:                                ;   in Loop: Header=BB160_2 Depth=1
	ds_load_b32 v36, v35
	s_branch .LBB160_1
.LBB160_4:
	s_add_nc_u64 s[0:1], s[4:5], s[8:9]
	s_clause 0xf
	global_store_b32 v0, v5, s[0:1] scale_offset
	global_store_b32 v0, v3, s[0:1] offset:1024 scale_offset
	global_store_b32 v0, v2, s[0:1] offset:2048 scale_offset
	;; [unrolled: 1-line block ×15, first 2 shown]
	s_endpgm
	.section	.rodata,"a",@progbits
	.p2align	6, 0x0
	.amdhsa_kernel _Z6kernelI26subtract_left_partial_tileLj256ELj16ELb1EJPfPiS1_jEEvDpT3_
		.amdhsa_group_segment_fixed_size 2048
		.amdhsa_private_segment_fixed_size 0
		.amdhsa_kernarg_size 28
		.amdhsa_user_sgpr_count 2
		.amdhsa_user_sgpr_dispatch_ptr 0
		.amdhsa_user_sgpr_queue_ptr 0
		.amdhsa_user_sgpr_kernarg_segment_ptr 1
		.amdhsa_user_sgpr_dispatch_id 0
		.amdhsa_user_sgpr_kernarg_preload_length 0
		.amdhsa_user_sgpr_kernarg_preload_offset 0
		.amdhsa_user_sgpr_private_segment_size 0
		.amdhsa_wavefront_size32 1
		.amdhsa_uses_dynamic_stack 0
		.amdhsa_enable_private_segment 0
		.amdhsa_system_sgpr_workgroup_id_x 1
		.amdhsa_system_sgpr_workgroup_id_y 0
		.amdhsa_system_sgpr_workgroup_id_z 0
		.amdhsa_system_sgpr_workgroup_info 0
		.amdhsa_system_vgpr_workitem_id 0
		.amdhsa_next_free_vgpr 54
		.amdhsa_next_free_sgpr 13
		.amdhsa_named_barrier_count 0
		.amdhsa_reserve_vcc 1
		.amdhsa_float_round_mode_32 0
		.amdhsa_float_round_mode_16_64 0
		.amdhsa_float_denorm_mode_32 3
		.amdhsa_float_denorm_mode_16_64 3
		.amdhsa_fp16_overflow 0
		.amdhsa_memory_ordered 1
		.amdhsa_forward_progress 1
		.amdhsa_inst_pref_size 10
		.amdhsa_round_robin_scheduling 0
		.amdhsa_exception_fp_ieee_invalid_op 0
		.amdhsa_exception_fp_denorm_src 0
		.amdhsa_exception_fp_ieee_div_zero 0
		.amdhsa_exception_fp_ieee_overflow 0
		.amdhsa_exception_fp_ieee_underflow 0
		.amdhsa_exception_fp_ieee_inexact 0
		.amdhsa_exception_int_div_zero 0
	.end_amdhsa_kernel
	.section	.text._Z6kernelI26subtract_left_partial_tileLj256ELj16ELb1EJPfPiS1_jEEvDpT3_,"axG",@progbits,_Z6kernelI26subtract_left_partial_tileLj256ELj16ELb1EJPfPiS1_jEEvDpT3_,comdat
.Lfunc_end160:
	.size	_Z6kernelI26subtract_left_partial_tileLj256ELj16ELb1EJPfPiS1_jEEvDpT3_, .Lfunc_end160-_Z6kernelI26subtract_left_partial_tileLj256ELj16ELb1EJPfPiS1_jEEvDpT3_
                                        ; -- End function
	.set _Z6kernelI26subtract_left_partial_tileLj256ELj16ELb1EJPfPiS1_jEEvDpT3_.num_vgpr, 54
	.set _Z6kernelI26subtract_left_partial_tileLj256ELj16ELb1EJPfPiS1_jEEvDpT3_.num_agpr, 0
	.set _Z6kernelI26subtract_left_partial_tileLj256ELj16ELb1EJPfPiS1_jEEvDpT3_.numbered_sgpr, 13
	.set _Z6kernelI26subtract_left_partial_tileLj256ELj16ELb1EJPfPiS1_jEEvDpT3_.num_named_barrier, 0
	.set _Z6kernelI26subtract_left_partial_tileLj256ELj16ELb1EJPfPiS1_jEEvDpT3_.private_seg_size, 0
	.set _Z6kernelI26subtract_left_partial_tileLj256ELj16ELb1EJPfPiS1_jEEvDpT3_.uses_vcc, 1
	.set _Z6kernelI26subtract_left_partial_tileLj256ELj16ELb1EJPfPiS1_jEEvDpT3_.uses_flat_scratch, 0
	.set _Z6kernelI26subtract_left_partial_tileLj256ELj16ELb1EJPfPiS1_jEEvDpT3_.has_dyn_sized_stack, 0
	.set _Z6kernelI26subtract_left_partial_tileLj256ELj16ELb1EJPfPiS1_jEEvDpT3_.has_recursion, 0
	.set _Z6kernelI26subtract_left_partial_tileLj256ELj16ELb1EJPfPiS1_jEEvDpT3_.has_indirect_call, 0
	.section	.AMDGPU.csdata,"",@progbits
; Kernel info:
; codeLenInByte = 1240
; TotalNumSgprs: 15
; NumVgprs: 54
; ScratchSize: 0
; MemoryBound: 0
; FloatMode: 240
; IeeeMode: 1
; LDSByteSize: 2048 bytes/workgroup (compile time only)
; SGPRBlocks: 0
; VGPRBlocks: 3
; NumSGPRsForWavesPerEU: 15
; NumVGPRsForWavesPerEU: 54
; NamedBarCnt: 0
; Occupancy: 16
; WaveLimiterHint : 1
; COMPUTE_PGM_RSRC2:SCRATCH_EN: 0
; COMPUTE_PGM_RSRC2:USER_SGPR: 2
; COMPUTE_PGM_RSRC2:TRAP_HANDLER: 0
; COMPUTE_PGM_RSRC2:TGID_X_EN: 1
; COMPUTE_PGM_RSRC2:TGID_Y_EN: 0
; COMPUTE_PGM_RSRC2:TGID_Z_EN: 0
; COMPUTE_PGM_RSRC2:TIDIG_COMP_CNT: 0
	.section	.text._Z6kernelI26subtract_left_partial_tileLj256ELj32ELb1EJPfPiS1_jEEvDpT3_,"axG",@progbits,_Z6kernelI26subtract_left_partial_tileLj256ELj32ELb1EJPfPiS1_jEEvDpT3_,comdat
	.protected	_Z6kernelI26subtract_left_partial_tileLj256ELj32ELb1EJPfPiS1_jEEvDpT3_ ; -- Begin function _Z6kernelI26subtract_left_partial_tileLj256ELj32ELb1EJPfPiS1_jEEvDpT3_
	.globl	_Z6kernelI26subtract_left_partial_tileLj256ELj32ELb1EJPfPiS1_jEEvDpT3_
	.p2align	8
	.type	_Z6kernelI26subtract_left_partial_tileLj256ELj32ELb1EJPfPiS1_jEEvDpT3_,@function
_Z6kernelI26subtract_left_partial_tileLj256ELj32ELb1EJPfPiS1_jEEvDpT3_: ; @_Z6kernelI26subtract_left_partial_tileLj256ELj32ELb1EJPfPiS1_jEEvDpT3_
; %bb.0:
	s_load_b128 s[4:7], s[0:1], 0x0
	s_bfe_u32 s2, ttmp6, 0x4000c
	s_and_b32 s3, ttmp6, 15
	s_add_co_i32 s2, s2, 1
	s_getreg_b32 s8, hwreg(HW_REG_IB_STS2, 6, 4)
	s_mul_i32 s2, ttmp9, s2
	s_mov_b32 s9, 0
	s_add_co_i32 s3, s3, s2
	s_cmp_eq_u32 s8, 0
	v_dual_lshlrev_b32 v36, 5, v0 :: v_dual_lshlrev_b32 v37, 2, v0
	s_cselect_b32 s2, ttmp9, s3
	v_cmp_ne_u32_e32 vcc_lo, 0, v0
	s_lshl_b32 s8, s2, 13
	s_delay_alu instid0(VALU_DEP_2)
	v_dual_add_nc_u32 v53, -4, v37 :: v_dual_bitop2_b32 v38, 17, v36 bitop3:0x54
	s_lshl_b64 s[12:13], s[8:9], 2
	s_load_b96 s[8:10], s[0:1], 0x10
	v_or_b32_e32 v40, 15, v36
	v_or_b32_e32 v41, 14, v36
	s_wait_kmcnt 0x0
	s_add_nc_u64 s[0:1], s[4:5], s[12:13]
	v_or_b32_e32 v42, 13, v36
	s_clause 0x1f
	global_load_b32 v5, v0, s[0:1] scale_offset
	global_load_b32 v3, v0, s[0:1] offset:1024 scale_offset
	global_load_b32 v2, v0, s[0:1] offset:2048 scale_offset
	;; [unrolled: 1-line block ×31, first 2 shown]
	s_load_b32 s7, s[6:7], s2 offset:0x0 scale_offset
	v_or_b32_e32 v39, 16, v36
	v_or_b32_e32 v43, 12, v36
	;; [unrolled: 1-line block ×12, first 2 shown]
	s_cvt_f32_u32 s0, s10
	s_sub_co_i32 s1, 0, s10
	s_delay_alu instid0(SALU_CYCLE_2) | instskip(SKIP_1) | instid1(TRANS32_DEP_1)
	v_rcp_iflag_f32_e32 v1, s0
	v_nop
	v_readfirstlane_b32 s0, v1
	v_or_b32_e32 v1, 1, v36
	s_mul_f32 s0, s0, 0x4f7ffffe
	s_delay_alu instid0(SALU_CYCLE_3) | instskip(NEXT) | instid1(SALU_CYCLE_3)
	s_cvt_u32_f32 s0, s0
	s_mul_i32 s1, s1, s0
	s_delay_alu instid0(SALU_CYCLE_1) | instskip(NEXT) | instid1(SALU_CYCLE_1)
	s_mul_hi_u32 s1, s0, s1
	s_add_co_i32 s0, s0, s1
	s_delay_alu instid0(SALU_CYCLE_1) | instskip(NEXT) | instid1(SALU_CYCLE_1)
	s_lshr_b32 s0, s0, 19
	s_mul_i32 s1, s0, s10
	s_wait_xcnt 0x0
	s_add_co_i32 s2, s0, 1
	s_sub_co_i32 s1, 0x2000, s1
	s_delay_alu instid0(SALU_CYCLE_1)
	s_sub_co_i32 s3, s1, s10
	s_cmp_ge_u32 s1, s10
	s_cselect_b32 s0, s2, s0
	s_cselect_b32 s1, s3, s1
	s_add_co_i32 s2, s0, 1
	s_cmp_ge_u32 s1, s10
	s_cselect_b32 s11, s2, s0
	s_delay_alu instid0(SALU_CYCLE_1)
	s_add_co_i32 s11, s11, 1
	s_wait_loadcnt 0x1e
	v_mov_b32_e32 v4, v3
	s_branch .LBB161_2
.LBB161_1:                              ;   in Loop: Header=BB161_2 Depth=1
	s_or_b32 exec_lo, exec_lo, s0
	v_pk_add_f32 v[56:57], v[2:3], v[4:5] neg_lo:[0,1] neg_hi:[0,1]
	s_wait_kmcnt 0x0
	v_cmp_gt_u32_e64 s1, s7, v1
	v_or_b32_e32 v55, 30, v36
	v_cmp_gt_u32_e64 s3, s7, v36
	v_cmp_gt_u32_e64 s4, s7, v50
	s_wait_dscnt 0x0
	v_dual_sub_f32 v54, v5, v54 :: v_dual_cndmask_b32 v57, v3, v57, s1
	v_cmp_gt_u32_e64 s0, s7, v55
	v_or_b32_e32 v55, 29, v36
	v_cmp_gt_u32_e64 s1, s7, v6
	v_dual_sub_f32 v61, v9, v10 :: v_dual_bitop2_b32 v59, 28, v36 bitop3:0x54
	v_cmp_gt_u32_e64 s6, s7, v38
	v_dual_sub_f32 v58, v7, v8 :: v_dual_sub_f32 v60, v8, v9
	s_delay_alu instid0(VALU_DEP_4)
	v_cndmask_b32_e64 v56, v2, v56, s1
	v_cmp_gt_u32_e64 s1, s7, v55
	v_cndmask_b32_e64 v55, v5, v54, s3
	v_mov_b32_e32 v54, v57
	v_cmp_gt_u32_e64 s3, s7, v52
	v_cmp_gt_u32_e64 s2, s7, v59
	s_add_co_i32 s10, s10, -1
	v_pk_add_f32 v[4:5], v[4:5], v[54:55]
	v_sub_f32_e32 v54, v34, v2
	v_sub_f32_e32 v55, v33, v34
	v_pk_add_f32 v[2:3], v[2:3], v[56:57]
	v_or_b32_e32 v57, 26, v36
	s_delay_alu instid0(VALU_DEP_4) | instskip(SKIP_4) | instid1(VALU_DEP_2)
	v_dual_sub_f32 v56, v11, v12 :: v_dual_cndmask_b32 v54, v34, v54, s3
	v_cmp_gt_u32_e64 s3, s7, v51
	s_barrier_signal -1
	s_barrier_wait -1
	v_sub_f32_e32 v59, v18, v19
	v_cndmask_b32_e64 v55, v33, v55, s3
	v_cmp_gt_u32_e64 s3, s7, v57
	v_dual_sub_f32 v57, v32, v33 :: v_dual_add_f32 v34, v34, v54
	s_delay_alu instid0(VALU_DEP_3) | instskip(NEXT) | instid1(VALU_DEP_2)
	v_dual_sub_f32 v54, v31, v32 :: v_dual_add_f32 v33, v33, v55
	v_cndmask_b32_e64 v57, v32, v57, s4
	v_cmp_gt_u32_e64 s4, s7, v49
	s_delay_alu instid0(VALU_DEP_2) | instskip(NEXT) | instid1(VALU_DEP_2)
	v_dual_sub_f32 v55, v30, v31 :: v_dual_add_f32 v32, v32, v57
	v_cndmask_b32_e64 v54, v31, v54, s4
	v_cmp_gt_u32_e64 s4, s7, v48
	s_delay_alu instid0(VALU_DEP_1) | instskip(SKIP_1) | instid1(VALU_DEP_4)
	v_dual_sub_f32 v57, v29, v30 :: v_dual_cndmask_b32 v55, v30, v55, s4
	v_cmp_gt_u32_e64 s4, s7, v47
	v_dual_add_f32 v31, v31, v54 :: v_dual_sub_f32 v54, v28, v29
	s_delay_alu instid0(VALU_DEP_3) | instskip(NEXT) | instid1(VALU_DEP_3)
	v_dual_add_f32 v30, v30, v55 :: v_dual_sub_f32 v55, v27, v28
	v_cndmask_b32_e64 v57, v29, v57, s4
	v_cmp_gt_u32_e64 s4, s7, v46
	s_delay_alu instid0(VALU_DEP_2) | instskip(NEXT) | instid1(VALU_DEP_2)
	v_dual_add_f32 v29, v29, v57 :: v_dual_sub_f32 v57, v26, v27
	v_cndmask_b32_e64 v54, v28, v54, s4
	v_cmp_gt_u32_e64 s4, s7, v45
	s_delay_alu instid0(VALU_DEP_1) | instskip(SKIP_1) | instid1(VALU_DEP_4)
	v_cndmask_b32_e64 v55, v27, v55, s4
	v_cmp_gt_u32_e64 s4, s7, v44
	v_add_f32_e32 v28, v28, v54
	s_delay_alu instid0(VALU_DEP_3) | instskip(SKIP_1) | instid1(VALU_DEP_4)
	v_dual_sub_f32 v54, v25, v26 :: v_dual_add_f32 v27, v27, v55
	v_sub_f32_e32 v55, v24, v25
	v_cndmask_b32_e64 v57, v26, v57, s4
	v_cmp_gt_u32_e64 s4, s7, v43
	s_delay_alu instid0(VALU_DEP_1) | instskip(SKIP_1) | instid1(VALU_DEP_4)
	v_cndmask_b32_e64 v54, v25, v54, s4
	v_cmp_gt_u32_e64 s4, s7, v42
	v_dual_add_f32 v26, v26, v57 :: v_dual_sub_f32 v57, v23, v24
	s_delay_alu instid0(VALU_DEP_2) | instskip(SKIP_2) | instid1(VALU_DEP_2)
	v_dual_add_f32 v25, v25, v54 :: v_dual_cndmask_b32 v55, v24, v55, s4
	v_cmp_gt_u32_e64 s4, s7, v41
	v_sub_f32_e32 v54, v22, v23
	v_dual_add_f32 v24, v24, v55 :: v_dual_cndmask_b32 v57, v23, v57, s4
	v_cmp_gt_u32_e64 s4, s7, v40
	s_delay_alu instid0(VALU_DEP_2) | instskip(NEXT) | instid1(VALU_DEP_2)
	v_dual_sub_f32 v55, v21, v22 :: v_dual_add_f32 v23, v23, v57
	v_dual_cndmask_b32 v54, v22, v54, s4 :: v_dual_bitop2_b32 v57, 18, v36 bitop3:0x54
	v_cmp_gt_u32_e64 s4, s7, v39
	s_delay_alu instid0(VALU_DEP_1) | instskip(SKIP_1) | instid1(VALU_DEP_4)
	v_dual_cndmask_b32 v55, v21, v55, s4 :: v_dual_add_f32 v22, v22, v54
	v_sub_f32_e32 v54, v20, v21
	v_cmp_gt_u32_e64 s4, s7, v57
	s_delay_alu instid0(VALU_DEP_3) | instskip(NEXT) | instid1(VALU_DEP_3)
	v_dual_add_f32 v21, v21, v55 :: v_dual_bitop2_b32 v57, 19, v36 bitop3:0x54
	v_dual_sub_f32 v55, v19, v20 :: v_dual_cndmask_b32 v54, v20, v54, s6
	s_delay_alu instid0(VALU_DEP_2) | instskip(NEXT) | instid1(VALU_DEP_2)
	v_cmp_gt_u32_e64 s5, s7, v57
	v_dual_cndmask_b32 v55, v19, v55, s4 :: v_dual_add_f32 v20, v20, v54
	s_delay_alu instid0(VALU_DEP_2) | instskip(NEXT) | instid1(VALU_DEP_2)
	v_dual_cndmask_b32 v57, v18, v59, s5 :: v_dual_bitop2_b32 v54, 21, v36 bitop3:0x54
	v_dual_add_f32 v19, v19, v55 :: v_dual_sub_f32 v55, v17, v18
	s_delay_alu instid0(VALU_DEP_2) | instskip(NEXT) | instid1(VALU_DEP_3)
	v_cmp_gt_u32_e64 s4, s7, v54
	v_add_f32_e32 v18, v18, v57
	v_dual_sub_f32 v57, v16, v17 :: v_dual_bitop2_b32 v54, 22, v36 bitop3:0x54
	s_delay_alu instid0(VALU_DEP_1) | instskip(SKIP_1) | instid1(VALU_DEP_1)
	v_cmp_gt_u32_e64 s5, s7, v54
	v_or_b32_e32 v54, 20, v36
	v_cmp_gt_u32_e64 s6, s7, v54
	s_delay_alu instid0(VALU_DEP_1) | instskip(NEXT) | instid1(VALU_DEP_1)
	v_dual_sub_f32 v59, v15, v16 :: v_dual_cndmask_b32 v54, v17, v55, s6
	v_dual_cndmask_b32 v55, v16, v57, s4 :: v_dual_cndmask_b32 v57, v15, v59, s5
	s_delay_alu instid0(VALU_DEP_2) | instskip(NEXT) | instid1(VALU_DEP_2)
	v_dual_sub_f32 v59, v10, v11 :: v_dual_add_f32 v17, v17, v54
	v_dual_add_f32 v16, v16, v55 :: v_dual_bitop2_b32 v54, 25, v36 bitop3:0x54
	s_delay_alu instid0(VALU_DEP_3) | instskip(SKIP_1) | instid1(VALU_DEP_3)
	v_dual_sub_f32 v55, v14, v15 :: v_dual_add_f32 v15, v15, v57
	v_sub_f32_e32 v57, v12, v13
	v_cmp_gt_u32_e64 s4, s7, v54
	s_delay_alu instid0(VALU_DEP_1) | instskip(NEXT) | instid1(VALU_DEP_1)
	v_dual_cndmask_b32 v57, v12, v57, s4 :: v_dual_bitop2_b32 v54, 27, v36 bitop3:0x54
	v_cmp_gt_u32_e64 s5, s7, v54
	v_or_b32_e32 v54, 23, v36
	v_cndmask_b32_e64 v56, v11, v56, s3
	s_delay_alu instid0(VALU_DEP_2) | instskip(NEXT) | instid1(VALU_DEP_1)
	v_cmp_gt_u32_e64 s6, s7, v54
	v_dual_cndmask_b32 v54, v14, v55, s6 :: v_dual_sub_f32 v55, v13, v14
	s_delay_alu instid0(VALU_DEP_1) | instskip(NEXT) | instid1(VALU_DEP_1)
	v_dual_add_f32 v14, v14, v54 :: v_dual_bitop2_b32 v54, 24, v36 bitop3:0x54
	v_cmp_gt_u32_e64 s6, s7, v54
	s_delay_alu instid0(VALU_DEP_1) | instskip(NEXT) | instid1(VALU_DEP_1)
	v_cndmask_b32_e64 v54, v13, v55, s6
	v_dual_sub_f32 v55, v35, v7 :: v_dual_add_f32 v13, v13, v54
	v_or_b32_e32 v54, 31, v36
	s_delay_alu instid0(VALU_DEP_1) | instskip(NEXT) | instid1(VALU_DEP_1)
	v_cmp_gt_u32_e64 s6, s7, v54
	v_cndmask_b32_e64 v54, v35, v55, s6
	v_dual_cndmask_b32 v55, v7, v58, s0 :: v_dual_cndmask_b32 v58, v10, v59, s5
	v_dual_cndmask_b32 v59, v9, v61, s2 :: v_dual_cndmask_b32 v60, v8, v60, s1
	v_dual_add_f32 v12, v12, v57 :: v_dual_add_f32 v11, v11, v56
	s_delay_alu instid0(VALU_DEP_2) | instskip(NEXT) | instid1(VALU_DEP_3)
	v_dual_add_f32 v10, v10, v58 :: v_dual_add_f32 v9, v9, v59
	v_dual_add_f32 v8, v8, v60 :: v_dual_add_f32 v7, v7, v55
	s_add_co_i32 s0, s11, s7
	v_add_f32_e32 v35, v35, v54
	s_and_b32 s7, s0, 0x1fff
	s_cmp_lg_u32 s10, 0
	s_cbranch_scc0 .LBB161_4
.LBB161_2:                              ; =>This Inner Loop Header: Depth=1
	v_mov_b32_e32 v54, 0x42f60000
	s_wait_loadcnt 0x0
	ds_store_b32 v37, v35
	s_wait_dscnt 0x0
	s_barrier_signal -1
	s_barrier_wait -1
	s_and_saveexec_b32 s0, vcc_lo
	s_cbranch_execz .LBB161_1
; %bb.3:                                ;   in Loop: Header=BB161_2 Depth=1
	ds_load_b32 v54, v53
	s_branch .LBB161_1
.LBB161_4:
	s_add_nc_u64 s[0:1], s[8:9], s[12:13]
	s_clause 0x1f
	global_store_b32 v0, v5, s[0:1] scale_offset
	global_store_b32 v0, v3, s[0:1] offset:1024 scale_offset
	global_store_b32 v0, v2, s[0:1] offset:2048 scale_offset
	global_store_b32 v0, v34, s[0:1] offset:3072 scale_offset
	global_store_b32 v0, v33, s[0:1] offset:4096 scale_offset
	global_store_b32 v0, v32, s[0:1] offset:5120 scale_offset
	global_store_b32 v0, v31, s[0:1] offset:6144 scale_offset
	global_store_b32 v0, v30, s[0:1] offset:7168 scale_offset
	global_store_b32 v0, v29, s[0:1] offset:8192 scale_offset
	global_store_b32 v0, v28, s[0:1] offset:9216 scale_offset
	global_store_b32 v0, v27, s[0:1] offset:10240 scale_offset
	global_store_b32 v0, v26, s[0:1] offset:11264 scale_offset
	global_store_b32 v0, v25, s[0:1] offset:12288 scale_offset
	global_store_b32 v0, v24, s[0:1] offset:13312 scale_offset
	global_store_b32 v0, v23, s[0:1] offset:14336 scale_offset
	global_store_b32 v0, v22, s[0:1] offset:15360 scale_offset
	global_store_b32 v0, v21, s[0:1] offset:16384 scale_offset
	global_store_b32 v0, v20, s[0:1] offset:17408 scale_offset
	global_store_b32 v0, v19, s[0:1] offset:18432 scale_offset
	global_store_b32 v0, v18, s[0:1] offset:19456 scale_offset
	global_store_b32 v0, v17, s[0:1] offset:20480 scale_offset
	global_store_b32 v0, v16, s[0:1] offset:21504 scale_offset
	global_store_b32 v0, v15, s[0:1] offset:22528 scale_offset
	global_store_b32 v0, v14, s[0:1] offset:23552 scale_offset
	global_store_b32 v0, v13, s[0:1] offset:24576 scale_offset
	global_store_b32 v0, v12, s[0:1] offset:25600 scale_offset
	global_store_b32 v0, v11, s[0:1] offset:26624 scale_offset
	global_store_b32 v0, v10, s[0:1] offset:27648 scale_offset
	global_store_b32 v0, v9, s[0:1] offset:28672 scale_offset
	global_store_b32 v0, v8, s[0:1] offset:29696 scale_offset
	global_store_b32 v0, v7, s[0:1] offset:30720 scale_offset
	global_store_b32 v0, v35, s[0:1] offset:31744 scale_offset
	s_endpgm
	.section	.rodata,"a",@progbits
	.p2align	6, 0x0
	.amdhsa_kernel _Z6kernelI26subtract_left_partial_tileLj256ELj32ELb1EJPfPiS1_jEEvDpT3_
		.amdhsa_group_segment_fixed_size 2048
		.amdhsa_private_segment_fixed_size 0
		.amdhsa_kernarg_size 28
		.amdhsa_user_sgpr_count 2
		.amdhsa_user_sgpr_dispatch_ptr 0
		.amdhsa_user_sgpr_queue_ptr 0
		.amdhsa_user_sgpr_kernarg_segment_ptr 1
		.amdhsa_user_sgpr_dispatch_id 0
		.amdhsa_user_sgpr_kernarg_preload_length 0
		.amdhsa_user_sgpr_kernarg_preload_offset 0
		.amdhsa_user_sgpr_private_segment_size 0
		.amdhsa_wavefront_size32 1
		.amdhsa_uses_dynamic_stack 0
		.amdhsa_enable_private_segment 0
		.amdhsa_system_sgpr_workgroup_id_x 1
		.amdhsa_system_sgpr_workgroup_id_y 0
		.amdhsa_system_sgpr_workgroup_id_z 0
		.amdhsa_system_sgpr_workgroup_info 0
		.amdhsa_system_vgpr_workitem_id 0
		.amdhsa_next_free_vgpr 62
		.amdhsa_next_free_sgpr 14
		.amdhsa_named_barrier_count 0
		.amdhsa_reserve_vcc 1
		.amdhsa_float_round_mode_32 0
		.amdhsa_float_round_mode_16_64 0
		.amdhsa_float_denorm_mode_32 3
		.amdhsa_float_denorm_mode_16_64 3
		.amdhsa_fp16_overflow 0
		.amdhsa_memory_ordered 1
		.amdhsa_forward_progress 1
		.amdhsa_inst_pref_size 17
		.amdhsa_round_robin_scheduling 0
		.amdhsa_exception_fp_ieee_invalid_op 0
		.amdhsa_exception_fp_denorm_src 0
		.amdhsa_exception_fp_ieee_div_zero 0
		.amdhsa_exception_fp_ieee_overflow 0
		.amdhsa_exception_fp_ieee_underflow 0
		.amdhsa_exception_fp_ieee_inexact 0
		.amdhsa_exception_int_div_zero 0
	.end_amdhsa_kernel
	.section	.text._Z6kernelI26subtract_left_partial_tileLj256ELj32ELb1EJPfPiS1_jEEvDpT3_,"axG",@progbits,_Z6kernelI26subtract_left_partial_tileLj256ELj32ELb1EJPfPiS1_jEEvDpT3_,comdat
.Lfunc_end161:
	.size	_Z6kernelI26subtract_left_partial_tileLj256ELj32ELb1EJPfPiS1_jEEvDpT3_, .Lfunc_end161-_Z6kernelI26subtract_left_partial_tileLj256ELj32ELb1EJPfPiS1_jEEvDpT3_
                                        ; -- End function
	.set _Z6kernelI26subtract_left_partial_tileLj256ELj32ELb1EJPfPiS1_jEEvDpT3_.num_vgpr, 62
	.set _Z6kernelI26subtract_left_partial_tileLj256ELj32ELb1EJPfPiS1_jEEvDpT3_.num_agpr, 0
	.set _Z6kernelI26subtract_left_partial_tileLj256ELj32ELb1EJPfPiS1_jEEvDpT3_.numbered_sgpr, 14
	.set _Z6kernelI26subtract_left_partial_tileLj256ELj32ELb1EJPfPiS1_jEEvDpT3_.num_named_barrier, 0
	.set _Z6kernelI26subtract_left_partial_tileLj256ELj32ELb1EJPfPiS1_jEEvDpT3_.private_seg_size, 0
	.set _Z6kernelI26subtract_left_partial_tileLj256ELj32ELb1EJPfPiS1_jEEvDpT3_.uses_vcc, 1
	.set _Z6kernelI26subtract_left_partial_tileLj256ELj32ELb1EJPfPiS1_jEEvDpT3_.uses_flat_scratch, 0
	.set _Z6kernelI26subtract_left_partial_tileLj256ELj32ELb1EJPfPiS1_jEEvDpT3_.has_dyn_sized_stack, 0
	.set _Z6kernelI26subtract_left_partial_tileLj256ELj32ELb1EJPfPiS1_jEEvDpT3_.has_recursion, 0
	.set _Z6kernelI26subtract_left_partial_tileLj256ELj32ELb1EJPfPiS1_jEEvDpT3_.has_indirect_call, 0
	.section	.AMDGPU.csdata,"",@progbits
; Kernel info:
; codeLenInByte = 2168
; TotalNumSgprs: 16
; NumVgprs: 62
; ScratchSize: 0
; MemoryBound: 0
; FloatMode: 240
; IeeeMode: 1
; LDSByteSize: 2048 bytes/workgroup (compile time only)
; SGPRBlocks: 0
; VGPRBlocks: 3
; NumSGPRsForWavesPerEU: 16
; NumVGPRsForWavesPerEU: 62
; NamedBarCnt: 0
; Occupancy: 16
; WaveLimiterHint : 1
; COMPUTE_PGM_RSRC2:SCRATCH_EN: 0
; COMPUTE_PGM_RSRC2:USER_SGPR: 2
; COMPUTE_PGM_RSRC2:TRAP_HANDLER: 0
; COMPUTE_PGM_RSRC2:TGID_X_EN: 1
; COMPUTE_PGM_RSRC2:TGID_Y_EN: 0
; COMPUTE_PGM_RSRC2:TGID_Z_EN: 0
; COMPUTE_PGM_RSRC2:TIDIG_COMP_CNT: 0
	.section	.text._Z6kernelI26subtract_left_partial_tileLj256ELj1ELb1EJPaPiS1_jEEvDpT3_,"axG",@progbits,_Z6kernelI26subtract_left_partial_tileLj256ELj1ELb1EJPaPiS1_jEEvDpT3_,comdat
	.protected	_Z6kernelI26subtract_left_partial_tileLj256ELj1ELb1EJPaPiS1_jEEvDpT3_ ; -- Begin function _Z6kernelI26subtract_left_partial_tileLj256ELj1ELb1EJPaPiS1_jEEvDpT3_
	.globl	_Z6kernelI26subtract_left_partial_tileLj256ELj1ELb1EJPaPiS1_jEEvDpT3_
	.p2align	8
	.type	_Z6kernelI26subtract_left_partial_tileLj256ELj1ELb1EJPaPiS1_jEEvDpT3_,@function
_Z6kernelI26subtract_left_partial_tileLj256ELj1ELb1EJPaPiS1_jEEvDpT3_: ; @_Z6kernelI26subtract_left_partial_tileLj256ELj1ELb1EJPaPiS1_jEEvDpT3_
; %bb.0:
	s_load_b128 s[8:11], s[0:1], 0x0
	s_bfe_u32 s2, ttmp6, 0x4000c
	s_and_b32 s3, ttmp6, 15
	s_add_co_i32 s2, s2, 1
	s_getreg_b32 s4, hwreg(HW_REG_IB_STS2, 6, 4)
	s_mul_i32 s2, ttmp9, s2
	s_mov_b32 s5, 0
	s_add_co_i32 s3, s3, s2
	s_cmp_eq_u32 s4, 0
	s_wait_xcnt 0x0
	s_load_b96 s[0:2], s[0:1], 0x10
	s_cselect_b32 s3, ttmp9, s3
	v_cmp_ne_u32_e32 vcc_lo, 0, v0
	s_lshl_b32 s4, s3, 8
	v_add_nc_u32_e32 v3, -1, v0
	s_wait_kmcnt 0x0
	s_add_nc_u64 s[6:7], s[8:9], s[4:5]
	s_load_b32 s3, s[10:11], s3 offset:0x0 scale_offset
	global_load_u8 v2, v0, s[6:7]
	s_wait_xcnt 0x0
	s_cvt_f32_u32 s6, s2
	s_sub_co_i32 s7, 0, s2
	s_delay_alu instid0(SALU_CYCLE_2) | instskip(SKIP_1) | instid1(TRANS32_DEP_1)
	v_rcp_iflag_f32_e32 v1, s6
	v_nop
	v_readfirstlane_b32 s6, v1
	v_mov_b32_e32 v1, 0
	s_mul_f32 s6, s6, 0x4f7ffffe
	s_delay_alu instid0(SALU_CYCLE_3) | instskip(NEXT) | instid1(SALU_CYCLE_3)
	s_cvt_u32_f32 s6, s6
	s_mul_i32 s7, s7, s6
	s_delay_alu instid0(SALU_CYCLE_1) | instskip(NEXT) | instid1(SALU_CYCLE_1)
	s_mul_hi_u32 s7, s6, s7
	s_add_co_i32 s6, s6, s7
	s_delay_alu instid0(SALU_CYCLE_1) | instskip(SKIP_2) | instid1(SALU_CYCLE_1)
	s_lshr_b32 s7, s6, 24
	s_mov_b32 s6, s0
	s_mul_i32 s8, s7, s2
	s_sub_co_i32 s0, 0x100, s8
	s_add_co_i32 s8, s7, 1
	s_sub_co_i32 s9, s0, s2
	s_cmp_ge_u32 s0, s2
	s_cselect_b32 s7, s8, s7
	s_cselect_b32 s0, s9, s0
	s_add_co_i32 s8, s7, 1
	s_cmp_ge_u32 s0, s2
	s_cselect_b32 s0, s8, s7
	s_mov_b32 s7, s1
	s_add_co_i32 s1, s0, 1
	s_branch .LBB162_2
.LBB162_1:                              ;   in Loop: Header=BB162_2 Depth=1
	s_or_b32 exec_lo, exec_lo, s0
	s_wait_kmcnt 0x0
	v_cmp_gt_u32_e64 s0, s3, v0
	v_lshlrev_b16 v2, 1, v2
	s_add_co_i32 s2, s2, -1
	s_wait_dscnt 0x0
	s_barrier_signal -1
	v_cndmask_b32_e64 v4, 0, v4, s0
	s_add_co_i32 s0, s1, s3
	s_barrier_wait -1
	s_and_b32 s3, s0, 0xff
	s_cmp_lg_u32 s2, 0
	v_sub_nc_u16 v2, v2, v4
	s_cbranch_scc0 .LBB162_4
.LBB162_2:                              ; =>This Inner Loop Header: Depth=1
	v_mov_b32_e32 v4, 0x7b
	s_wait_loadcnt 0x0
	ds_store_b8 v0, v2
	s_wait_dscnt 0x0
	s_barrier_signal -1
	s_barrier_wait -1
	s_and_saveexec_b32 s0, vcc_lo
	s_cbranch_execz .LBB162_1
; %bb.3:                                ;   in Loop: Header=BB162_2 Depth=1
	ds_load_u8 v4, v3
	s_branch .LBB162_1
.LBB162_4:
	s_add_nc_u64 s[0:1], s[6:7], s[4:5]
	s_delay_alu instid0(SALU_CYCLE_1)
	v_add_nc_u64_e32 v[0:1], s[0:1], v[0:1]
	global_store_b8 v[0:1], v2, off
	s_endpgm
	.section	.rodata,"a",@progbits
	.p2align	6, 0x0
	.amdhsa_kernel _Z6kernelI26subtract_left_partial_tileLj256ELj1ELb1EJPaPiS1_jEEvDpT3_
		.amdhsa_group_segment_fixed_size 512
		.amdhsa_private_segment_fixed_size 0
		.amdhsa_kernarg_size 28
		.amdhsa_user_sgpr_count 2
		.amdhsa_user_sgpr_dispatch_ptr 0
		.amdhsa_user_sgpr_queue_ptr 0
		.amdhsa_user_sgpr_kernarg_segment_ptr 1
		.amdhsa_user_sgpr_dispatch_id 0
		.amdhsa_user_sgpr_kernarg_preload_length 0
		.amdhsa_user_sgpr_kernarg_preload_offset 0
		.amdhsa_user_sgpr_private_segment_size 0
		.amdhsa_wavefront_size32 1
		.amdhsa_uses_dynamic_stack 0
		.amdhsa_enable_private_segment 0
		.amdhsa_system_sgpr_workgroup_id_x 1
		.amdhsa_system_sgpr_workgroup_id_y 0
		.amdhsa_system_sgpr_workgroup_id_z 0
		.amdhsa_system_sgpr_workgroup_info 0
		.amdhsa_system_vgpr_workitem_id 0
		.amdhsa_next_free_vgpr 5
		.amdhsa_next_free_sgpr 12
		.amdhsa_named_barrier_count 0
		.amdhsa_reserve_vcc 1
		.amdhsa_float_round_mode_32 0
		.amdhsa_float_round_mode_16_64 0
		.amdhsa_float_denorm_mode_32 3
		.amdhsa_float_denorm_mode_16_64 3
		.amdhsa_fp16_overflow 0
		.amdhsa_memory_ordered 1
		.amdhsa_forward_progress 1
		.amdhsa_inst_pref_size 4
		.amdhsa_round_robin_scheduling 0
		.amdhsa_exception_fp_ieee_invalid_op 0
		.amdhsa_exception_fp_denorm_src 0
		.amdhsa_exception_fp_ieee_div_zero 0
		.amdhsa_exception_fp_ieee_overflow 0
		.amdhsa_exception_fp_ieee_underflow 0
		.amdhsa_exception_fp_ieee_inexact 0
		.amdhsa_exception_int_div_zero 0
	.end_amdhsa_kernel
	.section	.text._Z6kernelI26subtract_left_partial_tileLj256ELj1ELb1EJPaPiS1_jEEvDpT3_,"axG",@progbits,_Z6kernelI26subtract_left_partial_tileLj256ELj1ELb1EJPaPiS1_jEEvDpT3_,comdat
.Lfunc_end162:
	.size	_Z6kernelI26subtract_left_partial_tileLj256ELj1ELb1EJPaPiS1_jEEvDpT3_, .Lfunc_end162-_Z6kernelI26subtract_left_partial_tileLj256ELj1ELb1EJPaPiS1_jEEvDpT3_
                                        ; -- End function
	.set _Z6kernelI26subtract_left_partial_tileLj256ELj1ELb1EJPaPiS1_jEEvDpT3_.num_vgpr, 5
	.set _Z6kernelI26subtract_left_partial_tileLj256ELj1ELb1EJPaPiS1_jEEvDpT3_.num_agpr, 0
	.set _Z6kernelI26subtract_left_partial_tileLj256ELj1ELb1EJPaPiS1_jEEvDpT3_.numbered_sgpr, 12
	.set _Z6kernelI26subtract_left_partial_tileLj256ELj1ELb1EJPaPiS1_jEEvDpT3_.num_named_barrier, 0
	.set _Z6kernelI26subtract_left_partial_tileLj256ELj1ELb1EJPaPiS1_jEEvDpT3_.private_seg_size, 0
	.set _Z6kernelI26subtract_left_partial_tileLj256ELj1ELb1EJPaPiS1_jEEvDpT3_.uses_vcc, 1
	.set _Z6kernelI26subtract_left_partial_tileLj256ELj1ELb1EJPaPiS1_jEEvDpT3_.uses_flat_scratch, 0
	.set _Z6kernelI26subtract_left_partial_tileLj256ELj1ELb1EJPaPiS1_jEEvDpT3_.has_dyn_sized_stack, 0
	.set _Z6kernelI26subtract_left_partial_tileLj256ELj1ELb1EJPaPiS1_jEEvDpT3_.has_recursion, 0
	.set _Z6kernelI26subtract_left_partial_tileLj256ELj1ELb1EJPaPiS1_jEEvDpT3_.has_indirect_call, 0
	.section	.AMDGPU.csdata,"",@progbits
; Kernel info:
; codeLenInByte = 388
; TotalNumSgprs: 14
; NumVgprs: 5
; ScratchSize: 0
; MemoryBound: 0
; FloatMode: 240
; IeeeMode: 1
; LDSByteSize: 512 bytes/workgroup (compile time only)
; SGPRBlocks: 0
; VGPRBlocks: 0
; NumSGPRsForWavesPerEU: 14
; NumVGPRsForWavesPerEU: 5
; NamedBarCnt: 0
; Occupancy: 16
; WaveLimiterHint : 0
; COMPUTE_PGM_RSRC2:SCRATCH_EN: 0
; COMPUTE_PGM_RSRC2:USER_SGPR: 2
; COMPUTE_PGM_RSRC2:TRAP_HANDLER: 0
; COMPUTE_PGM_RSRC2:TGID_X_EN: 1
; COMPUTE_PGM_RSRC2:TGID_Y_EN: 0
; COMPUTE_PGM_RSRC2:TGID_Z_EN: 0
; COMPUTE_PGM_RSRC2:TIDIG_COMP_CNT: 0
	.section	.text._Z6kernelI26subtract_left_partial_tileLj256ELj3ELb1EJPaPiS1_jEEvDpT3_,"axG",@progbits,_Z6kernelI26subtract_left_partial_tileLj256ELj3ELb1EJPaPiS1_jEEvDpT3_,comdat
	.protected	_Z6kernelI26subtract_left_partial_tileLj256ELj3ELb1EJPaPiS1_jEEvDpT3_ ; -- Begin function _Z6kernelI26subtract_left_partial_tileLj256ELj3ELb1EJPaPiS1_jEEvDpT3_
	.globl	_Z6kernelI26subtract_left_partial_tileLj256ELj3ELb1EJPaPiS1_jEEvDpT3_
	.p2align	8
	.type	_Z6kernelI26subtract_left_partial_tileLj256ELj3ELb1EJPaPiS1_jEEvDpT3_,@function
_Z6kernelI26subtract_left_partial_tileLj256ELj3ELb1EJPaPiS1_jEEvDpT3_: ; @_Z6kernelI26subtract_left_partial_tileLj256ELj3ELb1EJPaPiS1_jEEvDpT3_
; %bb.0:
	s_load_b128 s[4:7], s[0:1], 0x0
	s_bfe_u32 s2, ttmp6, 0x4000c
	s_and_b32 s3, ttmp6, 15
	s_add_co_i32 s2, s2, 1
	s_getreg_b32 s8, hwreg(HW_REG_IB_STS2, 6, 4)
	s_mul_i32 s2, ttmp9, s2
	s_mov_b32 s9, 0
	s_add_co_i32 s3, s3, s2
	s_cmp_eq_u32 s8, 0
	s_wait_xcnt 0x0
	s_load_b96 s[0:2], s[0:1], 0x10
	s_cselect_b32 s3, ttmp9, s3
	v_mul_u32_u24_e32 v2, 3, v0
	s_mul_i32 s8, s3, 0x300
	v_mad_u32_u24 v3, v0, 3, 2
	v_mad_u32_u24 v4, v0, 3, 1
	v_cmp_ne_u32_e32 vcc_lo, 0, v0
	v_add_nc_u32_e32 v5, -1, v0
	s_wait_kmcnt 0x0
	s_add_nc_u64 s[4:5], s[4:5], s[8:9]
	s_clause 0x2
	global_load_u8 v7, v0, s[4:5] offset:256
	global_load_u8 v8, v0, s[4:5] offset:512
	global_load_u8 v9, v0, s[4:5]
	s_load_b32 s3, s[6:7], s3 offset:0x0 scale_offset
	s_cvt_f32_u32 s4, s2
	s_sub_co_i32 s5, 0, s2
	s_delay_alu instid0(SALU_CYCLE_2) | instskip(SKIP_1) | instid1(TRANS32_DEP_1)
	v_rcp_iflag_f32_e32 v1, s4
	v_nop
	v_readfirstlane_b32 s4, v1
	v_mov_b32_e32 v1, 0
	s_mul_f32 s4, s4, 0x4f7ffffe
	s_delay_alu instid0(VALU_DEP_1) | instskip(NEXT) | instid1(SALU_CYCLE_2)
	v_mov_b32_e32 v6, v1
	s_cvt_u32_f32 s4, s4
	s_delay_alu instid0(SALU_CYCLE_3) | instskip(NEXT) | instid1(SALU_CYCLE_1)
	s_mul_i32 s5, s5, s4
	s_mul_hi_u32 s5, s4, s5
	s_delay_alu instid0(SALU_CYCLE_1) | instskip(NEXT) | instid1(SALU_CYCLE_1)
	s_add_co_i32 s4, s4, s5
	s_mul_hi_u32 s5, s4, 0x300
	s_mov_b32 s4, s0
	s_wait_xcnt 0x0
	s_mul_i32 s6, s5, s2
	s_delay_alu instid0(SALU_CYCLE_1)
	s_sub_co_i32 s0, 0x300, s6
	s_add_co_i32 s6, s5, 1
	s_sub_co_i32 s7, s0, s2
	s_cmp_ge_u32 s0, s2
	s_cselect_b32 s5, s6, s5
	s_cselect_b32 s0, s7, s0
	s_add_co_i32 s6, s5, 1
	s_cmp_ge_u32 s0, s2
	s_cselect_b32 s0, s6, s5
	s_mov_b32 s5, s1
	s_add_co_i32 s1, s0, 1
	s_wait_loadcnt 0x0
	v_perm_b32 v7, v9, v7, 0xc0c0004
	s_delay_alu instid0(VALU_DEP_1)
	v_lshl_or_b32 v7, v8, 16, v7
	v_mov_b32_e32 v8, v1
	s_branch .LBB163_2
.LBB163_1:                              ;   in Loop: Header=BB163_2 Depth=1
	s_or_b32 exec_lo, exec_lo, s0
	v_lshrrev_b32_e32 v11, 8, v7
	v_and_b32_e32 v13, 0xffff0000, v7
	s_wait_kmcnt 0x0
	v_cmp_gt_u32_e64 s0, s3, v3
	v_perm_b32 v6, v6, v8, 0xc0c0004
	s_add_co_i32 s2, s2, -1
	v_sub_nc_u16 v12, v9, v11
	s_wait_dscnt 0x0
	s_barrier_signal -1
	s_barrier_wait -1
	s_delay_alu instid0(VALU_DEP_1) | instskip(NEXT) | instid1(VALU_DEP_1)
	v_perm_b32 v12, v12, v7, 0xc0c0304
	v_lshlrev_b32_e32 v12, 16, v12
	v_sub_nc_u16 v8, v11, v7
	s_delay_alu instid0(VALU_DEP_2) | instskip(NEXT) | instid1(VALU_DEP_2)
	v_cndmask_b32_e64 v12, v13, v12, s0
	v_lshlrev_b16 v8, 8, v8
	v_cmp_gt_u32_e64 s0, s3, v4
	s_delay_alu instid0(VALU_DEP_3) | instskip(NEXT) | instid1(VALU_DEP_3)
	v_or_b32_e32 v6, v6, v12
	v_and_b32_e32 v8, 0xffff, v8
	s_delay_alu instid0(VALU_DEP_2) | instskip(NEXT) | instid1(VALU_DEP_1)
	v_perm_b32 v13, v6, v7, 0xc0c0104
	v_cndmask_b32_e64 v8, v13, v8, s0
	v_cmp_gt_u32_e64 s0, s3, v2
	s_delay_alu instid0(VALU_DEP_1) | instskip(NEXT) | instid1(VALU_DEP_3)
	v_dual_cndmask_b32 v10, 0, v10, s0 :: v_dual_lshrrev_b32 v12, 16, v12
	v_and_or_b32 v6, 0xff0000, v6, v8
	s_add_co_i32 s0, s1, s3
	s_delay_alu instid0(SALU_CYCLE_1) | instskip(NEXT) | instid1(VALU_DEP_2)
	s_mul_hi_u32 s3, s0, 0xaaaaaaab
	v_add_nc_u16 v9, v12, v9
	s_lshr_b32 s3, s3, 9
	s_delay_alu instid0(SALU_CYCLE_1) | instskip(NEXT) | instid1(VALU_DEP_1)
	s_mulk_i32 s3, 0x300
	v_and_b32_e32 v12, 0xff, v9
	v_lshrrev_b32_e32 v8, 8, v6
	v_sub_nc_u16 v6, v7, v10
	s_sub_co_i32 s3, s0, s3
	s_cmp_lg_u32 s2, 0
	v_lshlrev_b32_e32 v12, 16, v12
	v_add_nc_u16 v10, v8, v11
	v_add_nc_u16 v11, v6, v7
	s_delay_alu instid0(VALU_DEP_2) | instskip(NEXT) | instid1(VALU_DEP_1)
	v_lshlrev_b16 v7, 8, v10
	v_bitop3_b16 v7, v11, v7, 0xff bitop3:0xec
	s_delay_alu instid0(VALU_DEP_1) | instskip(NEXT) | instid1(VALU_DEP_1)
	v_and_b32_e32 v7, 0xffff, v7
	v_or_b32_e32 v7, v7, v12
	s_cbranch_scc0 .LBB163_4
.LBB163_2:                              ; =>This Inner Loop Header: Depth=1
	s_delay_alu instid0(VALU_DEP_1)
	v_dual_mov_b32 v10, 0x7b :: v_dual_lshrrev_b32 v9, 16, v7
	ds_store_b8 v0, v9
	s_wait_dscnt 0x0
	s_barrier_signal -1
	s_barrier_wait -1
	s_and_saveexec_b32 s0, vcc_lo
	s_cbranch_execz .LBB163_1
; %bb.3:                                ;   in Loop: Header=BB163_2 Depth=1
	ds_load_u8 v10, v5
	s_branch .LBB163_1
.LBB163_4:
	s_add_nc_u64 s[0:1], s[4:5], s[8:9]
	s_delay_alu instid0(SALU_CYCLE_1)
	v_add_nc_u64_e32 v[0:1], s[0:1], v[0:1]
	s_clause 0x2
	global_store_b8 v[0:1], v11, off
	global_store_b8 v[0:1], v10, off offset:256
	global_store_b8 v[0:1], v9, off offset:512
	s_endpgm
	.section	.rodata,"a",@progbits
	.p2align	6, 0x0
	.amdhsa_kernel _Z6kernelI26subtract_left_partial_tileLj256ELj3ELb1EJPaPiS1_jEEvDpT3_
		.amdhsa_group_segment_fixed_size 512
		.amdhsa_private_segment_fixed_size 0
		.amdhsa_kernarg_size 28
		.amdhsa_user_sgpr_count 2
		.amdhsa_user_sgpr_dispatch_ptr 0
		.amdhsa_user_sgpr_queue_ptr 0
		.amdhsa_user_sgpr_kernarg_segment_ptr 1
		.amdhsa_user_sgpr_dispatch_id 0
		.amdhsa_user_sgpr_kernarg_preload_length 0
		.amdhsa_user_sgpr_kernarg_preload_offset 0
		.amdhsa_user_sgpr_private_segment_size 0
		.amdhsa_wavefront_size32 1
		.amdhsa_uses_dynamic_stack 0
		.amdhsa_enable_private_segment 0
		.amdhsa_system_sgpr_workgroup_id_x 1
		.amdhsa_system_sgpr_workgroup_id_y 0
		.amdhsa_system_sgpr_workgroup_id_z 0
		.amdhsa_system_sgpr_workgroup_info 0
		.amdhsa_system_vgpr_workitem_id 0
		.amdhsa_next_free_vgpr 14
		.amdhsa_next_free_sgpr 10
		.amdhsa_named_barrier_count 0
		.amdhsa_reserve_vcc 1
		.amdhsa_float_round_mode_32 0
		.amdhsa_float_round_mode_16_64 0
		.amdhsa_float_denorm_mode_32 3
		.amdhsa_float_denorm_mode_16_64 3
		.amdhsa_fp16_overflow 0
		.amdhsa_memory_ordered 1
		.amdhsa_forward_progress 1
		.amdhsa_inst_pref_size 6
		.amdhsa_round_robin_scheduling 0
		.amdhsa_exception_fp_ieee_invalid_op 0
		.amdhsa_exception_fp_denorm_src 0
		.amdhsa_exception_fp_ieee_div_zero 0
		.amdhsa_exception_fp_ieee_overflow 0
		.amdhsa_exception_fp_ieee_underflow 0
		.amdhsa_exception_fp_ieee_inexact 0
		.amdhsa_exception_int_div_zero 0
	.end_amdhsa_kernel
	.section	.text._Z6kernelI26subtract_left_partial_tileLj256ELj3ELb1EJPaPiS1_jEEvDpT3_,"axG",@progbits,_Z6kernelI26subtract_left_partial_tileLj256ELj3ELb1EJPaPiS1_jEEvDpT3_,comdat
.Lfunc_end163:
	.size	_Z6kernelI26subtract_left_partial_tileLj256ELj3ELb1EJPaPiS1_jEEvDpT3_, .Lfunc_end163-_Z6kernelI26subtract_left_partial_tileLj256ELj3ELb1EJPaPiS1_jEEvDpT3_
                                        ; -- End function
	.set _Z6kernelI26subtract_left_partial_tileLj256ELj3ELb1EJPaPiS1_jEEvDpT3_.num_vgpr, 14
	.set _Z6kernelI26subtract_left_partial_tileLj256ELj3ELb1EJPaPiS1_jEEvDpT3_.num_agpr, 0
	.set _Z6kernelI26subtract_left_partial_tileLj256ELj3ELb1EJPaPiS1_jEEvDpT3_.numbered_sgpr, 10
	.set _Z6kernelI26subtract_left_partial_tileLj256ELj3ELb1EJPaPiS1_jEEvDpT3_.num_named_barrier, 0
	.set _Z6kernelI26subtract_left_partial_tileLj256ELj3ELb1EJPaPiS1_jEEvDpT3_.private_seg_size, 0
	.set _Z6kernelI26subtract_left_partial_tileLj256ELj3ELb1EJPaPiS1_jEEvDpT3_.uses_vcc, 1
	.set _Z6kernelI26subtract_left_partial_tileLj256ELj3ELb1EJPaPiS1_jEEvDpT3_.uses_flat_scratch, 0
	.set _Z6kernelI26subtract_left_partial_tileLj256ELj3ELb1EJPaPiS1_jEEvDpT3_.has_dyn_sized_stack, 0
	.set _Z6kernelI26subtract_left_partial_tileLj256ELj3ELb1EJPaPiS1_jEEvDpT3_.has_recursion, 0
	.set _Z6kernelI26subtract_left_partial_tileLj256ELj3ELb1EJPaPiS1_jEEvDpT3_.has_indirect_call, 0
	.section	.AMDGPU.csdata,"",@progbits
; Kernel info:
; codeLenInByte = 764
; TotalNumSgprs: 12
; NumVgprs: 14
; ScratchSize: 0
; MemoryBound: 0
; FloatMode: 240
; IeeeMode: 1
; LDSByteSize: 512 bytes/workgroup (compile time only)
; SGPRBlocks: 0
; VGPRBlocks: 0
; NumSGPRsForWavesPerEU: 12
; NumVGPRsForWavesPerEU: 14
; NamedBarCnt: 0
; Occupancy: 16
; WaveLimiterHint : 1
; COMPUTE_PGM_RSRC2:SCRATCH_EN: 0
; COMPUTE_PGM_RSRC2:USER_SGPR: 2
; COMPUTE_PGM_RSRC2:TRAP_HANDLER: 0
; COMPUTE_PGM_RSRC2:TGID_X_EN: 1
; COMPUTE_PGM_RSRC2:TGID_Y_EN: 0
; COMPUTE_PGM_RSRC2:TGID_Z_EN: 0
; COMPUTE_PGM_RSRC2:TIDIG_COMP_CNT: 0
	.section	.text._Z6kernelI26subtract_left_partial_tileLj256ELj4ELb1EJPaPiS1_jEEvDpT3_,"axG",@progbits,_Z6kernelI26subtract_left_partial_tileLj256ELj4ELb1EJPaPiS1_jEEvDpT3_,comdat
	.protected	_Z6kernelI26subtract_left_partial_tileLj256ELj4ELb1EJPaPiS1_jEEvDpT3_ ; -- Begin function _Z6kernelI26subtract_left_partial_tileLj256ELj4ELb1EJPaPiS1_jEEvDpT3_
	.globl	_Z6kernelI26subtract_left_partial_tileLj256ELj4ELb1EJPaPiS1_jEEvDpT3_
	.p2align	8
	.type	_Z6kernelI26subtract_left_partial_tileLj256ELj4ELb1EJPaPiS1_jEEvDpT3_,@function
_Z6kernelI26subtract_left_partial_tileLj256ELj4ELb1EJPaPiS1_jEEvDpT3_: ; @_Z6kernelI26subtract_left_partial_tileLj256ELj4ELb1EJPaPiS1_jEEvDpT3_
; %bb.0:
	s_load_b128 s[4:7], s[0:1], 0x0
	s_bfe_u32 s2, ttmp6, 0x4000c
	s_and_b32 s3, ttmp6, 15
	s_add_co_i32 s2, s2, 1
	s_getreg_b32 s8, hwreg(HW_REG_IB_STS2, 6, 4)
	s_mul_i32 s2, ttmp9, s2
	s_mov_b32 s9, 0
	s_add_co_i32 s3, s3, s2
	s_cmp_eq_u32 s8, 0
	s_wait_xcnt 0x0
	s_load_b96 s[0:2], s[0:1], 0x10
	s_cselect_b32 s3, ttmp9, s3
	v_cmp_ne_u32_e32 vcc_lo, 0, v0
	s_lshl_b32 s8, s3, 10
	v_lshlrev_b32_e32 v2, 2, v0
	s_delay_alu instid0(VALU_DEP_1)
	v_or_b32_e32 v4, 3, v2
	v_or_b32_e32 v6, 1, v2
	s_wait_kmcnt 0x0
	s_add_nc_u64 s[4:5], s[4:5], s[8:9]
	s_clause 0x3
	global_load_u8 v7, v0, s[4:5] offset:256
	global_load_u8 v9, v0, s[4:5] offset:512
	global_load_u8 v11, v0, s[4:5]
	global_load_u8 v12, v0, s[4:5] offset:768
	s_load_b32 s3, s[6:7], s3 offset:0x0 scale_offset
	s_cvt_f32_u32 s4, s2
	s_sub_co_i32 s5, 0, s2
	s_delay_alu instid0(SALU_CYCLE_2) | instskip(SKIP_1) | instid1(TRANS32_DEP_1)
	v_rcp_iflag_f32_e32 v1, s4
	v_nop
	v_readfirstlane_b32 s4, v1
	v_dual_mov_b32 v1, 0 :: v_dual_add_nc_u32 v3, -1, v0
	v_or_b32_e32 v5, 2, v2
	s_mul_f32 s4, s4, 0x4f7ffffe
	s_delay_alu instid0(VALU_DEP_2) | instskip(NEXT) | instid1(SALU_CYCLE_2)
	v_dual_mov_b32 v8, v1 :: v_dual_mov_b32 v10, v1
	s_cvt_u32_f32 s4, s4
	s_delay_alu instid0(SALU_CYCLE_3) | instskip(NEXT) | instid1(SALU_CYCLE_1)
	s_mul_i32 s5, s5, s4
	s_mul_hi_u32 s5, s4, s5
	s_delay_alu instid0(SALU_CYCLE_1) | instskip(NEXT) | instid1(SALU_CYCLE_1)
	s_add_co_i32 s4, s4, s5
	s_lshr_b32 s5, s4, 22
	s_mov_b32 s4, s0
	s_wait_xcnt 0x0
	s_mul_i32 s6, s5, s2
	s_delay_alu instid0(SALU_CYCLE_1)
	s_sub_co_i32 s0, 0x400, s6
	s_add_co_i32 s6, s5, 1
	s_sub_co_i32 s7, s0, s2
	s_cmp_ge_u32 s0, s2
	s_cselect_b32 s5, s6, s5
	s_cselect_b32 s0, s7, s0
	s_add_co_i32 s6, s5, 1
	s_cmp_ge_u32 s0, s2
	s_cselect_b32 s0, s6, s5
	s_mov_b32 s5, s1
	s_add_co_i32 s1, s0, 1
	s_wait_loadcnt 0x1
	v_perm_b32 v7, v11, v7, 0xc0c0004
	s_wait_loadcnt 0x0
	v_perm_b32 v9, v9, v12, 0xc0c0004
	s_delay_alu instid0(VALU_DEP_1)
	v_lshl_or_b32 v7, v9, 16, v7
	v_mov_b32_e32 v9, v1
	s_branch .LBB164_2
.LBB164_1:                              ;   in Loop: Header=BB164_2 Depth=1
	s_or_b32 exec_lo, exec_lo, s0
	v_perm_b32 v15, v9, v7, 0xc0c0304
	s_wait_kmcnt 0x0
	v_cmp_gt_u32_e64 s0, s3, v4
	v_lshrrev_b32_e32 v13, 16, v7
	v_perm_b32 v8, v8, v10, 0xc0c0004
	s_add_co_i32 s2, s2, -1
	s_wait_dscnt 0x0
	s_barrier_signal -1
	v_sub_nc_u16 v14, v11, v13
	s_barrier_wait -1
	s_delay_alu instid0(VALU_DEP_1) | instskip(NEXT) | instid1(VALU_DEP_1)
	v_lshlrev_b16 v14, 8, v14
	v_bitop3_b16 v9, v9, v14, 0xff bitop3:0xec
	s_delay_alu instid0(VALU_DEP_1) | instskip(SKIP_1) | instid1(VALU_DEP_2)
	v_cndmask_b32_e64 v9, v15, v9, s0
	v_cmp_gt_u32_e64 s0, s3, v5
	v_lshl_or_b32 v14, v9, 16, v8
	s_delay_alu instid0(VALU_DEP_1) | instskip(SKIP_1) | instid1(VALU_DEP_1)
	v_perm_b32 v15, v7, v14, 0xc0c0306
	v_lshrrev_b32_e32 v10, 8, v7
	v_sub_nc_u16 v9, v13, v10
	s_delay_alu instid0(VALU_DEP_1) | instskip(NEXT) | instid1(VALU_DEP_1)
	v_perm_b32 v9, v9, v14, 0xc0c0304
	v_cndmask_b32_e64 v9, v15, v9, s0
	v_sub_nc_u16 v10, v10, v7
	v_cmp_gt_u32_e64 s0, s3, v6
	s_delay_alu instid0(VALU_DEP_3) | instskip(NEXT) | instid1(VALU_DEP_3)
	v_add_nc_u16 v13, v9, v13
	v_lshlrev_b16 v10, 8, v10
	s_delay_alu instid0(VALU_DEP_1) | instskip(NEXT) | instid1(VALU_DEP_1)
	v_bitop3_b16 v8, v8, v10, 0xff bitop3:0xec
	v_and_b32_e32 v8, 0xffff, v8
	v_lshlrev_b32_e32 v15, 16, v9
	s_delay_alu instid0(VALU_DEP_1) | instskip(SKIP_1) | instid1(VALU_DEP_2)
	v_and_or_b32 v10, 0xffff, v14, v15
	v_bfe_u32 v15, v9, 8, 8
	v_perm_b32 v14, v10, v7, 0xc0c0104
	s_delay_alu instid0(VALU_DEP_2) | instskip(NEXT) | instid1(VALU_DEP_2)
	v_add_nc_u16 v11, v15, v11
	v_cndmask_b32_e64 v14, v14, v8, s0
	v_cmp_gt_u32_e64 s0, s3, v2
	s_delay_alu instid0(VALU_DEP_3) | instskip(NEXT) | instid1(VALU_DEP_3)
	v_lshlrev_b16 v11, 8, v11
	v_lshrrev_b16 v16, 8, v14
	v_and_or_b32 v10, 0xff0000, v10, v14
	s_delay_alu instid0(VALU_DEP_3) | instskip(SKIP_3) | instid1(VALU_DEP_3)
	v_bitop3_b16 v11, v13, v11, 0xff bitop3:0xec
	v_cndmask_b32_e64 v8, 0, v12, s0
	v_lshrrev_b16 v12, 8, v7
	s_add_co_i32 s0, s1, s3
	v_lshlrev_b32_e32 v11, 16, v11
	s_delay_alu instid0(VALU_DEP_3) | instskip(NEXT) | instid1(VALU_DEP_3)
	v_sub_nc_u16 v8, v7, v8
	v_add_nc_u16 v12, v16, v12
	s_and_b32 s3, s0, 0x3ff
	s_cmp_lg_u32 s2, 0
	s_delay_alu instid0(VALU_DEP_2) | instskip(NEXT) | instid1(VALU_DEP_2)
	v_add_nc_u16 v7, v8, v7
	v_lshlrev_b16 v12, 8, v12
	s_delay_alu instid0(VALU_DEP_1) | instskip(NEXT) | instid1(VALU_DEP_1)
	v_bitop3_b16 v7, v7, v12, 0xff bitop3:0xec
	v_and_b32_e32 v7, 0xffff, v7
	s_delay_alu instid0(VALU_DEP_1)
	v_dual_lshrrev_b32 v10, 8, v10 :: v_dual_bitop2_b32 v7, v7, v11 bitop3:0x54
	s_cbranch_scc0 .LBB164_4
.LBB164_2:                              ; =>This Inner Loop Header: Depth=1
	s_delay_alu instid0(VALU_DEP_1)
	v_dual_mov_b32 v12, 0x7b :: v_dual_lshrrev_b32 v11, 24, v7
	ds_store_b8 v0, v11
	s_wait_dscnt 0x0
	s_barrier_signal -1
	s_barrier_wait -1
	s_and_saveexec_b32 s0, vcc_lo
	s_cbranch_execz .LBB164_1
; %bb.3:                                ;   in Loop: Header=BB164_2 Depth=1
	ds_load_u8 v12, v3
	s_branch .LBB164_1
.LBB164_4:
	s_add_nc_u64 s[0:1], s[4:5], s[8:9]
	s_delay_alu instid0(VALU_DEP_1)
	v_dual_lshrrev_b32 v2, 8, v7 :: v_dual_lshrrev_b32 v3, 24, v7
	v_add_nc_u64_e32 v[0:1], s[0:1], v[0:1]
	s_clause 0x3
	global_store_b8 v[0:1], v7, off
	global_store_b8 v[0:1], v2, off offset:256
	global_store_d16_hi_b8 v[0:1], v7, off offset:512
	global_store_b8 v[0:1], v3, off offset:768
	s_endpgm
	.section	.rodata,"a",@progbits
	.p2align	6, 0x0
	.amdhsa_kernel _Z6kernelI26subtract_left_partial_tileLj256ELj4ELb1EJPaPiS1_jEEvDpT3_
		.amdhsa_group_segment_fixed_size 512
		.amdhsa_private_segment_fixed_size 0
		.amdhsa_kernarg_size 28
		.amdhsa_user_sgpr_count 2
		.amdhsa_user_sgpr_dispatch_ptr 0
		.amdhsa_user_sgpr_queue_ptr 0
		.amdhsa_user_sgpr_kernarg_segment_ptr 1
		.amdhsa_user_sgpr_dispatch_id 0
		.amdhsa_user_sgpr_kernarg_preload_length 0
		.amdhsa_user_sgpr_kernarg_preload_offset 0
		.amdhsa_user_sgpr_private_segment_size 0
		.amdhsa_wavefront_size32 1
		.amdhsa_uses_dynamic_stack 0
		.amdhsa_enable_private_segment 0
		.amdhsa_system_sgpr_workgroup_id_x 1
		.amdhsa_system_sgpr_workgroup_id_y 0
		.amdhsa_system_sgpr_workgroup_id_z 0
		.amdhsa_system_sgpr_workgroup_info 0
		.amdhsa_system_vgpr_workitem_id 0
		.amdhsa_next_free_vgpr 17
		.amdhsa_next_free_sgpr 10
		.amdhsa_named_barrier_count 0
		.amdhsa_reserve_vcc 1
		.amdhsa_float_round_mode_32 0
		.amdhsa_float_round_mode_16_64 0
		.amdhsa_float_denorm_mode_32 3
		.amdhsa_float_denorm_mode_16_64 3
		.amdhsa_fp16_overflow 0
		.amdhsa_memory_ordered 1
		.amdhsa_forward_progress 1
		.amdhsa_inst_pref_size 8
		.amdhsa_round_robin_scheduling 0
		.amdhsa_exception_fp_ieee_invalid_op 0
		.amdhsa_exception_fp_denorm_src 0
		.amdhsa_exception_fp_ieee_div_zero 0
		.amdhsa_exception_fp_ieee_overflow 0
		.amdhsa_exception_fp_ieee_underflow 0
		.amdhsa_exception_fp_ieee_inexact 0
		.amdhsa_exception_int_div_zero 0
	.end_amdhsa_kernel
	.section	.text._Z6kernelI26subtract_left_partial_tileLj256ELj4ELb1EJPaPiS1_jEEvDpT3_,"axG",@progbits,_Z6kernelI26subtract_left_partial_tileLj256ELj4ELb1EJPaPiS1_jEEvDpT3_,comdat
.Lfunc_end164:
	.size	_Z6kernelI26subtract_left_partial_tileLj256ELj4ELb1EJPaPiS1_jEEvDpT3_, .Lfunc_end164-_Z6kernelI26subtract_left_partial_tileLj256ELj4ELb1EJPaPiS1_jEEvDpT3_
                                        ; -- End function
	.set _Z6kernelI26subtract_left_partial_tileLj256ELj4ELb1EJPaPiS1_jEEvDpT3_.num_vgpr, 17
	.set _Z6kernelI26subtract_left_partial_tileLj256ELj4ELb1EJPaPiS1_jEEvDpT3_.num_agpr, 0
	.set _Z6kernelI26subtract_left_partial_tileLj256ELj4ELb1EJPaPiS1_jEEvDpT3_.numbered_sgpr, 10
	.set _Z6kernelI26subtract_left_partial_tileLj256ELj4ELb1EJPaPiS1_jEEvDpT3_.num_named_barrier, 0
	.set _Z6kernelI26subtract_left_partial_tileLj256ELj4ELb1EJPaPiS1_jEEvDpT3_.private_seg_size, 0
	.set _Z6kernelI26subtract_left_partial_tileLj256ELj4ELb1EJPaPiS1_jEEvDpT3_.uses_vcc, 1
	.set _Z6kernelI26subtract_left_partial_tileLj256ELj4ELb1EJPaPiS1_jEEvDpT3_.uses_flat_scratch, 0
	.set _Z6kernelI26subtract_left_partial_tileLj256ELj4ELb1EJPaPiS1_jEEvDpT3_.has_dyn_sized_stack, 0
	.set _Z6kernelI26subtract_left_partial_tileLj256ELj4ELb1EJPaPiS1_jEEvDpT3_.has_recursion, 0
	.set _Z6kernelI26subtract_left_partial_tileLj256ELj4ELb1EJPaPiS1_jEEvDpT3_.has_indirect_call, 0
	.section	.AMDGPU.csdata,"",@progbits
; Kernel info:
; codeLenInByte = 964
; TotalNumSgprs: 12
; NumVgprs: 17
; ScratchSize: 0
; MemoryBound: 0
; FloatMode: 240
; IeeeMode: 1
; LDSByteSize: 512 bytes/workgroup (compile time only)
; SGPRBlocks: 0
; VGPRBlocks: 1
; NumSGPRsForWavesPerEU: 12
; NumVGPRsForWavesPerEU: 17
; NamedBarCnt: 0
; Occupancy: 16
; WaveLimiterHint : 1
; COMPUTE_PGM_RSRC2:SCRATCH_EN: 0
; COMPUTE_PGM_RSRC2:USER_SGPR: 2
; COMPUTE_PGM_RSRC2:TRAP_HANDLER: 0
; COMPUTE_PGM_RSRC2:TGID_X_EN: 1
; COMPUTE_PGM_RSRC2:TGID_Y_EN: 0
; COMPUTE_PGM_RSRC2:TGID_Z_EN: 0
; COMPUTE_PGM_RSRC2:TIDIG_COMP_CNT: 0
	.section	.text._Z6kernelI26subtract_left_partial_tileLj256ELj8ELb1EJPaPiS1_jEEvDpT3_,"axG",@progbits,_Z6kernelI26subtract_left_partial_tileLj256ELj8ELb1EJPaPiS1_jEEvDpT3_,comdat
	.protected	_Z6kernelI26subtract_left_partial_tileLj256ELj8ELb1EJPaPiS1_jEEvDpT3_ ; -- Begin function _Z6kernelI26subtract_left_partial_tileLj256ELj8ELb1EJPaPiS1_jEEvDpT3_
	.globl	_Z6kernelI26subtract_left_partial_tileLj256ELj8ELb1EJPaPiS1_jEEvDpT3_
	.p2align	8
	.type	_Z6kernelI26subtract_left_partial_tileLj256ELj8ELb1EJPaPiS1_jEEvDpT3_,@function
_Z6kernelI26subtract_left_partial_tileLj256ELj8ELb1EJPaPiS1_jEEvDpT3_: ; @_Z6kernelI26subtract_left_partial_tileLj256ELj8ELb1EJPaPiS1_jEEvDpT3_
; %bb.0:
	s_load_b128 s[4:7], s[0:1], 0x0
	s_bfe_u32 s2, ttmp6, 0x4000c
	s_and_b32 s3, ttmp6, 15
	s_add_co_i32 s2, s2, 1
	s_getreg_b32 s8, hwreg(HW_REG_IB_STS2, 6, 4)
	s_mul_i32 s2, ttmp9, s2
	s_mov_b32 s9, 0
	s_add_co_i32 s3, s3, s2
	s_cmp_eq_u32 s8, 0
	s_wait_xcnt 0x0
	s_load_b96 s[0:2], s[0:1], 0x10
	s_cselect_b32 s3, ttmp9, s3
	v_cmp_ne_u32_e32 vcc_lo, 0, v0
	s_lshl_b32 s8, s3, 11
	v_lshlrev_b32_e32 v6, 3, v0
	s_delay_alu instid0(VALU_DEP_1)
	v_or_b32_e32 v9, 6, v6
	v_or_b32_e32 v10, 5, v6
	s_wait_kmcnt 0x0
	s_add_nc_u64 s[4:5], s[4:5], s[8:9]
	s_clause 0x7
	global_load_u8 v2, v0, s[4:5] offset:256
	global_load_u8 v3, v0, s[4:5] offset:1536
	;; [unrolled: 1-line block ×4, first 2 shown]
	global_load_u8 v16, v0, s[4:5]
	global_load_u8 v17, v0, s[4:5] offset:768
	global_load_u8 v18, v0, s[4:5] offset:1280
	;; [unrolled: 1-line block ×3, first 2 shown]
	s_load_b32 s3, s[6:7], s3 offset:0x0 scale_offset
	v_or_b32_e32 v11, 4, v6
	v_or_b32_e32 v12, 3, v6
	;; [unrolled: 1-line block ×4, first 2 shown]
	s_cvt_f32_u32 s4, s2
	s_sub_co_i32 s5, 0, s2
	s_delay_alu instid0(SALU_CYCLE_2) | instskip(SKIP_1) | instid1(TRANS32_DEP_1)
	v_rcp_iflag_f32_e32 v1, s4
	v_nop
	v_readfirstlane_b32 s4, v1
	v_dual_mov_b32 v1, 0 :: v_dual_add_nc_u32 v7, -1, v0
	v_or_b32_e32 v8, 7, v6
	s_mul_f32 s4, s4, 0x4f7ffffe
	s_delay_alu instid0(VALU_DEP_2) | instskip(NEXT) | instid1(SALU_CYCLE_2)
	v_mov_b32_e32 v4, v1
	s_cvt_u32_f32 s4, s4
	s_delay_alu instid0(SALU_CYCLE_3) | instskip(NEXT) | instid1(SALU_CYCLE_1)
	s_mul_i32 s5, s5, s4
	s_mul_hi_u32 s5, s4, s5
	s_delay_alu instid0(SALU_CYCLE_1) | instskip(NEXT) | instid1(SALU_CYCLE_1)
	s_add_co_i32 s4, s4, s5
	s_lshr_b32 s5, s4, 21
	s_delay_alu instid0(SALU_CYCLE_1)
	s_mul_i32 s4, s5, s2
	s_wait_xcnt 0x0
	s_add_co_i32 s7, s5, 1
	s_sub_co_i32 s6, 0x800, s4
	s_mov_b32 s4, s0
	s_sub_co_i32 s10, s6, s2
	s_cmp_ge_u32 s6, s2
	s_cselect_b32 s0, s7, s5
	s_cselect_b32 s5, s10, s6
	s_add_co_i32 s6, s0, 1
	s_cmp_ge_u32 s5, s2
	s_mov_b32 s5, s1
	s_cselect_b32 s0, s6, s0
	s_delay_alu instid0(SALU_CYCLE_1)
	s_add_co_i32 s1, s0, 1
	s_wait_loadcnt 0x3
	v_perm_b32 v2, v16, v2, 0xc0c0004
	s_wait_loadcnt 0x2
	v_perm_b32 v15, v15, v17, 0xc0c0004
	s_wait_loadcnt 0x1
	v_perm_b32 v5, v5, v18, 0xc0c0004
	s_wait_loadcnt 0x0
	v_perm_b32 v3, v3, v19, 0xc0c0004
	v_lshl_or_b32 v2, v15, 16, v2
	s_delay_alu instid0(VALU_DEP_2)
	v_lshl_or_b32 v3, v3, 16, v5
	v_mov_b32_e32 v5, v1
	s_branch .LBB165_2
.LBB165_1:                              ;   in Loop: Header=BB165_2 Depth=1
	s_or_b32 exec_lo, exec_lo, s0
	v_dual_lshrrev_b32 v17, 16, v3 :: v_dual_lshrrev_b32 v22, 8, v3
	v_dual_lshrrev_b32 v23, 8, v5 :: v_dual_lshrrev_b32 v24, 16, v5
	;; [unrolled: 1-line block ×3, first 2 shown]
	s_delay_alu instid0(VALU_DEP_3)
	v_sub_nc_u16 v18, v15, v17
	s_wait_kmcnt 0x0
	v_cmp_gt_u32_e64 s0, s3, v8
	s_add_co_i32 s6, s1, s3
	s_add_co_i32 s2, s2, -1
	s_wait_dscnt 0x0
	v_lshlrev_b16 v20, 8, v18
	v_lshrrev_b64 v[18:19], 24, v[4:5]
	v_perm_b32 v5, v5, v23, 0xc0c0004
	v_dual_lshrrev_b32 v19, 16, v2 :: v_dual_lshrrev_b32 v28, 8, v2
	s_delay_alu instid0(VALU_DEP_4)
	v_bitop3_b16 v27, v24, v20, 0xff bitop3:0xec
	v_lshrrev_b64 v[20:21], 24, v[2:3]
	v_perm_b32 v21, v24, v15, 0xc0c0004
	v_perm_b32 v4, v4, v26, 0xc0c0004
	v_sub_nc_u16 v26, v22, v3
	v_perm_b32 v18, v25, v18, 0xc0c0004
	v_lshlrev_b16 v24, 8, v22
	v_lshl_or_b32 v21, v21, 16, v5
	v_lshlrev_b32_e32 v23, 16, v27
	v_lshlrev_b16 v25, 8, v26
	v_sub_nc_u16 v27, v3, v20
	s_barrier_signal -1
	s_barrier_wait -1
	v_or_b32_e32 v5, v5, v23
	v_sub_nc_u16 v23, v20, v19
	s_delay_alu instid0(VALU_DEP_2) | instskip(SKIP_2) | instid1(VALU_DEP_4)
	v_cndmask_b32_e64 v5, v21, v5, s0
	v_cmp_gt_u32_e64 s0, s3, v6
	v_lshl_or_b32 v21, v18, 16, v4
	v_lshlrev_b16 v23, 8, v23
	s_delay_alu instid0(VALU_DEP_4) | instskip(NEXT) | instid1(VALU_DEP_4)
	v_bitop3_b16 v24, v5, v24, 0xff bitop3:0xec
	v_cndmask_b32_e64 v16, 0, v16, s0
	v_bitop3_b16 v25, v5, v25, 0xff bitop3:0xec
	v_perm_b32 v26, v21, v20, 0xc0c0006
	v_bitop3_b16 v18, v18, v23, 0xff bitop3:0xec
	v_cmp_gt_u32_e64 s0, s3, v12
	v_and_b32_e32 v23, 0xffff, v24
	v_and_b32_e32 v24, 0xffff, v25
	v_sub_nc_u16 v25, v19, v28
	v_sub_nc_u16 v29, v2, v16
	v_cndmask_b32_e64 v18, v26, v18, s0
	v_cmp_gt_u32_e64 s0, s3, v10
	v_sub_nc_u16 v26, v28, v2
	s_delay_alu instid0(VALU_DEP_4) | instskip(NEXT) | instid1(VALU_DEP_3)
	v_add_nc_u16 v2, v29, v2
	v_dual_cndmask_b32 v23, v23, v24, s0 :: v_dual_lshlrev_b32 v18, 16, v18
	v_cmp_gt_u32_e64 s0, s3, v13
	v_sub_nc_u16 v24, v17, v22
	s_delay_alu instid0(VALU_DEP_3) | instskip(NEXT) | instid1(VALU_DEP_4)
	v_and_b32_e32 v23, 0xffffff00, v23
	v_and_or_b32 v16, 0xffff, v21, v18
	v_lshlrev_b16 v18, 8, v26
	v_lshrrev_b32_e32 v26, 16, v5
	s_delay_alu instid0(VALU_DEP_4)
	v_bitop3_b16 v21, v3, v23, 0xff bitop3:0xec
	v_bitop3_b16 v23, v27, v23, 0xff bitop3:0xec
	v_perm_b32 v27, v19, v16, 0xc0c0304
	v_perm_b32 v25, v25, v16, 0xc0c0304
	v_and_b32_e32 v26, 0xffffff00, v26
	v_and_b32_e32 v21, 0xffff, v21
	;; [unrolled: 1-line block ×3, first 2 shown]
	v_bitop3_b16 v4, v4, v18, 0xff bitop3:0xec
	v_cndmask_b32_e64 v25, v27, v25, s0
	v_cmp_gt_u32_e64 s0, s3, v11
	s_delay_alu instid0(VALU_DEP_3) | instskip(NEXT) | instid1(VALU_DEP_2)
	v_and_b32_e32 v4, 0xffff, v4
	v_cndmask_b32_e64 v21, v21, v23, s0
	v_bitop3_b16 v23, v24, v26, 0xff bitop3:0xec
	v_bitop3_b16 v24, v17, v26, 0xff bitop3:0xec
	v_cmp_gt_u32_e64 s0, s3, v9
	v_lshlrev_b32_e32 v26, 16, v25
	v_lshrrev_b16 v18, 8, v21
	v_add_nc_u16 v3, v21, v3
	s_delay_alu instid0(VALU_DEP_4) | instskip(NEXT) | instid1(VALU_DEP_4)
	v_cndmask_b32_e64 v23, v24, v23, s0
	v_and_or_b32 v24, 0xffff, v16, v26
	s_delay_alu instid0(VALU_DEP_4)
	v_add_nc_u16 v16, v18, v22
	v_cmp_gt_u32_e64 s0, s3, v14
	s_and_b32 s3, s6, 0x7ff
	v_bfe_u32 v18, v23, 8, 8
	v_perm_b32 v22, v24, v28, 0xc0c0004
	v_lshlrev_b16 v16, 8, v16
	v_lshrrev_b32_e32 v26, 8, v25
	v_add_nc_u16 v17, v23, v17
	v_add_nc_u16 v15, v18, v15
	v_cndmask_b32_e64 v4, v22, v4, s0
	v_bitop3_b16 v3, v3, v16, 0xff bitop3:0xec
	v_add_nc_u16 v16, v26, v20
	v_add_nc_u16 v18, v25, v19
	v_lshlrev_b16 v19, 8, v15
	v_dual_lshrrev_b32 v20, 8, v4 :: v_dual_lshlrev_b32 v22, 16, v23
	s_delay_alu instid0(VALU_DEP_4) | instskip(SKIP_1) | instid1(VALU_DEP_4)
	v_lshlrev_b16 v26, 8, v16
	v_and_b32_e32 v15, 0xffff, v3
	v_bitop3_b16 v16, v17, v19, 0xff bitop3:0xec
	s_delay_alu instid0(VALU_DEP_4)
	v_add_nc_u16 v20, v20, v28
	v_and_or_b32 v5, 0xffff, v5, v22
	v_bitop3_b16 v18, v18, v26, 0xff bitop3:0xec
	v_lshrrev_b32_e32 v23, 8, v19
	v_and_or_b32 v4, 0xffff0000, v24, v4
	v_lshlrev_b16 v19, 8, v20
	v_and_or_b32 v5, 0xffff0000, v5, v21
	v_lshlrev_b32_e32 v18, 16, v18
	v_lshlrev_b16 v17, 8, v23
	v_perm_b32 v4, v29, v4, 0x3020104
	v_bitop3_b16 v2, v2, v19, 0xff bitop3:0xec
	s_cmp_lg_u32 s2, 0
	s_delay_alu instid0(VALU_DEP_3) | instskip(SKIP_1) | instid1(VALU_DEP_3)
	v_bitop3_b16 v17, v16, v17, 0xff bitop3:0xec
	v_lshrrev_b32_e32 v25, 8, v15
	v_and_b32_e32 v2, 0xffff, v2
	s_delay_alu instid0(VALU_DEP_3) | instskip(NEXT) | instid1(VALU_DEP_3)
	v_lshlrev_b32_e32 v17, 16, v17
	v_lshlrev_b16 v20, 8, v25
	s_delay_alu instid0(VALU_DEP_3) | instskip(NEXT) | instid1(VALU_DEP_2)
	v_or_b32_e32 v2, v2, v18
	v_bitop3_b16 v3, v3, v20, 0xff bitop3:0xec
	s_delay_alu instid0(VALU_DEP_1) | instskip(NEXT) | instid1(VALU_DEP_1)
	v_and_b32_e32 v3, 0xffff, v3
	v_or_b32_e32 v3, v3, v17
	s_cbranch_scc0 .LBB165_4
.LBB165_2:                              ; =>This Inner Loop Header: Depth=1
	s_delay_alu instid0(VALU_DEP_1)
	v_dual_mov_b32 v16, 0x7b :: v_dual_lshrrev_b32 v15, 24, v3
	ds_store_b8 v0, v15
	s_wait_dscnt 0x0
	s_barrier_signal -1
	s_barrier_wait -1
	s_and_saveexec_b32 s0, vcc_lo
	s_cbranch_execz .LBB165_1
; %bb.3:                                ;   in Loop: Header=BB165_2 Depth=1
	ds_load_u8 v16, v7
	s_branch .LBB165_1
.LBB165_4:
	v_dual_lshlrev_b32 v3, 16, v16 :: v_dual_lshrrev_b32 v4, 8, v2
	s_add_nc_u64 s[0:1], s[4:5], s[8:9]
	v_lshrrev_b32_e32 v5, 24, v2
	v_add_nc_u64_e32 v[0:1], s[0:1], v[0:1]
	s_delay_alu instid0(VALU_DEP_3) | instskip(NEXT) | instid1(VALU_DEP_1)
	v_or_b32_e32 v3, v15, v3
	v_dual_lshrrev_b32 v6, 8, v3 :: v_dual_lshrrev_b32 v7, 24, v3
	s_clause 0x7
	global_store_b8 v[0:1], v2, off
	global_store_b8 v[0:1], v4, off offset:256
	global_store_d16_hi_b8 v[0:1], v2, off offset:512
	global_store_b8 v[0:1], v5, off offset:768
	global_store_b8 v[0:1], v3, off offset:1024
	;; [unrolled: 1-line block ×3, first 2 shown]
	global_store_d16_hi_b8 v[0:1], v3, off offset:1536
	global_store_b8 v[0:1], v7, off offset:1792
	s_endpgm
	.section	.rodata,"a",@progbits
	.p2align	6, 0x0
	.amdhsa_kernel _Z6kernelI26subtract_left_partial_tileLj256ELj8ELb1EJPaPiS1_jEEvDpT3_
		.amdhsa_group_segment_fixed_size 512
		.amdhsa_private_segment_fixed_size 0
		.amdhsa_kernarg_size 28
		.amdhsa_user_sgpr_count 2
		.amdhsa_user_sgpr_dispatch_ptr 0
		.amdhsa_user_sgpr_queue_ptr 0
		.amdhsa_user_sgpr_kernarg_segment_ptr 1
		.amdhsa_user_sgpr_dispatch_id 0
		.amdhsa_user_sgpr_kernarg_preload_length 0
		.amdhsa_user_sgpr_kernarg_preload_offset 0
		.amdhsa_user_sgpr_private_segment_size 0
		.amdhsa_wavefront_size32 1
		.amdhsa_uses_dynamic_stack 0
		.amdhsa_enable_private_segment 0
		.amdhsa_system_sgpr_workgroup_id_x 1
		.amdhsa_system_sgpr_workgroup_id_y 0
		.amdhsa_system_sgpr_workgroup_id_z 0
		.amdhsa_system_sgpr_workgroup_info 0
		.amdhsa_system_vgpr_workitem_id 0
		.amdhsa_next_free_vgpr 30
		.amdhsa_next_free_sgpr 11
		.amdhsa_named_barrier_count 0
		.amdhsa_reserve_vcc 1
		.amdhsa_float_round_mode_32 0
		.amdhsa_float_round_mode_16_64 0
		.amdhsa_float_denorm_mode_32 3
		.amdhsa_float_denorm_mode_16_64 3
		.amdhsa_fp16_overflow 0
		.amdhsa_memory_ordered 1
		.amdhsa_forward_progress 1
		.amdhsa_inst_pref_size 14
		.amdhsa_round_robin_scheduling 0
		.amdhsa_exception_fp_ieee_invalid_op 0
		.amdhsa_exception_fp_denorm_src 0
		.amdhsa_exception_fp_ieee_div_zero 0
		.amdhsa_exception_fp_ieee_overflow 0
		.amdhsa_exception_fp_ieee_underflow 0
		.amdhsa_exception_fp_ieee_inexact 0
		.amdhsa_exception_int_div_zero 0
	.end_amdhsa_kernel
	.section	.text._Z6kernelI26subtract_left_partial_tileLj256ELj8ELb1EJPaPiS1_jEEvDpT3_,"axG",@progbits,_Z6kernelI26subtract_left_partial_tileLj256ELj8ELb1EJPaPiS1_jEEvDpT3_,comdat
.Lfunc_end165:
	.size	_Z6kernelI26subtract_left_partial_tileLj256ELj8ELb1EJPaPiS1_jEEvDpT3_, .Lfunc_end165-_Z6kernelI26subtract_left_partial_tileLj256ELj8ELb1EJPaPiS1_jEEvDpT3_
                                        ; -- End function
	.set _Z6kernelI26subtract_left_partial_tileLj256ELj8ELb1EJPaPiS1_jEEvDpT3_.num_vgpr, 30
	.set _Z6kernelI26subtract_left_partial_tileLj256ELj8ELb1EJPaPiS1_jEEvDpT3_.num_agpr, 0
	.set _Z6kernelI26subtract_left_partial_tileLj256ELj8ELb1EJPaPiS1_jEEvDpT3_.numbered_sgpr, 11
	.set _Z6kernelI26subtract_left_partial_tileLj256ELj8ELb1EJPaPiS1_jEEvDpT3_.num_named_barrier, 0
	.set _Z6kernelI26subtract_left_partial_tileLj256ELj8ELb1EJPaPiS1_jEEvDpT3_.private_seg_size, 0
	.set _Z6kernelI26subtract_left_partial_tileLj256ELj8ELb1EJPaPiS1_jEEvDpT3_.uses_vcc, 1
	.set _Z6kernelI26subtract_left_partial_tileLj256ELj8ELb1EJPaPiS1_jEEvDpT3_.uses_flat_scratch, 0
	.set _Z6kernelI26subtract_left_partial_tileLj256ELj8ELb1EJPaPiS1_jEEvDpT3_.has_dyn_sized_stack, 0
	.set _Z6kernelI26subtract_left_partial_tileLj256ELj8ELb1EJPaPiS1_jEEvDpT3_.has_recursion, 0
	.set _Z6kernelI26subtract_left_partial_tileLj256ELj8ELb1EJPaPiS1_jEEvDpT3_.has_indirect_call, 0
	.section	.AMDGPU.csdata,"",@progbits
; Kernel info:
; codeLenInByte = 1700
; TotalNumSgprs: 13
; NumVgprs: 30
; ScratchSize: 0
; MemoryBound: 0
; FloatMode: 240
; IeeeMode: 1
; LDSByteSize: 512 bytes/workgroup (compile time only)
; SGPRBlocks: 0
; VGPRBlocks: 1
; NumSGPRsForWavesPerEU: 13
; NumVGPRsForWavesPerEU: 30
; NamedBarCnt: 0
; Occupancy: 16
; WaveLimiterHint : 1
; COMPUTE_PGM_RSRC2:SCRATCH_EN: 0
; COMPUTE_PGM_RSRC2:USER_SGPR: 2
; COMPUTE_PGM_RSRC2:TRAP_HANDLER: 0
; COMPUTE_PGM_RSRC2:TGID_X_EN: 1
; COMPUTE_PGM_RSRC2:TGID_Y_EN: 0
; COMPUTE_PGM_RSRC2:TGID_Z_EN: 0
; COMPUTE_PGM_RSRC2:TIDIG_COMP_CNT: 0
	.section	.text._Z6kernelI26subtract_left_partial_tileLj256ELj16ELb1EJPaPiS1_jEEvDpT3_,"axG",@progbits,_Z6kernelI26subtract_left_partial_tileLj256ELj16ELb1EJPaPiS1_jEEvDpT3_,comdat
	.protected	_Z6kernelI26subtract_left_partial_tileLj256ELj16ELb1EJPaPiS1_jEEvDpT3_ ; -- Begin function _Z6kernelI26subtract_left_partial_tileLj256ELj16ELb1EJPaPiS1_jEEvDpT3_
	.globl	_Z6kernelI26subtract_left_partial_tileLj256ELj16ELb1EJPaPiS1_jEEvDpT3_
	.p2align	8
	.type	_Z6kernelI26subtract_left_partial_tileLj256ELj16ELb1EJPaPiS1_jEEvDpT3_,@function
_Z6kernelI26subtract_left_partial_tileLj256ELj16ELb1EJPaPiS1_jEEvDpT3_: ; @_Z6kernelI26subtract_left_partial_tileLj256ELj16ELb1EJPaPiS1_jEEvDpT3_
; %bb.0:
	s_load_b128 s[4:7], s[0:1], 0x0
	s_bfe_u32 s2, ttmp6, 0x4000c
	s_and_b32 s3, ttmp6, 15
	s_add_co_i32 s2, s2, 1
	s_getreg_b32 s8, hwreg(HW_REG_IB_STS2, 6, 4)
	s_mul_i32 s2, ttmp9, s2
	s_mov_b32 s9, 0
	s_add_co_i32 s3, s3, s2
	s_cmp_eq_u32 s8, 0
	s_wait_xcnt 0x0
	s_load_b96 s[0:2], s[0:1], 0x10
	s_cselect_b32 s3, ttmp9, s3
	v_dual_mov_b32 v1, 0 :: v_dual_lshlrev_b32 v10, 4, v0
	s_lshl_b32 s8, s3, 12
	v_add_nc_u32_e32 v11, -1, v0
	v_cmp_ne_u32_e32 vcc_lo, 0, v0
	s_delay_alu instid0(VALU_DEP_3)
	v_dual_mov_b32 v8, v1 :: v_dual_mov_b32 v9, v1
	v_dual_mov_b32 v4, v1 :: v_dual_bitop2_b32 v12, 15, v10 bitop3:0x54
	s_wait_kmcnt 0x0
	s_add_nc_u64 s[4:5], s[4:5], s[8:9]
	v_or_b32_e32 v13, 14, v10
	s_clause 0xf
	global_load_u8 v2, v0, s[4:5] offset:256
	global_load_u8 v3, v0, s[4:5] offset:768
	;; [unrolled: 1-line block ×7, first 2 shown]
	global_load_u8 v29, v0, s[4:5]
	global_load_u8 v30, v0, s[4:5] offset:2304
	global_load_u8 v31, v0, s[4:5] offset:3584
	;; [unrolled: 1-line block ×8, first 2 shown]
	s_load_b32 s3, s[6:7], s3 offset:0x0 scale_offset
	v_or_b32_e32 v15, 12, v10
	v_or_b32_e32 v16, 11, v10
	;; [unrolled: 1-line block ×5, first 2 shown]
	s_cvt_f32_u32 s4, s2
	s_sub_co_i32 s5, 0, s2
	v_or_b32_e32 v20, 7, v10
	v_or_b32_e32 v21, 6, v10
	v_rcp_iflag_f32_e32 v14, s4
	v_or_b32_e32 v22, 5, v10
	v_or_b32_e32 v23, 4, v10
	;; [unrolled: 1-line block ×5, first 2 shown]
	s_delay_alu instid0(TRANS32_DEP_1) | instskip(SKIP_2) | instid1(SALU_CYCLE_3)
	v_readfirstlane_b32 s4, v14
	v_or_b32_e32 v14, 13, v10
	s_mul_f32 s4, s4, 0x4f7ffffe
	s_cvt_u32_f32 s4, s4
	s_delay_alu instid0(SALU_CYCLE_3) | instskip(NEXT) | instid1(SALU_CYCLE_1)
	s_mul_i32 s5, s5, s4
	s_mul_hi_u32 s5, s4, s5
	s_delay_alu instid0(SALU_CYCLE_1) | instskip(NEXT) | instid1(SALU_CYCLE_1)
	s_add_co_i32 s4, s4, s5
	s_lshr_b32 s5, s4, 20
	s_mov_b32 s4, s0
	s_mul_i32 s10, s5, s2
	s_delay_alu instid0(SALU_CYCLE_1)
	s_sub_co_i32 s0, 0x1000, s10
	s_add_co_i32 s10, s5, 1
	s_sub_co_i32 s11, s0, s2
	s_cmp_ge_u32 s0, s2
	s_cselect_b32 s5, s10, s5
	s_cselect_b32 s0, s11, s0
	s_wait_xcnt 0x0
	s_add_co_i32 s6, s5, 1
	s_cmp_ge_u32 s0, s2
	s_cselect_b32 s0, s6, s5
	s_mov_b32 s5, s1
	s_add_co_i32 s1, s0, 1
	s_wait_loadcnt 0xb
	v_perm_b32 v6, v7, v6, 0xc0c0004
	s_wait_loadcnt 0xa
	v_perm_b32 v5, v27, v5, 0xc0c0004
	;; [unrolled: 2-line block ×8, first 2 shown]
	v_lshl_or_b32 v2, v3, 16, v2
	v_lshl_or_b32 v3, v6, 16, v5
	;; [unrolled: 1-line block ×3, first 2 shown]
	v_mov_b32_e32 v5, v1
	v_lshl_or_b32 v7, v29, 16, v28
	s_branch .LBB166_2
.LBB166_1:                              ;   in Loop: Header=BB166_2 Depth=1
	s_or_b32 exec_lo, exec_lo, s0
	v_dual_lshrrev_b32 v29, 8, v3 :: v_dual_lshrrev_b32 v38, 16, v3
	v_dual_lshrrev_b32 v47, 24, v3 :: v_dual_lshrrev_b32 v48, 16, v8
	v_lshrrev_b64 v[30:31], 24, v[4:5]
	v_dual_lshrrev_b32 v39, 8, v7 :: v_dual_lshrrev_b32 v40, 16, v7
	s_delay_alu instid0(VALU_DEP_3) | instskip(SKIP_3) | instid1(VALU_DEP_4)
	v_sub_nc_u16 v31, v47, v38
	v_dual_lshrrev_b32 v41, 8, v9 :: v_dual_lshrrev_b32 v42, 16, v9
	v_lshrrev_b64 v[34:35], 24, v[6:7]
	v_lshrrev_b64 v[32:33], 24, v[8:9]
	v_lshlrev_b16 v31, 8, v31
	v_dual_lshrrev_b32 v45, 16, v4 :: v_dual_lshrrev_b32 v46, 8, v4
	v_dual_lshrrev_b32 v49, 8, v8 :: v_dual_lshrrev_b32 v33, 16, v6
	s_delay_alu instid0(VALU_DEP_3)
	v_bitop3_b16 v31, v42, v31, 0xff bitop3:0xec
	v_perm_b32 v9, v9, v41, 0xc0c0004
	v_sub_nc_u16 v41, v27, v40
	v_lshrrev_b64 v[36:37], 24, v[2:3]
	v_dual_lshrrev_b32 v43, 8, v5 :: v_dual_lshrrev_b32 v44, 16, v5
	v_dual_lshrrev_b32 v50, 8, v6 :: v_dual_lshlrev_b32 v31, 16, v31
	v_perm_b32 v37, v42, v47, 0xc0c0004
	v_perm_b32 v4, v4, v46, 0xc0c0004
	;; [unrolled: 1-line block ×3, first 2 shown]
	v_sub_nc_u16 v42, v34, v33
	v_lshlrev_b16 v41, 8, v41
	v_lshl_or_b32 v37, v37, 16, v9
	s_wait_kmcnt 0x0
	v_cmp_gt_u32_e64 s0, s3, v20
	v_perm_b32 v5, v5, v43, 0xc0c0004
	v_lshlrev_b16 v42, 8, v42
	v_bitop3_b16 v41, v44, v41, 0xff bitop3:0xec
	v_or_b32_e32 v9, v9, v31
	v_lshl_or_b32 v31, v30, 16, v4
	v_perm_b32 v43, v44, v27, 0xc0c0004
	v_bitop3_b16 v30, v30, v42, 0xff bitop3:0xec
	v_lshlrev_b32_e32 v41, 16, v41
	v_sub_nc_u16 v42, v39, v7
	v_perm_b32 v44, v31, v34, 0xc0c0006
	v_cndmask_b32_e64 v9, v37, v9, s0
	v_cmp_gt_u32_e64 s0, s3, v16
	v_lshl_or_b32 v37, v43, 16, v5
	v_lshlrev_b16 v42, 8, v42
	v_sub_nc_u16 v45, v40, v39
	v_dual_lshrrev_b32 v51, 16, v2 :: v_dual_lshrrev_b32 v52, 8, v2
	v_dual_cndmask_b32 v30, v44, v30, s0 :: v_dual_bitop2_b32 v5, v5, v41 bitop3:0x54
	v_cmp_gt_u32_e64 s0, s3, v12
	v_perm_b32 v8, v8, v49, 0xc0c0004
	v_perm_b32 v32, v48, v32, 0xc0c0004
	s_delay_alu instid0(VALU_DEP_4)
	v_lshlrev_b32_e32 v30, 16, v30
	v_lshlrev_b16 v35, 8, v29
	v_sub_nc_u16 v48, v38, v29
	v_sub_nc_u16 v49, v3, v36
	v_lshl_or_b32 v41, v32, 16, v8
	v_and_or_b32 v30, 0xffff, v31, v30
	v_sub_nc_u16 v31, v33, v50
	v_bitop3_b16 v35, v9, v35, 0xff bitop3:0xec
	s_add_co_i32 s2, s2, -1
	s_wait_dscnt 0x0
	v_perm_b32 v44, v33, v30, 0xc0c0304
	v_perm_b32 v31, v31, v30, 0xc0c0304
	v_cndmask_b32_e64 v5, v37, v5, s0
	v_lshlrev_b16 v37, 8, v39
	v_cmp_gt_u32_e64 s0, s3, v17
	v_and_b32_e32 v35, 0xffff, v35
	s_barrier_signal -1
	s_barrier_wait -1
	s_delay_alu instid0(VALU_DEP_2) | instskip(SKIP_3) | instid1(VALU_DEP_4)
	v_dual_cndmask_b32 v31, v44, v31, s0 :: v_dual_lshrrev_b32 v43, 16, v5
	v_bitop3_b16 v37, v5, v37, 0xff bitop3:0xec
	v_bitop3_b16 v42, v5, v42, 0xff bitop3:0xec
	v_sub_nc_u16 v44, v50, v6
	v_lshlrev_b32_e32 v46, 16, v31
	v_and_b32_e32 v43, 0xffffff00, v43
	v_and_b32_e32 v37, 0xffff, v37
	;; [unrolled: 1-line block ×3, first 2 shown]
	v_lshlrev_b16 v44, 8, v44
	v_cmp_gt_u32_e64 s0, s3, v14
	v_bitop3_b16 v45, v45, v43, 0xff bitop3:0xec
	v_bitop3_b16 v43, v40, v43, 0xff bitop3:0xec
	v_and_or_b32 v30, 0xffff, v30, v46
	v_bitop3_b16 v4, v4, v44, 0xff bitop3:0xec
	v_cndmask_b32_e64 v37, v37, v42, s0
	v_cmp_gt_u32_e64 s0, s3, v13
	s_delay_alu instid0(VALU_DEP_4) | instskip(NEXT) | instid1(VALU_DEP_4)
	v_perm_b32 v44, v30, v50, 0xc0c0004
	v_and_b32_e32 v4, 0xffff, v4
	s_delay_alu instid0(VALU_DEP_3) | instskip(SKIP_3) | instid1(VALU_DEP_4)
	v_cndmask_b32_e64 v42, v43, v45, s0
	v_and_b32_e32 v37, 0xffffff00, v37
	v_sub_nc_u16 v43, v7, v34
	v_cmp_gt_u32_e64 s0, s3, v18
	v_lshlrev_b32_e32 v45, 16, v42
	s_delay_alu instid0(VALU_DEP_4) | instskip(NEXT) | instid1(VALU_DEP_4)
	v_bitop3_b16 v46, v7, v37, 0xff bitop3:0xec
	v_bitop3_b16 v37, v43, v37, 0xff bitop3:0xec
	s_delay_alu instid0(VALU_DEP_4)
	v_cndmask_b32_e64 v4, v44, v4, s0
	v_sub_nc_u16 v44, v36, v51
	v_cmp_gt_u32_e64 s0, s3, v15
	v_and_b32_e32 v43, 0xffff, v46
	v_and_b32_e32 v37, 0xffff, v37
	v_and_or_b32 v4, 0xffff0000, v30, v4
	v_sub_nc_u16 v30, v6, v47
	v_and_or_b32 v5, 0xffff, v5, v45
	v_sub_nc_u16 v45, v29, v3
	v_perm_b32 v46, v41, v36, 0xc0c0006
	s_delay_alu instid0(VALU_DEP_4) | instskip(SKIP_4) | instid1(VALU_DEP_3)
	v_perm_b32 v30, v30, v4, 0xc0c0104
	v_cndmask_b32_e64 v37, v43, v37, s0
	v_lshlrev_b16 v43, 8, v44
	v_perm_b32 v44, v6, v4, 0xc0c0104
	v_cmp_gt_u32_e64 s0, s3, v19
	v_bitop3_b16 v32, v32, v43, 0xff bitop3:0xec
	v_lshlrev_b16 v43, 8, v45
	s_delay_alu instid0(VALU_DEP_3)
	v_cndmask_b32_e64 v30, v44, v30, s0
	v_cmp_gt_u32_e64 s0, s3, v24
	v_lshrrev_b32_e32 v44, 16, v9
	v_add_nc_u16 v7, v37, v7
	v_bitop3_b16 v43, v9, v43, 0xff bitop3:0xec
	v_lshrrev_b16 v45, 8, v30
	v_cndmask_b32_e64 v32, v46, v32, s0
	v_cmp_gt_u32_e64 s0, s3, v22
	v_and_b32_e32 v44, 0xffffff00, v44
	v_and_b32_e32 v43, 0xffff, v43
	v_lshrrev_b16 v46, 8, v37
	v_lshlrev_b32_e32 v32, 16, v32
	v_and_or_b32 v4, 0xffff0000, v4, v30
	v_bitop3_b16 v48, v48, v44, 0xff bitop3:0xec
	v_cndmask_b32_e64 v35, v35, v43, s0
	v_cmp_gt_u32_e64 s0, s3, v25
	v_and_or_b32 v32, 0xffff, v41, v32
	v_sub_nc_u16 v41, v51, v52
	v_bitop3_b16 v44, v38, v44, 0xff bitop3:0xec
	v_and_b32_e32 v35, 0xffffff00, v35
	v_add_nc_u16 v6, v30, v6
	v_perm_b32 v43, v51, v32, 0xc0c0304
	v_perm_b32 v41, v41, v32, 0xc0c0304
	v_add_nc_u16 v30, v46, v39
	v_bitop3_b16 v53, v3, v35, 0xff bitop3:0xec
	v_bitop3_b16 v35, v49, v35, 0xff bitop3:0xec
	v_and_or_b32 v5, 0xffff0000, v5, v37
	v_cndmask_b32_e64 v41, v43, v41, s0
	v_sub_nc_u16 v43, v52, v2
	v_cmp_gt_u32_e64 s0, s3, v21
	v_and_b32_e32 v35, 0xffff, v35
	v_add_nc_u16 v37, v42, v40
	s_delay_alu instid0(VALU_DEP_4) | instskip(NEXT) | instid1(VALU_DEP_4)
	v_lshlrev_b16 v43, 8, v43
	v_dual_cndmask_b32 v44, v44, v48, s0 :: v_dual_lshlrev_b32 v48, 16, v41
	v_cmp_gt_u32_e64 s0, s3, v23
	s_delay_alu instid0(VALU_DEP_3) | instskip(NEXT) | instid1(VALU_DEP_3)
	v_bitop3_b16 v8, v8, v43, 0xff bitop3:0xec
	v_lshlrev_b32_e32 v49, 16, v44
	s_delay_alu instid0(VALU_DEP_4) | instskip(SKIP_1) | instid1(VALU_DEP_4)
	v_and_or_b32 v32, 0xffff, v32, v48
	v_and_b32_e32 v43, 0xffff, v53
	v_and_b32_e32 v8, 0xffff, v8
	s_delay_alu instid0(VALU_DEP_4) | instskip(NEXT) | instid1(VALU_DEP_4)
	v_and_or_b32 v9, 0xffff, v9, v49
	v_perm_b32 v48, v32, v52, 0xc0c0004
	s_delay_alu instid0(VALU_DEP_4) | instskip(SKIP_3) | instid1(VALU_DEP_4)
	v_dual_cndmask_b32 v35, v43, v35, s0 :: v_dual_lshrrev_b32 v43, 8, v41
	v_cmp_gt_u32_e64 s0, s3, v26
	v_add_nc_u16 v41, v41, v51
	v_bfe_u32 v49, v42, 8, 8
	v_add_nc_u16 v3, v35, v3
	v_add_nc_u16 v36, v43, v36
	v_dual_cndmask_b32 v8, v48, v8, s0 :: v_dual_lshrrev_b32 v48, 8, v31
	v_cmp_gt_u32_e64 s0, s3, v10
	v_add_nc_u16 v31, v31, v33
	s_delay_alu instid0(VALU_DEP_4) | instskip(NEXT) | instid1(VALU_DEP_4)
	v_lshlrev_b16 v36, 8, v36
	v_lshrrev_b32_e32 v43, 8, v8
	v_and_or_b32 v8, 0xffff0000, v32, v8
	v_cndmask_b32_e64 v28, 0, v28, s0
	v_add_nc_u16 v27, v49, v27
	v_and_or_b32 v9, 0xffff0000, v9, v35
	v_add_nc_u16 v32, v43, v52
	v_lshrrev_b16 v43, 8, v35
	v_sub_nc_u16 v51, v2, v28
	v_bitop3_b16 v28, v41, v36, 0xff bitop3:0xec
	v_add_nc_u16 v41, v45, v50
	v_lshlrev_b16 v32, 8, v32
	v_bfe_u32 v36, v44, 8, 8
	v_add_nc_u16 v2, v51, v2
	v_lshlrev_b32_e32 v45, 16, v28
	v_add_nc_u16 v28, v43, v29
	v_lshlrev_b16 v29, 8, v41
	v_add_nc_u16 v35, v44, v38
	v_bitop3_b16 v2, v2, v32, 0xff bitop3:0xec
	v_add_nc_u16 v32, v48, v34
	v_lshlrev_b16 v28, 8, v28
	v_bitop3_b16 v6, v6, v29, 0xff bitop3:0xec
	v_lshlrev_b16 v29, 8, v30
	v_lshlrev_b16 v38, 8, v27
	;; [unrolled: 1-line block ×3, first 2 shown]
	v_bitop3_b16 v3, v3, v28, 0xff bitop3:0xec
	v_add_nc_u16 v32, v36, v47
	v_bitop3_b16 v7, v7, v29, 0xff bitop3:0xec
	v_and_b32_e32 v28, 0xffff, v6
	v_bitop3_b16 v31, v31, v33, 0xff bitop3:0xec
	v_and_b32_e32 v30, 0xffff, v3
	v_lshlrev_b16 v36, 8, v32
	v_lshrrev_b32_e32 v33, 8, v33
	v_and_b32_e32 v29, 0xffff, v7
	v_bitop3_b16 v27, v37, v38, 0xff bitop3:0xec
	v_lshrrev_b32_e32 v34, 8, v30
	v_bitop3_b16 v32, v35, v36, 0xff bitop3:0xec
	v_lshlrev_b16 v33, 8, v33
	v_dual_lshrrev_b32 v39, 8, v29 :: v_dual_lshrrev_b32 v35, 8, v28
	s_delay_alu instid0(VALU_DEP_4) | instskip(SKIP_1) | instid1(VALU_DEP_4)
	v_lshlrev_b16 v34, 8, v34
	v_and_b32_e32 v2, 0xffff, v2
	v_bitop3_b16 v33, v31, v33, 0xff bitop3:0xec
	s_delay_alu instid0(VALU_DEP_4) | instskip(SKIP_4) | instid1(VALU_DEP_4)
	v_lshlrev_b16 v37, 8, v39
	v_lshlrev_b16 v35, 8, v35
	v_bitop3_b16 v3, v3, v34, 0xff bitop3:0xec
	v_dual_lshrrev_b32 v34, 8, v36 :: v_dual_lshrrev_b32 v36, 8, v38
	v_lshlrev_b32_e32 v33, 16, v33
	v_bitop3_b16 v6, v6, v35, 0xff bitop3:0xec
	v_bitop3_b16 v7, v7, v37, 0xff bitop3:0xec
	s_delay_alu instid0(VALU_DEP_4)
	v_lshlrev_b16 v34, 8, v34
	v_lshlrev_b16 v36, 8, v36
	v_and_b32_e32 v3, 0xffff, v3
	v_and_b32_e32 v6, 0xffff, v6
	;; [unrolled: 1-line block ×3, first 2 shown]
	v_bitop3_b16 v34, v32, v34, 0xff bitop3:0xec
	v_bitop3_b16 v35, v27, v36, 0xff bitop3:0xec
	v_or_b32_e32 v2, v2, v45
	v_or_b32_e32 v6, v6, v33
	s_add_co_i32 s0, s1, s3
	s_delay_alu instid0(VALU_DEP_3) | instskip(SKIP_3) | instid1(VALU_DEP_2)
	v_dual_lshlrev_b32 v34, 16, v34 :: v_dual_lshlrev_b32 v35, 16, v35
	v_perm_b32 v8, v51, v8, 0x3020104
	s_and_b32 s3, s0, 0xfff
	s_cmp_lg_u32 s2, 0
	v_or_b32_e32 v3, v3, v34
	v_or_b32_e32 v7, v7, v35
	s_cbranch_scc0 .LBB166_4
.LBB166_2:                              ; =>This Inner Loop Header: Depth=1
	s_delay_alu instid0(VALU_DEP_1)
	v_dual_mov_b32 v28, 0x7b :: v_dual_lshrrev_b32 v27, 24, v7
	ds_store_b8 v0, v27
	s_wait_dscnt 0x0
	s_barrier_signal -1
	s_barrier_wait -1
	s_and_saveexec_b32 s0, vcc_lo
	s_cbranch_execz .LBB166_1
; %bb.3:                                ;   in Loop: Header=BB166_2 Depth=1
	ds_load_u8 v28, v11
	s_branch .LBB166_1
.LBB166_4:
	v_dual_lshlrev_b32 v3, 16, v32 :: v_dual_lshlrev_b32 v4, 16, v31
	s_add_nc_u64 s[0:1], s[4:5], s[8:9]
	v_dual_lshlrev_b32 v5, 16, v27 :: v_dual_lshrrev_b32 v6, 8, v2
	v_add_nc_u64_e32 v[0:1], s[0:1], v[0:1]
	s_delay_alu instid0(VALU_DEP_3) | instskip(SKIP_1) | instid1(VALU_DEP_2)
	v_dual_lshrrev_b32 v7, 24, v2 :: v_dual_bitop2_b32 v3, v30, v3 bitop3:0x54
	v_or_b32_e32 v4, v28, v4
	v_dual_lshrrev_b32 v9, 24, v3 :: v_dual_bitop2_b32 v5, v29, v5 bitop3:0x54
	v_lshrrev_b32_e32 v8, 8, v3
	s_clause 0x7
	global_store_b8 v[0:1], v2, off
	global_store_b8 v[0:1], v6, off offset:256
	global_store_d16_hi_b8 v[0:1], v2, off offset:512
	global_store_b8 v[0:1], v7, off offset:768
	global_store_b8 v[0:1], v3, off offset:1024
	global_store_b8 v[0:1], v8, off offset:1280
	global_store_d16_hi_b8 v[0:1], v3, off offset:1536
	global_store_b8 v[0:1], v9, off offset:1792
	s_wait_xcnt 0x1
	v_dual_lshrrev_b32 v2, 8, v4 :: v_dual_lshrrev_b32 v3, 24, v4
	v_dual_lshrrev_b32 v6, 8, v5 :: v_dual_lshrrev_b32 v7, 24, v5
	s_clause 0x7
	global_store_b8 v[0:1], v4, off offset:2048
	global_store_b8 v[0:1], v2, off offset:2304
	global_store_d16_hi_b8 v[0:1], v4, off offset:2560
	global_store_b8 v[0:1], v3, off offset:2816
	global_store_b8 v[0:1], v5, off offset:3072
	;; [unrolled: 1-line block ×3, first 2 shown]
	global_store_d16_hi_b8 v[0:1], v5, off offset:3584
	global_store_b8 v[0:1], v7, off offset:3840
	s_endpgm
	.section	.rodata,"a",@progbits
	.p2align	6, 0x0
	.amdhsa_kernel _Z6kernelI26subtract_left_partial_tileLj256ELj16ELb1EJPaPiS1_jEEvDpT3_
		.amdhsa_group_segment_fixed_size 512
		.amdhsa_private_segment_fixed_size 0
		.amdhsa_kernarg_size 28
		.amdhsa_user_sgpr_count 2
		.amdhsa_user_sgpr_dispatch_ptr 0
		.amdhsa_user_sgpr_queue_ptr 0
		.amdhsa_user_sgpr_kernarg_segment_ptr 1
		.amdhsa_user_sgpr_dispatch_id 0
		.amdhsa_user_sgpr_kernarg_preload_length 0
		.amdhsa_user_sgpr_kernarg_preload_offset 0
		.amdhsa_user_sgpr_private_segment_size 0
		.amdhsa_wavefront_size32 1
		.amdhsa_uses_dynamic_stack 0
		.amdhsa_enable_private_segment 0
		.amdhsa_system_sgpr_workgroup_id_x 1
		.amdhsa_system_sgpr_workgroup_id_y 0
		.amdhsa_system_sgpr_workgroup_id_z 0
		.amdhsa_system_sgpr_workgroup_info 0
		.amdhsa_system_vgpr_workitem_id 0
		.amdhsa_next_free_vgpr 54
		.amdhsa_next_free_sgpr 12
		.amdhsa_named_barrier_count 0
		.amdhsa_reserve_vcc 1
		.amdhsa_float_round_mode_32 0
		.amdhsa_float_round_mode_16_64 0
		.amdhsa_float_denorm_mode_32 3
		.amdhsa_float_denorm_mode_16_64 3
		.amdhsa_fp16_overflow 0
		.amdhsa_memory_ordered 1
		.amdhsa_forward_progress 1
		.amdhsa_inst_pref_size 25
		.amdhsa_round_robin_scheduling 0
		.amdhsa_exception_fp_ieee_invalid_op 0
		.amdhsa_exception_fp_denorm_src 0
		.amdhsa_exception_fp_ieee_div_zero 0
		.amdhsa_exception_fp_ieee_overflow 0
		.amdhsa_exception_fp_ieee_underflow 0
		.amdhsa_exception_fp_ieee_inexact 0
		.amdhsa_exception_int_div_zero 0
	.end_amdhsa_kernel
	.section	.text._Z6kernelI26subtract_left_partial_tileLj256ELj16ELb1EJPaPiS1_jEEvDpT3_,"axG",@progbits,_Z6kernelI26subtract_left_partial_tileLj256ELj16ELb1EJPaPiS1_jEEvDpT3_,comdat
.Lfunc_end166:
	.size	_Z6kernelI26subtract_left_partial_tileLj256ELj16ELb1EJPaPiS1_jEEvDpT3_, .Lfunc_end166-_Z6kernelI26subtract_left_partial_tileLj256ELj16ELb1EJPaPiS1_jEEvDpT3_
                                        ; -- End function
	.set _Z6kernelI26subtract_left_partial_tileLj256ELj16ELb1EJPaPiS1_jEEvDpT3_.num_vgpr, 54
	.set _Z6kernelI26subtract_left_partial_tileLj256ELj16ELb1EJPaPiS1_jEEvDpT3_.num_agpr, 0
	.set _Z6kernelI26subtract_left_partial_tileLj256ELj16ELb1EJPaPiS1_jEEvDpT3_.numbered_sgpr, 12
	.set _Z6kernelI26subtract_left_partial_tileLj256ELj16ELb1EJPaPiS1_jEEvDpT3_.num_named_barrier, 0
	.set _Z6kernelI26subtract_left_partial_tileLj256ELj16ELb1EJPaPiS1_jEEvDpT3_.private_seg_size, 0
	.set _Z6kernelI26subtract_left_partial_tileLj256ELj16ELb1EJPaPiS1_jEEvDpT3_.uses_vcc, 1
	.set _Z6kernelI26subtract_left_partial_tileLj256ELj16ELb1EJPaPiS1_jEEvDpT3_.uses_flat_scratch, 0
	.set _Z6kernelI26subtract_left_partial_tileLj256ELj16ELb1EJPaPiS1_jEEvDpT3_.has_dyn_sized_stack, 0
	.set _Z6kernelI26subtract_left_partial_tileLj256ELj16ELb1EJPaPiS1_jEEvDpT3_.has_recursion, 0
	.set _Z6kernelI26subtract_left_partial_tileLj256ELj16ELb1EJPaPiS1_jEEvDpT3_.has_indirect_call, 0
	.section	.AMDGPU.csdata,"",@progbits
; Kernel info:
; codeLenInByte = 3092
; TotalNumSgprs: 14
; NumVgprs: 54
; ScratchSize: 0
; MemoryBound: 0
; FloatMode: 240
; IeeeMode: 1
; LDSByteSize: 512 bytes/workgroup (compile time only)
; SGPRBlocks: 0
; VGPRBlocks: 3
; NumSGPRsForWavesPerEU: 14
; NumVGPRsForWavesPerEU: 54
; NamedBarCnt: 0
; Occupancy: 16
; WaveLimiterHint : 1
; COMPUTE_PGM_RSRC2:SCRATCH_EN: 0
; COMPUTE_PGM_RSRC2:USER_SGPR: 2
; COMPUTE_PGM_RSRC2:TRAP_HANDLER: 0
; COMPUTE_PGM_RSRC2:TGID_X_EN: 1
; COMPUTE_PGM_RSRC2:TGID_Y_EN: 0
; COMPUTE_PGM_RSRC2:TGID_Z_EN: 0
; COMPUTE_PGM_RSRC2:TIDIG_COMP_CNT: 0
	.section	.text._Z6kernelI26subtract_left_partial_tileLj256ELj32ELb1EJPaPiS1_jEEvDpT3_,"axG",@progbits,_Z6kernelI26subtract_left_partial_tileLj256ELj32ELb1EJPaPiS1_jEEvDpT3_,comdat
	.protected	_Z6kernelI26subtract_left_partial_tileLj256ELj32ELb1EJPaPiS1_jEEvDpT3_ ; -- Begin function _Z6kernelI26subtract_left_partial_tileLj256ELj32ELb1EJPaPiS1_jEEvDpT3_
	.globl	_Z6kernelI26subtract_left_partial_tileLj256ELj32ELb1EJPaPiS1_jEEvDpT3_
	.p2align	8
	.type	_Z6kernelI26subtract_left_partial_tileLj256ELj32ELb1EJPaPiS1_jEEvDpT3_,@function
_Z6kernelI26subtract_left_partial_tileLj256ELj32ELb1EJPaPiS1_jEEvDpT3_: ; @_Z6kernelI26subtract_left_partial_tileLj256ELj32ELb1EJPaPiS1_jEEvDpT3_
; %bb.0:
	s_load_b128 s[4:7], s[0:1], 0x0
	s_bfe_u32 s2, ttmp6, 0x4000c
	s_and_b32 s3, ttmp6, 15
	s_add_co_i32 s2, s2, 1
	s_getreg_b32 s8, hwreg(HW_REG_IB_STS2, 6, 4)
	s_mul_i32 s2, ttmp9, s2
	s_mov_b32 s9, 0
	s_add_co_i32 s3, s3, s2
	s_cmp_eq_u32 s8, 0
	s_wait_xcnt 0x0
	s_load_b96 s[0:2], s[0:1], 0x10
	s_cselect_b32 s3, ttmp9, s3
	v_dual_mov_b32 v1, 0 :: v_dual_lshlrev_b32 v10, 5, v0
	s_lshl_b32 s8, s3, 13
	v_cmp_ne_u32_e32 vcc_lo, 0, v0
	s_delay_alu instid0(VALU_DEP_2)
	v_or_b32_e32 v11, 16, v10
	v_or_b32_e32 v12, 15, v10
	;; [unrolled: 1-line block ×4, first 2 shown]
	s_wait_kmcnt 0x0
	s_add_nc_u64 s[4:5], s[4:5], s[8:9]
	v_or_b32_e32 v16, 11, v10
	s_clause 0x1f
	global_load_u8 v2, v0, s[4:5] offset:256
	global_load_u8 v3, v0, s[4:5] offset:1536
	;; [unrolled: 1-line block ×7, first 2 shown]
	global_load_u8 v9, v0, s[4:5]
	global_load_u8 v27, v0, s[4:5] offset:2304
	global_load_u8 v28, v0, s[4:5] offset:3584
	;; [unrolled: 1-line block ×24, first 2 shown]
	s_load_b32 s3, s[6:7], s3 offset:0x0 scale_offset
	v_or_b32_e32 v17, 10, v10
	v_or_b32_e32 v18, 9, v10
	;; [unrolled: 1-line block ×5, first 2 shown]
	s_cvt_f32_u32 s4, s2
	s_sub_co_i32 s5, 0, s2
	v_or_b32_e32 v22, 5, v10
	v_or_b32_e32 v23, 4, v10
	v_rcp_iflag_f32_e32 v14, s4
	v_or_b32_e32 v24, 3, v10
	v_or_b32_e32 v25, 2, v10
	;; [unrolled: 1-line block ×3, first 2 shown]
	s_delay_alu instid0(TRANS32_DEP_1) | instskip(SKIP_2) | instid1(SALU_CYCLE_3)
	v_readfirstlane_b32 s4, v14
	v_or_b32_e32 v14, 13, v10
	s_mul_f32 s4, s4, 0x4f7ffffe
	s_cvt_u32_f32 s4, s4
	s_delay_alu instid0(SALU_CYCLE_3) | instskip(NEXT) | instid1(SALU_CYCLE_1)
	s_mul_i32 s5, s5, s4
	s_mul_hi_u32 s5, s4, s5
	s_delay_alu instid0(SALU_CYCLE_1) | instskip(NEXT) | instid1(SALU_CYCLE_1)
	s_add_co_i32 s4, s4, s5
	s_lshr_b32 s5, s4, 19
	s_mov_b32 s4, s0
	s_mul_i32 s10, s5, s2
	s_delay_alu instid0(SALU_CYCLE_1)
	s_sub_co_i32 s0, 0x2000, s10
	s_add_co_i32 s10, s5, 1
	s_sub_co_i32 s11, s0, s2
	s_cmp_ge_u32 s0, s2
	s_cselect_b32 s5, s10, s5
	s_cselect_b32 s0, s11, s0
	s_wait_xcnt 0x0
	s_add_co_i32 s6, s5, 1
	s_cmp_ge_u32 s0, s2
	s_cselect_b32 s0, s6, s5
	s_mov_b32 s5, s1
	s_add_co_i32 s1, s0, 1
	s_wait_loadcnt 0x1b
	v_perm_b32 v3, v3, v6, 0xc0c0004
	s_wait_loadcnt 0x1a
	v_perm_b32 v4, v4, v7, 0xc0c0004
	;; [unrolled: 2-line block ×4, first 2 shown]
	v_lshl_or_b32 v7, v3, 16, v4
	s_wait_loadcnt 0x13
	v_perm_b32 v28, v28, v31, 0xc0c0004
	s_delay_alu instid0(VALU_DEP_3)
	v_lshl_or_b32 v6, v5, 16, v2
	s_wait_loadcnt 0x11
	v_perm_b32 v9, v30, v33, 0xc0c0004
	s_wait_loadcnt 0x10
	v_perm_b32 v8, v34, v27, 0xc0c0004
	v_perm_b32 v27, v29, v32, 0xc0c0004
	s_wait_loadcnt 0xb
	v_perm_b32 v32, v39, v38, 0xc0c0004
	s_wait_loadcnt 0xa
	;; [unrolled: 2-line block ×4, first 2 shown]
	v_perm_b32 v29, v42, v35, 0xc0c0004
	v_lshl_or_b32 v4, v9, 16, v8
	v_lshl_or_b32 v5, v28, 16, v27
	s_wait_loadcnt 0x5
	v_perm_b32 v34, v44, v45, 0xc0c0004
	v_lshl_or_b32 v9, v32, 16, v31
	v_lshl_or_b32 v8, v30, 16, v29
	s_wait_loadcnt 0x2
	v_perm_b32 v33, v48, v43, 0xc0c0004
	s_wait_loadcnt 0x1
	v_perm_b32 v35, v47, v49, 0xc0c0004
	;; [unrolled: 2-line block ×3, first 2 shown]
	v_lshl_or_b32 v2, v34, 16, v33
	s_delay_alu instid0(VALU_DEP_2)
	v_lshl_or_b32 v3, v36, 16, v35
	s_branch .LBB167_2
.LBB167_1:                              ;   in Loop: Header=BB167_2 Depth=1
	s_or_b32 exec_lo, exec_lo, s0
	v_dual_lshrrev_b32 v33, 16, v6 :: v_dual_lshrrev_b32 v34, 8, v7
	s_wait_kmcnt 0x0
	v_cmp_gt_u32_e64 s0, s3, v24
	v_lshrrev_b32_e32 v35, 16, v7
	v_lshrrev_b64 v[30:31], 24, v[6:7]
	v_dual_lshrrev_b32 v38, 24, v7 :: v_dual_lshrrev_b32 v32, 8, v6
	s_delay_alu instid0(VALU_DEP_4) | instskip(SKIP_3) | instid1(VALU_DEP_4)
	v_cndmask_b32_e64 v29, 0, v33, s0
	v_cmp_gt_u32_e64 s0, s3, v10
	v_dual_lshrrev_b32 v53, 24, v9 :: v_dual_bitop2_b32 v54, 22, v10 bitop3:0x54
	v_lshrrev_b32_e32 v56, 16, v2
	v_sub_nc_u16 v29, v30, v29
	s_wait_dscnt 0x0
	v_cndmask_b32_e64 v28, 0, v28, s0
	v_cmp_gt_u32_e64 s0, s3, v23
	v_or_b32_e32 v61, 26, v10
	s_add_co_i32 s2, s2, -1
	s_barrier_signal -1
	v_cndmask_b32_e64 v31, 0, v30, s0
	v_cmp_gt_u32_e64 s0, s3, v26
	v_sub_nc_u16 v36, v6, v28
	v_add_nc_u16 v28, v29, v30
	s_barrier_wait -1
	v_sub_nc_u16 v31, v7, v31
	v_cndmask_b32_e64 v37, 0, v6, s0
	v_cmp_gt_u32_e64 s0, s3, v25
	v_add_nc_u16 v30, v36, v6
	s_delay_alu instid0(VALU_DEP_4) | instskip(SKIP_1) | instid1(VALU_DEP_4)
	v_add_nc_u16 v29, v31, v7
	v_lshrrev_b32_e32 v40, 16, v4
	v_cndmask_b32_e64 v39, 0, v32, s0
	v_cmp_gt_u32_e64 s0, s3, v22
	v_sub_nc_u16 v31, v32, v37
	v_dual_lshrrev_b32 v51, 8, v9 :: v_dual_bitop2_b32 v50, 19, v10 bitop3:0x54
	s_delay_alu instid0(VALU_DEP_4) | instskip(NEXT) | instid1(VALU_DEP_4)
	v_sub_nc_u16 v37, v33, v39
	v_cndmask_b32_e64 v6, 0, v7, s0
	v_cmp_gt_u32_e64 s0, s3, v20
	v_add_nc_u16 v32, v31, v32
	v_lshrrev_b32_e32 v52, 16, v9
	v_add_nc_u16 v33, v37, v33
	s_delay_alu instid0(VALU_DEP_4) | instskip(SKIP_1) | instid1(VALU_DEP_2)
	v_cndmask_b32_e64 v7, 0, v35, s0
	v_cmp_gt_u32_e64 s0, s3, v21
	v_sub_nc_u16 v7, v38, v7
	s_delay_alu instid0(VALU_DEP_2) | instskip(SKIP_2) | instid1(VALU_DEP_3)
	v_cndmask_b32_e64 v36, 0, v34, s0
	v_sub_nc_u16 v6, v34, v6
	v_cmp_gt_u32_e64 s0, s3, v16
	v_sub_nc_u16 v36, v35, v36
	s_delay_alu instid0(VALU_DEP_3)
	v_add_nc_u16 v31, v6, v34
	v_add_nc_u16 v34, v7, v38
	v_lshlrev_b16 v6, 8, v32
	v_lshlrev_b16 v7, 8, v28
	v_add_nc_u16 v35, v36, v35
	v_lshlrev_b16 v37, 8, v31
	v_lshlrev_b16 v36, 8, v34
	v_bitop3_b16 v6, v30, v6, 0xff bitop3:0xec
	v_bitop3_b16 v7, v33, v7, 0xff bitop3:0xec
	s_delay_alu instid0(VALU_DEP_4) | instskip(NEXT) | instid1(VALU_DEP_4)
	v_bitop3_b16 v39, v29, v37, 0xff bitop3:0xec
	v_bitop3_b16 v41, v35, v36, 0xff bitop3:0xec
	v_lshrrev_b64 v[36:37], 24, v[4:5]
	v_cndmask_b32_e64 v37, 0, v40, s0
	v_cmp_gt_u32_e64 s0, s3, v19
	v_and_b32_e32 v6, 0xffff, v6
	v_lshlrev_b32_e32 v7, 16, v7
	v_and_b32_e32 v44, 0xffff, v39
	s_delay_alu instid0(VALU_DEP_4) | instskip(SKIP_3) | instid1(VALU_DEP_4)
	v_dual_lshlrev_b32 v45, 16, v41 :: v_dual_cndmask_b32 v38, 0, v38, s0
	v_cmp_gt_u32_e64 s0, s3, v15
	v_sub_nc_u16 v37, v36, v37
	v_dual_lshrrev_b32 v41, 16, v5 :: v_dual_bitop2_b32 v6, v6, v7 bitop3:0x54
	v_sub_nc_u16 v38, v4, v38
	s_delay_alu instid0(VALU_DEP_4)
	v_cndmask_b32_e64 v42, 0, v36, s0
	v_cmp_gt_u32_e64 s0, s3, v18
	v_lshrrev_b32_e32 v7, 8, v4
	v_add_nc_u16 v36, v37, v36
	v_add_nc_u16 v38, v38, v4
	v_sub_nc_u16 v39, v5, v42
	v_cndmask_b32_e64 v4, 0, v4, s0
	v_cmp_gt_u32_e64 s0, s3, v14
	v_lshrrev_b32_e32 v46, 24, v5
	s_delay_alu instid0(VALU_DEP_4) | instskip(NEXT) | instid1(VALU_DEP_3)
	v_add_nc_u16 v37, v39, v5
	v_dual_lshrrev_b32 v39, 8, v5 :: v_dual_cndmask_b32 v5, 0, v5, s0
	v_cmp_gt_u32_e64 s0, s3, v17
	v_sub_nc_u16 v4, v7, v4
	s_delay_alu instid0(VALU_DEP_3) | instskip(NEXT) | instid1(VALU_DEP_3)
	v_sub_nc_u16 v5, v39, v5
	v_cndmask_b32_e64 v42, 0, v7, s0
	v_cmp_gt_u32_e64 s0, s3, v12
	s_delay_alu instid0(VALU_DEP_1) | instskip(SKIP_1) | instid1(VALU_DEP_4)
	v_cndmask_b32_e64 v43, 0, v41, s0
	v_cmp_gt_u32_e64 s0, s3, v13
	v_sub_nc_u16 v48, v40, v42
	v_add_nc_u16 v42, v4, v7
	v_or_b32_e32 v7, v44, v45
	v_sub_nc_u16 v49, v46, v43
	v_cndmask_b32_e64 v47, 0, v39, s0
	v_add_nc_u16 v43, v48, v40
	v_add_nc_u16 v40, v5, v39
	v_lshlrev_b16 v5, 8, v36
	v_add_nc_u16 v39, v49, v46
	v_sub_nc_u16 v47, v41, v47
	v_lshrrev_b32_e32 v49, 16, v8
	v_lshlrev_b16 v4, 8, v42
	v_bitop3_b16 v5, v43, v5, 0xff bitop3:0xec
	v_lshlrev_b16 v48, 8, v39
	v_add_nc_u16 v41, v47, v41
	v_lshlrev_b16 v47, 8, v40
	v_cmp_gt_u32_e64 s0, s3, v50
	v_lshrrev_b64 v[44:45], 24, v[8:9]
	v_bitop3_b16 v4, v38, v4, 0xff bitop3:0xec
	v_bitop3_b16 v48, v41, v48, 0xff bitop3:0xec
	;; [unrolled: 1-line block ×3, first 2 shown]
	v_dual_lshlrev_b32 v5, 16, v5 :: v_dual_bitop2_b32 v45, 20, v10 bitop3:0x54
	v_cndmask_b32_e64 v50, 0, v49, s0
	v_cmp_gt_u32_e64 s0, s3, v11
	v_and_b32_e32 v4, 0xffff, v4
	v_and_b32_e32 v47, 0xffff, v47
	s_delay_alu instid0(VALU_DEP_3) | instskip(SKIP_3) | instid1(VALU_DEP_4)
	v_dual_lshlrev_b32 v48, 16, v48 :: v_dual_cndmask_b32 v46, 0, v46, s0
	v_cmp_gt_u32_e64 s0, s3, v45
	v_sub_nc_u16 v50, v44, v50
	v_or_b32_e32 v4, v4, v5
	v_or_b32_e32 v5, v47, v48
	s_delay_alu instid0(VALU_DEP_4) | instskip(SKIP_3) | instid1(VALU_DEP_4)
	v_dual_cndmask_b32 v45, 0, v44, s0 :: v_dual_bitop2_b32 v47, 17, v10 bitop3:0x54
	v_sub_nc_u16 v46, v8, v46
	v_add_nc_u16 v44, v50, v44
	v_dual_lshrrev_b32 v48, 8, v8 :: v_dual_bitop2_b32 v50, 18, v10 bitop3:0x54
	v_cmp_gt_u32_e64 s0, s3, v47
	s_delay_alu instid0(VALU_DEP_4) | instskip(SKIP_1) | instid1(VALU_DEP_3)
	v_add_nc_u16 v46, v46, v8
	v_sub_nc_u16 v45, v9, v45
	v_cndmask_b32_e64 v8, 0, v8, s0
	v_cmp_gt_u32_e64 s0, s3, v50
	v_or_b32_e32 v47, 21, v10
	s_delay_alu instid0(VALU_DEP_4) | instskip(NEXT) | instid1(VALU_DEP_4)
	v_add_nc_u16 v45, v45, v9
	v_sub_nc_u16 v8, v48, v8
	s_delay_alu instid0(VALU_DEP_4) | instskip(NEXT) | instid1(VALU_DEP_4)
	v_cndmask_b32_e64 v50, 0, v48, s0
	v_cmp_gt_u32_e64 s0, s3, v47
	v_or_b32_e32 v47, 23, v10
	s_delay_alu instid0(VALU_DEP_3) | instskip(NEXT) | instid1(VALU_DEP_3)
	v_sub_nc_u16 v50, v49, v50
	v_cndmask_b32_e64 v9, 0, v9, s0
	v_cmp_gt_u32_e64 s0, s3, v54
	s_delay_alu instid0(VALU_DEP_1) | instskip(SKIP_4) | instid1(VALU_DEP_4)
	v_cndmask_b32_e64 v54, 0, v51, s0
	v_cmp_gt_u32_e64 s0, s3, v47
	v_add_nc_u16 v47, v8, v48
	v_sub_nc_u16 v8, v51, v9
	v_add_nc_u16 v48, v50, v49
	v_cndmask_b32_e64 v55, 0, v52, s0
	v_sub_nc_u16 v9, v52, v54
	s_delay_alu instid0(VALU_DEP_4) | instskip(SKIP_1) | instid1(VALU_DEP_4)
	v_add_nc_u16 v49, v8, v51
	v_lshlrev_b16 v8, 8, v44
	v_sub_nc_u16 v54, v53, v55
	s_delay_alu instid0(VALU_DEP_4) | instskip(SKIP_1) | instid1(VALU_DEP_4)
	v_add_nc_u16 v50, v9, v52
	v_lshlrev_b16 v55, 8, v47
	v_bitop3_b16 v58, v48, v8, 0xff bitop3:0xec
	v_lshrrev_b64 v[8:9], 24, v[2:3]
	v_or_b32_e32 v52, 27, v10
	v_add_nc_u16 v51, v54, v53
	v_bitop3_b16 v57, v46, v55, 0xff bitop3:0xec
	v_lshrrev_b32_e32 v55, 8, v2
	v_or_b32_e32 v9, 28, v10
	v_cmp_gt_u32_e64 s0, s3, v52
	v_or_b32_e32 v54, 24, v10
	v_and_b32_e32 v62, 0xffff, v57
	v_lshlrev_b16 v59, 8, v49
	s_delay_alu instid0(VALU_DEP_4) | instskip(NEXT) | instid1(VALU_DEP_4)
	v_cndmask_b32_e64 v52, 0, v56, s0
	v_cmp_gt_u32_e64 s0, s3, v54
	v_or_b32_e32 v54, 25, v10
	s_delay_alu instid0(VALU_DEP_4) | instskip(NEXT) | instid1(VALU_DEP_4)
	v_bitop3_b16 v59, v45, v59, 0xff bitop3:0xec
	v_sub_nc_u16 v52, v8, v52
	s_delay_alu instid0(VALU_DEP_4) | instskip(SKIP_1) | instid1(VALU_DEP_3)
	v_cndmask_b32_e64 v53, 0, v53, s0
	v_cmp_gt_u32_e64 s0, s3, v9
	v_add_nc_u16 v52, v52, v8
	s_delay_alu instid0(VALU_DEP_3) | instskip(NEXT) | instid1(VALU_DEP_3)
	v_sub_nc_u16 v53, v2, v53
	v_cndmask_b32_e64 v9, 0, v8, s0
	v_cmp_gt_u32_e64 s0, s3, v54
	s_delay_alu instid0(VALU_DEP_3) | instskip(NEXT) | instid1(VALU_DEP_3)
	v_add_nc_u16 v54, v53, v2
	v_sub_nc_u16 v9, v3, v9
	s_delay_alu instid0(VALU_DEP_3) | instskip(SKIP_2) | instid1(VALU_DEP_4)
	v_cndmask_b32_e64 v60, 0, v2, s0
	v_cmp_gt_u32_e64 s0, s3, v61
	v_or_b32_e32 v2, 29, v10
	v_add_nc_u16 v53, v9, v3
	s_delay_alu instid0(VALU_DEP_4) | instskip(NEXT) | instid1(VALU_DEP_4)
	v_sub_nc_u16 v9, v55, v60
	v_cndmask_b32_e64 v8, 0, v55, s0
	s_delay_alu instid0(VALU_DEP_4) | instskip(SKIP_2) | instid1(VALU_DEP_4)
	v_cmp_gt_u32_e64 s0, s3, v2
	v_dual_lshrrev_b32 v60, 8, v3 :: v_dual_lshrrev_b32 v2, 16, v3
	v_or_b32_e32 v61, 31, v10
	v_sub_nc_u16 v8, v56, v8
	s_delay_alu instid0(VALU_DEP_4) | instskip(SKIP_1) | instid1(VALU_DEP_4)
	v_cndmask_b32_e64 v3, 0, v3, s0
	v_add_nc_u16 v55, v9, v55
	v_cmp_gt_u32_e64 s0, s3, v61
	s_delay_alu instid0(VALU_DEP_4) | instskip(SKIP_2) | instid1(VALU_DEP_2)
	v_add_nc_u16 v56, v8, v56
	v_lshlrev_b16 v8, 8, v51
	v_sub_nc_u16 v3, v60, v3
	v_bitop3_b16 v8, v50, v8, 0xff bitop3:0xec
	v_or_b32_e32 v9, 30, v10
	s_delay_alu instid0(VALU_DEP_3) | instskip(NEXT) | instid1(VALU_DEP_3)
	v_add_nc_u16 v57, v3, v60
	v_dual_lshlrev_b32 v3, 16, v8 :: v_dual_lshlrev_b32 v63, 16, v58
	v_cndmask_b32_e64 v61, 0, v2, s0
	s_delay_alu instid0(VALU_DEP_4) | instskip(NEXT) | instid1(VALU_DEP_1)
	v_cmp_gt_u32_e64 s0, s3, v9
	v_cndmask_b32_e64 v9, 0, v60, s0
	v_lshlrev_b16 v60, 8, v52
	s_add_co_i32 s0, s1, s3
	s_delay_alu instid0(SALU_CYCLE_1) | instskip(NEXT) | instid1(VALU_DEP_2)
	s_and_b32 s3, s0, 0x1fff
	v_sub_nc_u16 v9, v2, v9
	s_cmp_lg_u32 s2, 0
	s_delay_alu instid0(VALU_DEP_1) | instskip(SKIP_2) | instid1(VALU_DEP_2)
	v_add_nc_u16 v58, v9, v2
	v_and_b32_e32 v2, 0xffff, v59
	v_lshlrev_b16 v59, 8, v55
	v_or_b32_e32 v9, v2, v3
	v_or_b32_e32 v8, v62, v63
	v_sub_nc_u16 v61, v27, v61
	s_delay_alu instid0(VALU_DEP_4) | instskip(SKIP_1) | instid1(VALU_DEP_3)
	v_bitop3_b16 v3, v54, v59, 0xff bitop3:0xec
	v_bitop3_b16 v59, v56, v60, 0xff bitop3:0xec
	v_add_nc_u16 v27, v61, v27
	v_lshlrev_b16 v61, 8, v57
	s_delay_alu instid0(VALU_DEP_4) | instskip(NEXT) | instid1(VALU_DEP_3)
	v_and_b32_e32 v3, 0xffff, v3
	v_lshlrev_b16 v2, 8, v27
	s_delay_alu instid0(VALU_DEP_3) | instskip(NEXT) | instid1(VALU_DEP_2)
	v_bitop3_b16 v60, v53, v61, 0xff bitop3:0xec
	v_bitop3_b16 v2, v58, v2, 0xff bitop3:0xec
	v_lshlrev_b32_e32 v59, 16, v59
	s_delay_alu instid0(VALU_DEP_3) | instskip(NEXT) | instid1(VALU_DEP_2)
	v_and_b32_e32 v60, 0xffff, v60
	v_dual_lshlrev_b32 v61, 16, v2 :: v_dual_bitop2_b32 v2, v3, v59 bitop3:0x54
	s_delay_alu instid0(VALU_DEP_1)
	v_or_b32_e32 v3, v60, v61
	s_cbranch_scc0 .LBB167_4
.LBB167_2:                              ; =>This Inner Loop Header: Depth=1
	s_delay_alu instid0(VALU_DEP_1)
	v_dual_mov_b32 v28, 0x7b :: v_dual_lshrrev_b32 v27, 24, v3
	ds_store_b8 v0, v27
	s_wait_dscnt 0x0
	s_barrier_signal -1
	s_barrier_wait -1
	s_and_saveexec_b32 s0, vcc_lo
	s_cbranch_execz .LBB167_1
; %bb.3:                                ;   in Loop: Header=BB167_2 Depth=1
	v_add_nc_u32_e32 v28, -1, v0
	ds_load_u8 v28, v28
	s_branch .LBB167_1
.LBB167_4:
	s_add_nc_u64 s[0:1], s[4:5], s[8:9]
	s_delay_alu instid0(SALU_CYCLE_1)
	v_add_nc_u64_e32 v[0:1], s[0:1], v[0:1]
	s_clause 0x1f
	global_store_b8 v[0:1], v30, off
	global_store_b8 v[0:1], v32, off offset:256
	global_store_b8 v[0:1], v33, off offset:512
	;; [unrolled: 1-line block ×31, first 2 shown]
	s_endpgm
	.section	.rodata,"a",@progbits
	.p2align	6, 0x0
	.amdhsa_kernel _Z6kernelI26subtract_left_partial_tileLj256ELj32ELb1EJPaPiS1_jEEvDpT3_
		.amdhsa_group_segment_fixed_size 512
		.amdhsa_private_segment_fixed_size 0
		.amdhsa_kernarg_size 28
		.amdhsa_user_sgpr_count 2
		.amdhsa_user_sgpr_dispatch_ptr 0
		.amdhsa_user_sgpr_queue_ptr 0
		.amdhsa_user_sgpr_kernarg_segment_ptr 1
		.amdhsa_user_sgpr_dispatch_id 0
		.amdhsa_user_sgpr_kernarg_preload_length 0
		.amdhsa_user_sgpr_kernarg_preload_offset 0
		.amdhsa_user_sgpr_private_segment_size 0
		.amdhsa_wavefront_size32 1
		.amdhsa_uses_dynamic_stack 0
		.amdhsa_enable_private_segment 0
		.amdhsa_system_sgpr_workgroup_id_x 1
		.amdhsa_system_sgpr_workgroup_id_y 0
		.amdhsa_system_sgpr_workgroup_id_z 0
		.amdhsa_system_sgpr_workgroup_info 0
		.amdhsa_system_vgpr_workitem_id 0
		.amdhsa_next_free_vgpr 64
		.amdhsa_next_free_sgpr 12
		.amdhsa_named_barrier_count 0
		.amdhsa_reserve_vcc 1
		.amdhsa_float_round_mode_32 0
		.amdhsa_float_round_mode_16_64 0
		.amdhsa_float_denorm_mode_32 3
		.amdhsa_float_denorm_mode_16_64 3
		.amdhsa_fp16_overflow 0
		.amdhsa_memory_ordered 1
		.amdhsa_forward_progress 1
		.amdhsa_inst_pref_size 27
		.amdhsa_round_robin_scheduling 0
		.amdhsa_exception_fp_ieee_invalid_op 0
		.amdhsa_exception_fp_denorm_src 0
		.amdhsa_exception_fp_ieee_div_zero 0
		.amdhsa_exception_fp_ieee_overflow 0
		.amdhsa_exception_fp_ieee_underflow 0
		.amdhsa_exception_fp_ieee_inexact 0
		.amdhsa_exception_int_div_zero 0
	.end_amdhsa_kernel
	.section	.text._Z6kernelI26subtract_left_partial_tileLj256ELj32ELb1EJPaPiS1_jEEvDpT3_,"axG",@progbits,_Z6kernelI26subtract_left_partial_tileLj256ELj32ELb1EJPaPiS1_jEEvDpT3_,comdat
.Lfunc_end167:
	.size	_Z6kernelI26subtract_left_partial_tileLj256ELj32ELb1EJPaPiS1_jEEvDpT3_, .Lfunc_end167-_Z6kernelI26subtract_left_partial_tileLj256ELj32ELb1EJPaPiS1_jEEvDpT3_
                                        ; -- End function
	.set _Z6kernelI26subtract_left_partial_tileLj256ELj32ELb1EJPaPiS1_jEEvDpT3_.num_vgpr, 64
	.set _Z6kernelI26subtract_left_partial_tileLj256ELj32ELb1EJPaPiS1_jEEvDpT3_.num_agpr, 0
	.set _Z6kernelI26subtract_left_partial_tileLj256ELj32ELb1EJPaPiS1_jEEvDpT3_.numbered_sgpr, 12
	.set _Z6kernelI26subtract_left_partial_tileLj256ELj32ELb1EJPaPiS1_jEEvDpT3_.num_named_barrier, 0
	.set _Z6kernelI26subtract_left_partial_tileLj256ELj32ELb1EJPaPiS1_jEEvDpT3_.private_seg_size, 0
	.set _Z6kernelI26subtract_left_partial_tileLj256ELj32ELb1EJPaPiS1_jEEvDpT3_.uses_vcc, 1
	.set _Z6kernelI26subtract_left_partial_tileLj256ELj32ELb1EJPaPiS1_jEEvDpT3_.uses_flat_scratch, 0
	.set _Z6kernelI26subtract_left_partial_tileLj256ELj32ELb1EJPaPiS1_jEEvDpT3_.has_dyn_sized_stack, 0
	.set _Z6kernelI26subtract_left_partial_tileLj256ELj32ELb1EJPaPiS1_jEEvDpT3_.has_recursion, 0
	.set _Z6kernelI26subtract_left_partial_tileLj256ELj32ELb1EJPaPiS1_jEEvDpT3_.has_indirect_call, 0
	.section	.AMDGPU.csdata,"",@progbits
; Kernel info:
; codeLenInByte = 3344
; TotalNumSgprs: 14
; NumVgprs: 64
; ScratchSize: 0
; MemoryBound: 0
; FloatMode: 240
; IeeeMode: 1
; LDSByteSize: 512 bytes/workgroup (compile time only)
; SGPRBlocks: 0
; VGPRBlocks: 3
; NumSGPRsForWavesPerEU: 14
; NumVGPRsForWavesPerEU: 64
; NamedBarCnt: 0
; Occupancy: 16
; WaveLimiterHint : 1
; COMPUTE_PGM_RSRC2:SCRATCH_EN: 0
; COMPUTE_PGM_RSRC2:USER_SGPR: 2
; COMPUTE_PGM_RSRC2:TRAP_HANDLER: 0
; COMPUTE_PGM_RSRC2:TGID_X_EN: 1
; COMPUTE_PGM_RSRC2:TGID_Y_EN: 0
; COMPUTE_PGM_RSRC2:TGID_Z_EN: 0
; COMPUTE_PGM_RSRC2:TIDIG_COMP_CNT: 0
	.section	.text._Z6kernelI26subtract_left_partial_tileLj256ELj1ELb1EJPxPiS1_jEEvDpT3_,"axG",@progbits,_Z6kernelI26subtract_left_partial_tileLj256ELj1ELb1EJPxPiS1_jEEvDpT3_,comdat
	.protected	_Z6kernelI26subtract_left_partial_tileLj256ELj1ELb1EJPxPiS1_jEEvDpT3_ ; -- Begin function _Z6kernelI26subtract_left_partial_tileLj256ELj1ELb1EJPxPiS1_jEEvDpT3_
	.globl	_Z6kernelI26subtract_left_partial_tileLj256ELj1ELb1EJPxPiS1_jEEvDpT3_
	.p2align	8
	.type	_Z6kernelI26subtract_left_partial_tileLj256ELj1ELb1EJPxPiS1_jEEvDpT3_,@function
_Z6kernelI26subtract_left_partial_tileLj256ELj1ELb1EJPxPiS1_jEEvDpT3_: ; @_Z6kernelI26subtract_left_partial_tileLj256ELj1ELb1EJPxPiS1_jEEvDpT3_
; %bb.0:
	s_load_b128 s[8:11], s[0:1], 0x0
	s_bfe_u32 s2, ttmp6, 0x4000c
	s_and_b32 s3, ttmp6, 15
	s_add_co_i32 s2, s2, 1
	s_getreg_b32 s4, hwreg(HW_REG_IB_STS2, 6, 4)
	s_mul_i32 s2, ttmp9, s2
	v_cmp_ne_u32_e32 vcc_lo, 0, v0
	s_add_co_i32 s3, s3, s2
	s_cmp_eq_u32 s4, 0
	s_cselect_b32 s12, ttmp9, s3
	s_mov_b32 s3, 0
	s_lshl_b32 s2, s12, 8
	s_delay_alu instid0(SALU_CYCLE_1)
	s_lshl_b64 s[4:5], s[2:3], 3
	s_wait_xcnt 0x0
	s_load_b96 s[0:2], s[0:1], 0x10
	s_wait_kmcnt 0x0
	s_add_nc_u64 s[6:7], s[8:9], s[4:5]
	global_load_b64 v[2:3], v0, s[6:7] scale_offset
	s_cvt_f32_u32 s3, s2
	s_wait_xcnt 0x0
	s_sub_co_i32 s6, 0, s2
	s_delay_alu instid0(SALU_CYCLE_1) | instskip(SKIP_1) | instid1(TRANS32_DEP_1)
	v_rcp_iflag_f32_e32 v1, s3
	v_nop
	v_readfirstlane_b32 s3, v1
	v_lshlrev_b32_e32 v1, 3, v0
	s_mul_f32 s3, s3, 0x4f7ffffe
	s_delay_alu instid0(VALU_DEP_1) | instskip(NEXT) | instid1(SALU_CYCLE_2)
	v_add_nc_u32_e32 v6, -8, v1
	s_cvt_u32_f32 s3, s3
	s_delay_alu instid0(SALU_CYCLE_3) | instskip(NEXT) | instid1(SALU_CYCLE_1)
	s_mul_i32 s6, s6, s3
	s_mul_hi_u32 s6, s3, s6
	s_delay_alu instid0(SALU_CYCLE_1) | instskip(SKIP_2) | instid1(SALU_CYCLE_1)
	s_add_co_i32 s6, s3, s6
	s_load_b32 s3, s[10:11], s12 offset:0x0 scale_offset
	s_lshr_b32 s7, s6, 24
	s_mul_i32 s6, s7, s2
	s_add_co_i32 s9, s7, 1
	s_sub_co_i32 s8, 0x100, s6
	s_mov_b32 s6, s0
	s_wait_xcnt 0x0
	s_sub_co_i32 s10, s8, s2
	s_cmp_ge_u32 s8, s2
	s_cselect_b32 s0, s9, s7
	s_cselect_b32 s7, s10, s8
	s_add_co_i32 s8, s0, 1
	s_cmp_ge_u32 s7, s2
	s_mov_b32 s7, s1
	s_cselect_b32 s0, s8, s0
	s_delay_alu instid0(SALU_CYCLE_1)
	s_add_co_i32 s1, s0, 1
	s_branch .LBB168_2
.LBB168_1:                              ;   in Loop: Header=BB168_2 Depth=1
	s_or_b32 exec_lo, exec_lo, s0
	s_wait_kmcnt 0x0
	v_cmp_gt_u32_e64 s0, s3, v0
	v_lshlrev_b64_e32 v[2:3], 1, v[2:3]
	s_add_co_i32 s2, s2, -1
	s_wait_dscnt 0x0
	s_barrier_signal -1
	v_dual_cndmask_b32 v5, 0, v5, s0 :: v_dual_cndmask_b32 v4, 0, v4, s0
	s_add_co_i32 s0, s1, s3
	s_barrier_wait -1
	s_and_b32 s3, s0, 0xff
	s_cmp_lg_u32 s2, 0
	v_sub_nc_u64_e32 v[2:3], v[2:3], v[4:5]
	s_cbranch_scc0 .LBB168_4
.LBB168_2:                              ; =>This Inner Loop Header: Depth=1
	v_mov_b64_e32 v[4:5], 0x7b
	s_wait_loadcnt 0x0
	ds_store_b64 v1, v[2:3]
	s_wait_dscnt 0x0
	s_barrier_signal -1
	s_barrier_wait -1
	s_and_saveexec_b32 s0, vcc_lo
	s_cbranch_execz .LBB168_1
; %bb.3:                                ;   in Loop: Header=BB168_2 Depth=1
	ds_load_b64 v[4:5], v6
	s_branch .LBB168_1
.LBB168_4:
	s_add_nc_u64 s[0:1], s[6:7], s[4:5]
	global_store_b64 v0, v[2:3], s[0:1] scale_offset
	s_endpgm
	.section	.rodata,"a",@progbits
	.p2align	6, 0x0
	.amdhsa_kernel _Z6kernelI26subtract_left_partial_tileLj256ELj1ELb1EJPxPiS1_jEEvDpT3_
		.amdhsa_group_segment_fixed_size 4096
		.amdhsa_private_segment_fixed_size 0
		.amdhsa_kernarg_size 28
		.amdhsa_user_sgpr_count 2
		.amdhsa_user_sgpr_dispatch_ptr 0
		.amdhsa_user_sgpr_queue_ptr 0
		.amdhsa_user_sgpr_kernarg_segment_ptr 1
		.amdhsa_user_sgpr_dispatch_id 0
		.amdhsa_user_sgpr_kernarg_preload_length 0
		.amdhsa_user_sgpr_kernarg_preload_offset 0
		.amdhsa_user_sgpr_private_segment_size 0
		.amdhsa_wavefront_size32 1
		.amdhsa_uses_dynamic_stack 0
		.amdhsa_enable_private_segment 0
		.amdhsa_system_sgpr_workgroup_id_x 1
		.amdhsa_system_sgpr_workgroup_id_y 0
		.amdhsa_system_sgpr_workgroup_id_z 0
		.amdhsa_system_sgpr_workgroup_info 0
		.amdhsa_system_vgpr_workitem_id 0
		.amdhsa_next_free_vgpr 7
		.amdhsa_next_free_sgpr 13
		.amdhsa_named_barrier_count 0
		.amdhsa_reserve_vcc 1
		.amdhsa_float_round_mode_32 0
		.amdhsa_float_round_mode_16_64 0
		.amdhsa_float_denorm_mode_32 3
		.amdhsa_float_denorm_mode_16_64 3
		.amdhsa_fp16_overflow 0
		.amdhsa_memory_ordered 1
		.amdhsa_forward_progress 1
		.amdhsa_inst_pref_size 4
		.amdhsa_round_robin_scheduling 0
		.amdhsa_exception_fp_ieee_invalid_op 0
		.amdhsa_exception_fp_denorm_src 0
		.amdhsa_exception_fp_ieee_div_zero 0
		.amdhsa_exception_fp_ieee_overflow 0
		.amdhsa_exception_fp_ieee_underflow 0
		.amdhsa_exception_fp_ieee_inexact 0
		.amdhsa_exception_int_div_zero 0
	.end_amdhsa_kernel
	.section	.text._Z6kernelI26subtract_left_partial_tileLj256ELj1ELb1EJPxPiS1_jEEvDpT3_,"axG",@progbits,_Z6kernelI26subtract_left_partial_tileLj256ELj1ELb1EJPxPiS1_jEEvDpT3_,comdat
.Lfunc_end168:
	.size	_Z6kernelI26subtract_left_partial_tileLj256ELj1ELb1EJPxPiS1_jEEvDpT3_, .Lfunc_end168-_Z6kernelI26subtract_left_partial_tileLj256ELj1ELb1EJPxPiS1_jEEvDpT3_
                                        ; -- End function
	.set _Z6kernelI26subtract_left_partial_tileLj256ELj1ELb1EJPxPiS1_jEEvDpT3_.num_vgpr, 7
	.set _Z6kernelI26subtract_left_partial_tileLj256ELj1ELb1EJPxPiS1_jEEvDpT3_.num_agpr, 0
	.set _Z6kernelI26subtract_left_partial_tileLj256ELj1ELb1EJPxPiS1_jEEvDpT3_.numbered_sgpr, 13
	.set _Z6kernelI26subtract_left_partial_tileLj256ELj1ELb1EJPxPiS1_jEEvDpT3_.num_named_barrier, 0
	.set _Z6kernelI26subtract_left_partial_tileLj256ELj1ELb1EJPxPiS1_jEEvDpT3_.private_seg_size, 0
	.set _Z6kernelI26subtract_left_partial_tileLj256ELj1ELb1EJPxPiS1_jEEvDpT3_.uses_vcc, 1
	.set _Z6kernelI26subtract_left_partial_tileLj256ELj1ELb1EJPxPiS1_jEEvDpT3_.uses_flat_scratch, 0
	.set _Z6kernelI26subtract_left_partial_tileLj256ELj1ELb1EJPxPiS1_jEEvDpT3_.has_dyn_sized_stack, 0
	.set _Z6kernelI26subtract_left_partial_tileLj256ELj1ELb1EJPxPiS1_jEEvDpT3_.has_recursion, 0
	.set _Z6kernelI26subtract_left_partial_tileLj256ELj1ELb1EJPxPiS1_jEEvDpT3_.has_indirect_call, 0
	.section	.AMDGPU.csdata,"",@progbits
; Kernel info:
; codeLenInByte = 392
; TotalNumSgprs: 15
; NumVgprs: 7
; ScratchSize: 0
; MemoryBound: 0
; FloatMode: 240
; IeeeMode: 1
; LDSByteSize: 4096 bytes/workgroup (compile time only)
; SGPRBlocks: 0
; VGPRBlocks: 0
; NumSGPRsForWavesPerEU: 15
; NumVGPRsForWavesPerEU: 7
; NamedBarCnt: 0
; Occupancy: 16
; WaveLimiterHint : 0
; COMPUTE_PGM_RSRC2:SCRATCH_EN: 0
; COMPUTE_PGM_RSRC2:USER_SGPR: 2
; COMPUTE_PGM_RSRC2:TRAP_HANDLER: 0
; COMPUTE_PGM_RSRC2:TGID_X_EN: 1
; COMPUTE_PGM_RSRC2:TGID_Y_EN: 0
; COMPUTE_PGM_RSRC2:TGID_Z_EN: 0
; COMPUTE_PGM_RSRC2:TIDIG_COMP_CNT: 0
	.section	.text._Z6kernelI26subtract_left_partial_tileLj256ELj3ELb1EJPxPiS1_jEEvDpT3_,"axG",@progbits,_Z6kernelI26subtract_left_partial_tileLj256ELj3ELb1EJPxPiS1_jEEvDpT3_,comdat
	.protected	_Z6kernelI26subtract_left_partial_tileLj256ELj3ELb1EJPxPiS1_jEEvDpT3_ ; -- Begin function _Z6kernelI26subtract_left_partial_tileLj256ELj3ELb1EJPxPiS1_jEEvDpT3_
	.globl	_Z6kernelI26subtract_left_partial_tileLj256ELj3ELb1EJPxPiS1_jEEvDpT3_
	.p2align	8
	.type	_Z6kernelI26subtract_left_partial_tileLj256ELj3ELb1EJPxPiS1_jEEvDpT3_,@function
_Z6kernelI26subtract_left_partial_tileLj256ELj3ELb1EJPxPiS1_jEEvDpT3_: ; @_Z6kernelI26subtract_left_partial_tileLj256ELj3ELb1EJPxPiS1_jEEvDpT3_
; %bb.0:
	s_load_b128 s[12:15], s[0:1], 0x0
	s_bfe_u32 s2, ttmp6, 0x4000c
	s_and_b32 s3, ttmp6, 15
	s_add_co_i32 s2, s2, 1
	s_getreg_b32 s4, hwreg(HW_REG_IB_STS2, 6, 4)
	s_mul_i32 s2, ttmp9, s2
	v_mul_u32_u24_e32 v10, 3, v0
	s_add_co_i32 s3, s3, s2
	s_cmp_eq_u32 s4, 0
	s_load_b96 s[4:6], s[0:1], 0x10
	s_cselect_b32 s7, ttmp9, s3
	s_mov_b32 s3, 0
	s_mul_i32 s2, s7, 0x300
	v_mad_u32_u24 v11, v0, 3, 2
	s_lshl_b64 s[8:9], s[2:3], 3
	v_mad_u32_u24 v12, v0, 3, 1
	v_cmp_ne_u32_e32 vcc_lo, 0, v0
	s_wait_kmcnt 0x0
	s_add_nc_u64 s[0:1], s[12:13], s[8:9]
	s_clause 0x2
	global_load_b64 v[2:3], v0, s[0:1] scale_offset
	global_load_b64 v[4:5], v0, s[0:1] offset:2048 scale_offset
	global_load_b64 v[6:7], v0, s[0:1] offset:4096 scale_offset
	s_load_b32 s3, s[14:15], s7 offset:0x0 scale_offset
	s_cvt_f32_u32 s0, s6
	s_sub_co_i32 s1, 0, s6
	s_delay_alu instid0(SALU_CYCLE_2) | instskip(SKIP_1) | instid1(TRANS32_DEP_1)
	v_rcp_iflag_f32_e32 v1, s0
	v_nop
	v_readfirstlane_b32 s0, v1
	v_lshlrev_b32_e32 v1, 3, v0
	s_mul_f32 s0, s0, 0x4f7ffffe
	s_delay_alu instid0(VALU_DEP_1) | instskip(NEXT) | instid1(SALU_CYCLE_2)
	v_add_nc_u32_e32 v13, -8, v1
	s_cvt_u32_f32 s0, s0
	s_delay_alu instid0(SALU_CYCLE_3) | instskip(NEXT) | instid1(SALU_CYCLE_1)
	s_mul_i32 s1, s1, s0
	s_mul_hi_u32 s1, s0, s1
	s_delay_alu instid0(SALU_CYCLE_1) | instskip(NEXT) | instid1(SALU_CYCLE_1)
	s_add_co_i32 s0, s0, s1
	s_mul_hi_u32 s0, s0, 0x300
	s_delay_alu instid0(SALU_CYCLE_1)
	s_mul_i32 s1, s0, s6
	s_add_co_i32 s2, s0, 1
	s_sub_co_i32 s1, 0x300, s1
	s_wait_xcnt 0x0
	s_sub_co_i32 s7, s1, s6
	s_cmp_ge_u32 s1, s6
	s_cselect_b32 s0, s2, s0
	s_cselect_b32 s1, s7, s1
	s_add_co_i32 s2, s0, 1
	s_cmp_ge_u32 s1, s6
	s_cselect_b32 s7, s2, s0
	s_delay_alu instid0(SALU_CYCLE_1)
	s_add_co_i32 s7, s7, 1
	s_branch .LBB169_2
.LBB169_1:                              ;   in Loop: Header=BB169_2 Depth=1
	s_or_b32 exec_lo, exec_lo, s0
	s_wait_kmcnt 0x0
	v_cmp_gt_u32_e64 s0, s3, v12
	v_cmp_gt_u32_e64 s1, s3, v10
	;; [unrolled: 1-line block ×3, first 2 shown]
	s_add_co_i32 s6, s6, -1
	s_wait_dscnt 0x0
	v_dual_cndmask_b32 v15, 0, v3, s0 :: v_dual_cndmask_b32 v9, 0, v9, s1
	v_dual_cndmask_b32 v14, 0, v2, s0 :: v_dual_cndmask_b32 v8, 0, v8, s1
	;; [unrolled: 1-line block ×3, first 2 shown]
	s_add_co_i32 s0, s7, s3
	s_delay_alu instid0(VALU_DEP_2) | instskip(NEXT) | instid1(VALU_DEP_3)
	v_sub_nc_u64_e32 v[14:15], v[4:5], v[14:15]
	v_sub_nc_u64_e32 v[8:9], v[2:3], v[8:9]
	s_mul_hi_u32 s1, s0, 0xaaaaaaab
	v_sub_nc_u64_e32 v[16:17], v[6:7], v[16:17]
	s_lshr_b32 s1, s1, 9
	s_barrier_signal -1
	s_mulk_i32 s1, 0x300
	v_add_nc_u64_e32 v[4:5], v[14:15], v[4:5]
	v_add_nc_u64_e32 v[2:3], v[8:9], v[2:3]
	s_sub_co_i32 s3, s0, s1
	v_add_nc_u64_e32 v[6:7], v[16:17], v[6:7]
	s_cmp_lg_u32 s6, 0
	s_barrier_wait -1
	s_cbranch_scc0 .LBB169_4
.LBB169_2:                              ; =>This Inner Loop Header: Depth=1
	v_mov_b64_e32 v[8:9], 0x7b
	s_wait_loadcnt 0x0
	ds_store_b64 v1, v[6:7]
	s_wait_dscnt 0x0
	s_barrier_signal -1
	s_barrier_wait -1
	s_and_saveexec_b32 s0, vcc_lo
	s_cbranch_execz .LBB169_1
; %bb.3:                                ;   in Loop: Header=BB169_2 Depth=1
	ds_load_b64 v[8:9], v13
	s_branch .LBB169_1
.LBB169_4:
	s_add_nc_u64 s[0:1], s[4:5], s[8:9]
	s_clause 0x2
	global_store_b64 v0, v[2:3], s[0:1] scale_offset
	global_store_b64 v0, v[4:5], s[0:1] offset:2048 scale_offset
	global_store_b64 v0, v[6:7], s[0:1] offset:4096 scale_offset
	s_endpgm
	.section	.rodata,"a",@progbits
	.p2align	6, 0x0
	.amdhsa_kernel _Z6kernelI26subtract_left_partial_tileLj256ELj3ELb1EJPxPiS1_jEEvDpT3_
		.amdhsa_group_segment_fixed_size 4096
		.amdhsa_private_segment_fixed_size 0
		.amdhsa_kernarg_size 28
		.amdhsa_user_sgpr_count 2
		.amdhsa_user_sgpr_dispatch_ptr 0
		.amdhsa_user_sgpr_queue_ptr 0
		.amdhsa_user_sgpr_kernarg_segment_ptr 1
		.amdhsa_user_sgpr_dispatch_id 0
		.amdhsa_user_sgpr_kernarg_preload_length 0
		.amdhsa_user_sgpr_kernarg_preload_offset 0
		.amdhsa_user_sgpr_private_segment_size 0
		.amdhsa_wavefront_size32 1
		.amdhsa_uses_dynamic_stack 0
		.amdhsa_enable_private_segment 0
		.amdhsa_system_sgpr_workgroup_id_x 1
		.amdhsa_system_sgpr_workgroup_id_y 0
		.amdhsa_system_sgpr_workgroup_id_z 0
		.amdhsa_system_sgpr_workgroup_info 0
		.amdhsa_system_vgpr_workitem_id 0
		.amdhsa_next_free_vgpr 18
		.amdhsa_next_free_sgpr 16
		.amdhsa_named_barrier_count 0
		.amdhsa_reserve_vcc 1
		.amdhsa_float_round_mode_32 0
		.amdhsa_float_round_mode_16_64 0
		.amdhsa_float_denorm_mode_32 3
		.amdhsa_float_denorm_mode_16_64 3
		.amdhsa_fp16_overflow 0
		.amdhsa_memory_ordered 1
		.amdhsa_forward_progress 1
		.amdhsa_inst_pref_size 5
		.amdhsa_round_robin_scheduling 0
		.amdhsa_exception_fp_ieee_invalid_op 0
		.amdhsa_exception_fp_denorm_src 0
		.amdhsa_exception_fp_ieee_div_zero 0
		.amdhsa_exception_fp_ieee_overflow 0
		.amdhsa_exception_fp_ieee_underflow 0
		.amdhsa_exception_fp_ieee_inexact 0
		.amdhsa_exception_int_div_zero 0
	.end_amdhsa_kernel
	.section	.text._Z6kernelI26subtract_left_partial_tileLj256ELj3ELb1EJPxPiS1_jEEvDpT3_,"axG",@progbits,_Z6kernelI26subtract_left_partial_tileLj256ELj3ELb1EJPxPiS1_jEEvDpT3_,comdat
.Lfunc_end169:
	.size	_Z6kernelI26subtract_left_partial_tileLj256ELj3ELb1EJPxPiS1_jEEvDpT3_, .Lfunc_end169-_Z6kernelI26subtract_left_partial_tileLj256ELj3ELb1EJPxPiS1_jEEvDpT3_
                                        ; -- End function
	.set _Z6kernelI26subtract_left_partial_tileLj256ELj3ELb1EJPxPiS1_jEEvDpT3_.num_vgpr, 18
	.set _Z6kernelI26subtract_left_partial_tileLj256ELj3ELb1EJPxPiS1_jEEvDpT3_.num_agpr, 0
	.set _Z6kernelI26subtract_left_partial_tileLj256ELj3ELb1EJPxPiS1_jEEvDpT3_.numbered_sgpr, 16
	.set _Z6kernelI26subtract_left_partial_tileLj256ELj3ELb1EJPxPiS1_jEEvDpT3_.num_named_barrier, 0
	.set _Z6kernelI26subtract_left_partial_tileLj256ELj3ELb1EJPxPiS1_jEEvDpT3_.private_seg_size, 0
	.set _Z6kernelI26subtract_left_partial_tileLj256ELj3ELb1EJPxPiS1_jEEvDpT3_.uses_vcc, 1
	.set _Z6kernelI26subtract_left_partial_tileLj256ELj3ELb1EJPxPiS1_jEEvDpT3_.uses_flat_scratch, 0
	.set _Z6kernelI26subtract_left_partial_tileLj256ELj3ELb1EJPxPiS1_jEEvDpT3_.has_dyn_sized_stack, 0
	.set _Z6kernelI26subtract_left_partial_tileLj256ELj3ELb1EJPxPiS1_jEEvDpT3_.has_recursion, 0
	.set _Z6kernelI26subtract_left_partial_tileLj256ELj3ELb1EJPxPiS1_jEEvDpT3_.has_indirect_call, 0
	.section	.AMDGPU.csdata,"",@progbits
; Kernel info:
; codeLenInByte = 532
; TotalNumSgprs: 18
; NumVgprs: 18
; ScratchSize: 0
; MemoryBound: 0
; FloatMode: 240
; IeeeMode: 1
; LDSByteSize: 4096 bytes/workgroup (compile time only)
; SGPRBlocks: 0
; VGPRBlocks: 1
; NumSGPRsForWavesPerEU: 18
; NumVGPRsForWavesPerEU: 18
; NamedBarCnt: 0
; Occupancy: 16
; WaveLimiterHint : 1
; COMPUTE_PGM_RSRC2:SCRATCH_EN: 0
; COMPUTE_PGM_RSRC2:USER_SGPR: 2
; COMPUTE_PGM_RSRC2:TRAP_HANDLER: 0
; COMPUTE_PGM_RSRC2:TGID_X_EN: 1
; COMPUTE_PGM_RSRC2:TGID_Y_EN: 0
; COMPUTE_PGM_RSRC2:TGID_Z_EN: 0
; COMPUTE_PGM_RSRC2:TIDIG_COMP_CNT: 0
	.section	.text._Z6kernelI26subtract_left_partial_tileLj256ELj4ELb1EJPxPiS1_jEEvDpT3_,"axG",@progbits,_Z6kernelI26subtract_left_partial_tileLj256ELj4ELb1EJPxPiS1_jEEvDpT3_,comdat
	.protected	_Z6kernelI26subtract_left_partial_tileLj256ELj4ELb1EJPxPiS1_jEEvDpT3_ ; -- Begin function _Z6kernelI26subtract_left_partial_tileLj256ELj4ELb1EJPxPiS1_jEEvDpT3_
	.globl	_Z6kernelI26subtract_left_partial_tileLj256ELj4ELb1EJPxPiS1_jEEvDpT3_
	.p2align	8
	.type	_Z6kernelI26subtract_left_partial_tileLj256ELj4ELb1EJPxPiS1_jEEvDpT3_,@function
_Z6kernelI26subtract_left_partial_tileLj256ELj4ELb1EJPxPiS1_jEEvDpT3_: ; @_Z6kernelI26subtract_left_partial_tileLj256ELj4ELb1EJPxPiS1_jEEvDpT3_
; %bb.0:
	s_load_b128 s[12:15], s[0:1], 0x0
	s_bfe_u32 s2, ttmp6, 0x4000c
	s_and_b32 s3, ttmp6, 15
	s_add_co_i32 s2, s2, 1
	s_getreg_b32 s4, hwreg(HW_REG_IB_STS2, 6, 4)
	s_mul_i32 s2, ttmp9, s2
	v_cmp_ne_u32_e32 vcc_lo, 0, v0
	s_add_co_i32 s3, s3, s2
	s_cmp_eq_u32 s4, 0
	s_load_b96 s[4:6], s[0:1], 0x10
	s_cselect_b32 s7, ttmp9, s3
	s_mov_b32 s3, 0
	s_lshl_b32 s2, s7, 10
	v_lshlrev_b32_e32 v12, 3, v0
	s_lshl_b64 s[8:9], s[2:3], 3
	s_delay_alu instid0(VALU_DEP_1)
	v_add_nc_u32_e32 v16, -8, v12
	s_wait_kmcnt 0x0
	s_add_nc_u64 s[0:1], s[12:13], s[8:9]
	s_clause 0x3
	global_load_b64 v[2:3], v0, s[0:1] scale_offset
	global_load_b64 v[4:5], v0, s[0:1] offset:2048 scale_offset
	global_load_b64 v[6:7], v0, s[0:1] offset:4096 scale_offset
	;; [unrolled: 1-line block ×3, first 2 shown]
	s_load_b32 s7, s[14:15], s7 offset:0x0 scale_offset
	s_cvt_f32_u32 s0, s6
	s_sub_co_i32 s1, 0, s6
	s_delay_alu instid0(SALU_CYCLE_2) | instskip(SKIP_1) | instid1(TRANS32_DEP_1)
	v_rcp_iflag_f32_e32 v1, s0
	v_nop
	v_readfirstlane_b32 s0, v1
	v_lshlrev_b32_e32 v1, 2, v0
	s_mul_f32 s0, s0, 0x4f7ffffe
	s_delay_alu instid0(VALU_DEP_1) | instskip(SKIP_3) | instid1(SALU_CYCLE_3)
	v_or_b32_e32 v13, 3, v1
	v_or_b32_e32 v14, 2, v1
	;; [unrolled: 1-line block ×3, first 2 shown]
	s_cvt_u32_f32 s0, s0
	s_mul_i32 s1, s1, s0
	s_delay_alu instid0(SALU_CYCLE_1) | instskip(NEXT) | instid1(SALU_CYCLE_1)
	s_mul_hi_u32 s1, s0, s1
	s_add_co_i32 s0, s0, s1
	s_delay_alu instid0(SALU_CYCLE_1) | instskip(NEXT) | instid1(SALU_CYCLE_1)
	s_lshr_b32 s0, s0, 22
	s_mul_i32 s1, s0, s6
	s_add_co_i32 s2, s0, 1
	s_sub_co_i32 s1, 0x400, s1
	s_delay_alu instid0(SALU_CYCLE_1)
	s_sub_co_i32 s3, s1, s6
	s_cmp_ge_u32 s1, s6
	s_cselect_b32 s0, s2, s0
	s_cselect_b32 s1, s3, s1
	s_add_co_i32 s2, s0, 1
	s_cmp_ge_u32 s1, s6
	s_cselect_b32 s10, s2, s0
	s_delay_alu instid0(SALU_CYCLE_1)
	s_add_co_i32 s10, s10, 1
	s_branch .LBB170_2
.LBB170_1:                              ;   in Loop: Header=BB170_2 Depth=1
	s_or_b32 exec_lo, exec_lo, s0
	s_wait_kmcnt 0x0
	v_cmp_gt_u32_e64 s0, s7, v13
	v_cmp_gt_u32_e64 s1, s7, v15
	;; [unrolled: 1-line block ×4, first 2 shown]
	s_add_co_i32 s6, s6, -1
	v_dual_cndmask_b32 v23, 0, v7, s0 :: v_dual_cndmask_b32 v22, 0, v6, s0
	v_dual_cndmask_b32 v21, 0, v3, s1 :: v_dual_cndmask_b32 v19, 0, v5, s3
	s_wait_dscnt 0x0
	v_dual_cndmask_b32 v11, 0, v11, s2 :: v_dual_cndmask_b32 v10, 0, v10, s2
	v_dual_cndmask_b32 v20, 0, v2, s1 :: v_dual_cndmask_b32 v18, 0, v4, s3
	v_sub_nc_u64_e32 v[22:23], v[8:9], v[22:23]
	s_add_co_i32 s0, s10, s7
	s_delay_alu instid0(VALU_DEP_3) | instskip(NEXT) | instid1(VALU_DEP_3)
	v_sub_nc_u64_e32 v[10:11], v[2:3], v[10:11]
	v_sub_nc_u64_e32 v[20:21], v[4:5], v[20:21]
	;; [unrolled: 1-line block ×3, first 2 shown]
	s_and_b32 s7, s0, 0x3ff
	s_cmp_lg_u32 s6, 0
	v_add_nc_u64_e32 v[8:9], v[22:23], v[8:9]
	s_delay_alu instid0(VALU_DEP_4) | instskip(NEXT) | instid1(VALU_DEP_4)
	v_add_nc_u64_e32 v[2:3], v[10:11], v[2:3]
	v_add_nc_u64_e32 v[4:5], v[20:21], v[4:5]
	s_delay_alu instid0(VALU_DEP_4)
	v_add_nc_u64_e32 v[6:7], v[18:19], v[6:7]
	s_barrier_signal -1
	s_barrier_wait -1
	s_cbranch_scc0 .LBB170_4
.LBB170_2:                              ; =>This Inner Loop Header: Depth=1
	v_mov_b64_e32 v[10:11], 0x7b
	s_wait_loadcnt 0x0
	ds_store_b64 v12, v[8:9]
	s_wait_dscnt 0x0
	s_barrier_signal -1
	s_barrier_wait -1
	s_and_saveexec_b32 s0, vcc_lo
	s_cbranch_execz .LBB170_1
; %bb.3:                                ;   in Loop: Header=BB170_2 Depth=1
	ds_load_b64 v[10:11], v16
	s_branch .LBB170_1
.LBB170_4:
	s_add_nc_u64 s[0:1], s[4:5], s[8:9]
	s_clause 0x3
	global_store_b64 v0, v[2:3], s[0:1] scale_offset
	global_store_b64 v0, v[4:5], s[0:1] offset:2048 scale_offset
	global_store_b64 v0, v[6:7], s[0:1] offset:4096 scale_offset
	global_store_b64 v0, v[8:9], s[0:1] offset:6144 scale_offset
	s_endpgm
	.section	.rodata,"a",@progbits
	.p2align	6, 0x0
	.amdhsa_kernel _Z6kernelI26subtract_left_partial_tileLj256ELj4ELb1EJPxPiS1_jEEvDpT3_
		.amdhsa_group_segment_fixed_size 4096
		.amdhsa_private_segment_fixed_size 0
		.amdhsa_kernarg_size 28
		.amdhsa_user_sgpr_count 2
		.amdhsa_user_sgpr_dispatch_ptr 0
		.amdhsa_user_sgpr_queue_ptr 0
		.amdhsa_user_sgpr_kernarg_segment_ptr 1
		.amdhsa_user_sgpr_dispatch_id 0
		.amdhsa_user_sgpr_kernarg_preload_length 0
		.amdhsa_user_sgpr_kernarg_preload_offset 0
		.amdhsa_user_sgpr_private_segment_size 0
		.amdhsa_wavefront_size32 1
		.amdhsa_uses_dynamic_stack 0
		.amdhsa_enable_private_segment 0
		.amdhsa_system_sgpr_workgroup_id_x 1
		.amdhsa_system_sgpr_workgroup_id_y 0
		.amdhsa_system_sgpr_workgroup_id_z 0
		.amdhsa_system_sgpr_workgroup_info 0
		.amdhsa_system_vgpr_workitem_id 0
		.amdhsa_next_free_vgpr 24
		.amdhsa_next_free_sgpr 16
		.amdhsa_named_barrier_count 0
		.amdhsa_reserve_vcc 1
		.amdhsa_float_round_mode_32 0
		.amdhsa_float_round_mode_16_64 0
		.amdhsa_float_denorm_mode_32 3
		.amdhsa_float_denorm_mode_16_64 3
		.amdhsa_fp16_overflow 0
		.amdhsa_memory_ordered 1
		.amdhsa_forward_progress 1
		.amdhsa_inst_pref_size 5
		.amdhsa_round_robin_scheduling 0
		.amdhsa_exception_fp_ieee_invalid_op 0
		.amdhsa_exception_fp_denorm_src 0
		.amdhsa_exception_fp_ieee_div_zero 0
		.amdhsa_exception_fp_ieee_overflow 0
		.amdhsa_exception_fp_ieee_underflow 0
		.amdhsa_exception_fp_ieee_inexact 0
		.amdhsa_exception_int_div_zero 0
	.end_amdhsa_kernel
	.section	.text._Z6kernelI26subtract_left_partial_tileLj256ELj4ELb1EJPxPiS1_jEEvDpT3_,"axG",@progbits,_Z6kernelI26subtract_left_partial_tileLj256ELj4ELb1EJPxPiS1_jEEvDpT3_,comdat
.Lfunc_end170:
	.size	_Z6kernelI26subtract_left_partial_tileLj256ELj4ELb1EJPxPiS1_jEEvDpT3_, .Lfunc_end170-_Z6kernelI26subtract_left_partial_tileLj256ELj4ELb1EJPxPiS1_jEEvDpT3_
                                        ; -- End function
	.set _Z6kernelI26subtract_left_partial_tileLj256ELj4ELb1EJPxPiS1_jEEvDpT3_.num_vgpr, 24
	.set _Z6kernelI26subtract_left_partial_tileLj256ELj4ELb1EJPxPiS1_jEEvDpT3_.num_agpr, 0
	.set _Z6kernelI26subtract_left_partial_tileLj256ELj4ELb1EJPxPiS1_jEEvDpT3_.numbered_sgpr, 16
	.set _Z6kernelI26subtract_left_partial_tileLj256ELj4ELb1EJPxPiS1_jEEvDpT3_.num_named_barrier, 0
	.set _Z6kernelI26subtract_left_partial_tileLj256ELj4ELb1EJPxPiS1_jEEvDpT3_.private_seg_size, 0
	.set _Z6kernelI26subtract_left_partial_tileLj256ELj4ELb1EJPxPiS1_jEEvDpT3_.uses_vcc, 1
	.set _Z6kernelI26subtract_left_partial_tileLj256ELj4ELb1EJPxPiS1_jEEvDpT3_.uses_flat_scratch, 0
	.set _Z6kernelI26subtract_left_partial_tileLj256ELj4ELb1EJPxPiS1_jEEvDpT3_.has_dyn_sized_stack, 0
	.set _Z6kernelI26subtract_left_partial_tileLj256ELj4ELb1EJPxPiS1_jEEvDpT3_.has_recursion, 0
	.set _Z6kernelI26subtract_left_partial_tileLj256ELj4ELb1EJPxPiS1_jEEvDpT3_.has_indirect_call, 0
	.section	.AMDGPU.csdata,"",@progbits
; Kernel info:
; codeLenInByte = 568
; TotalNumSgprs: 18
; NumVgprs: 24
; ScratchSize: 0
; MemoryBound: 0
; FloatMode: 240
; IeeeMode: 1
; LDSByteSize: 4096 bytes/workgroup (compile time only)
; SGPRBlocks: 0
; VGPRBlocks: 1
; NumSGPRsForWavesPerEU: 18
; NumVGPRsForWavesPerEU: 24
; NamedBarCnt: 0
; Occupancy: 16
; WaveLimiterHint : 1
; COMPUTE_PGM_RSRC2:SCRATCH_EN: 0
; COMPUTE_PGM_RSRC2:USER_SGPR: 2
; COMPUTE_PGM_RSRC2:TRAP_HANDLER: 0
; COMPUTE_PGM_RSRC2:TGID_X_EN: 1
; COMPUTE_PGM_RSRC2:TGID_Y_EN: 0
; COMPUTE_PGM_RSRC2:TGID_Z_EN: 0
; COMPUTE_PGM_RSRC2:TIDIG_COMP_CNT: 0
	.section	.text._Z6kernelI26subtract_left_partial_tileLj256ELj8ELb1EJPxPiS1_jEEvDpT3_,"axG",@progbits,_Z6kernelI26subtract_left_partial_tileLj256ELj8ELb1EJPxPiS1_jEEvDpT3_,comdat
	.protected	_Z6kernelI26subtract_left_partial_tileLj256ELj8ELb1EJPxPiS1_jEEvDpT3_ ; -- Begin function _Z6kernelI26subtract_left_partial_tileLj256ELj8ELb1EJPxPiS1_jEEvDpT3_
	.globl	_Z6kernelI26subtract_left_partial_tileLj256ELj8ELb1EJPxPiS1_jEEvDpT3_
	.p2align	8
	.type	_Z6kernelI26subtract_left_partial_tileLj256ELj8ELb1EJPxPiS1_jEEvDpT3_,@function
_Z6kernelI26subtract_left_partial_tileLj256ELj8ELb1EJPxPiS1_jEEvDpT3_: ; @_Z6kernelI26subtract_left_partial_tileLj256ELj8ELb1EJPxPiS1_jEEvDpT3_
; %bb.0:
	s_load_b128 s[4:7], s[0:1], 0x0
	s_bfe_u32 s2, ttmp6, 0x4000c
	s_and_b32 s3, ttmp6, 15
	s_add_co_i32 s2, s2, 1
	s_getreg_b32 s8, hwreg(HW_REG_IB_STS2, 6, 4)
	s_mul_i32 s2, ttmp9, s2
	v_cmp_ne_u32_e32 vcc_lo, 0, v0
	s_add_co_i32 s3, s3, s2
	s_cmp_eq_u32 s8, 0
	s_load_b96 s[8:10], s[0:1], 0x10
	s_cselect_b32 s11, ttmp9, s3
	s_mov_b32 s3, 0
	s_lshl_b32 s2, s11, 11
	s_delay_alu instid0(SALU_CYCLE_1)
	s_lshl_b64 s[12:13], s[2:3], 3
	s_wait_kmcnt 0x0
	s_add_nc_u64 s[0:1], s[4:5], s[12:13]
	s_clause 0x7
	global_load_b64 v[14:15], v0, s[0:1] scale_offset
	global_load_b64 v[12:13], v0, s[0:1] offset:2048 scale_offset
	global_load_b64 v[10:11], v0, s[0:1] offset:4096 scale_offset
	global_load_b64 v[8:9], v0, s[0:1] offset:6144 scale_offset
	global_load_b64 v[6:7], v0, s[0:1] offset:8192 scale_offset
	global_load_b64 v[4:5], v0, s[0:1] offset:10240 scale_offset
	global_load_b64 v[2:3], v0, s[0:1] offset:12288 scale_offset
	global_load_b64 v[16:17], v0, s[0:1] offset:14336 scale_offset
	s_load_b32 s5, s[6:7], s11 offset:0x0 scale_offset
	s_cvt_f32_u32 s0, s10
	s_sub_co_i32 s1, 0, s10
	s_delay_alu instid0(SALU_CYCLE_2) | instskip(SKIP_1) | instid1(TRANS32_DEP_1)
	v_rcp_iflag_f32_e32 v1, s0
	v_nop
	v_readfirstlane_b32 s0, v1
	v_lshlrev_b32_e32 v1, 3, v0
	s_mul_f32 s0, s0, 0x4f7ffffe
	s_delay_alu instid0(VALU_DEP_1) | instskip(SKIP_1) | instid1(SALU_CYCLE_1)
	v_dual_add_nc_u32 v27, -8, v1 :: v_dual_bitop2_b32 v20, 7, v1 bitop3:0x54
	v_or_b32_e32 v21, 6, v1
	s_cvt_u32_f32 s0, s0
	v_or_b32_e32 v22, 5, v1
	v_or_b32_e32 v23, 4, v1
	;; [unrolled: 1-line block ×3, first 2 shown]
	s_mul_i32 s1, s1, s0
	v_or_b32_e32 v25, 2, v1
	s_mul_hi_u32 s1, s0, s1
	v_or_b32_e32 v26, 1, v1
	s_add_co_i32 s0, s0, s1
	s_delay_alu instid0(SALU_CYCLE_1) | instskip(NEXT) | instid1(SALU_CYCLE_1)
	s_lshr_b32 s0, s0, 21
	s_mul_i32 s1, s0, s10
	s_add_co_i32 s2, s0, 1
	s_sub_co_i32 s1, 0x800, s1
	s_delay_alu instid0(SALU_CYCLE_1)
	s_sub_co_i32 s3, s1, s10
	s_cmp_ge_u32 s1, s10
	s_cselect_b32 s0, s2, s0
	s_cselect_b32 s1, s3, s1
	s_add_co_i32 s2, s0, 1
	s_cmp_ge_u32 s1, s10
	s_wait_xcnt 0x0
	s_cselect_b32 s6, s2, s0
	s_delay_alu instid0(SALU_CYCLE_1)
	s_add_co_i32 s6, s6, 1
	s_branch .LBB171_2
.LBB171_1:                              ;   in Loop: Header=BB171_2 Depth=1
	s_or_b32 exec_lo, exec_lo, s0
	s_wait_kmcnt 0x0
	v_cmp_gt_u32_e64 s0, s5, v20
	v_cmp_gt_u32_e64 s1, s5, v21
	;; [unrolled: 1-line block ×5, first 2 shown]
	v_dual_cndmask_b32 v29, 0, v3, s0 :: v_dual_cndmask_b32 v28, 0, v2, s0
	s_delay_alu instid0(VALU_DEP_4)
	v_dual_cndmask_b32 v31, 0, v5, s1 :: v_dual_cndmask_b32 v33, 0, v7, s2
	v_dual_cndmask_b32 v30, 0, v4, s1 :: v_dual_cndmask_b32 v32, 0, v6, s2
	v_cmp_gt_u32_e64 s0, s5, v23
	v_cmp_gt_u32_e64 s1, s5, v24
	;; [unrolled: 1-line block ×3, first 2 shown]
	s_wait_dscnt 0x0
	v_dual_cndmask_b32 v39, 0, v13, s4 :: v_dual_cndmask_b32 v19, 0, v19, s3
	v_dual_cndmask_b32 v18, 0, v18, s3 :: v_dual_cndmask_b32 v35, 0, v9, s0
	v_cndmask_b32_e64 v37, 0, v11, s1
	v_dual_cndmask_b32 v41, 0, v15, s2 :: v_dual_cndmask_b32 v40, 0, v14, s2
	v_dual_cndmask_b32 v38, 0, v12, s4 :: v_dual_cndmask_b32 v36, 0, v10, s1
	v_cndmask_b32_e64 v34, 0, v8, s0
	v_sub_nc_u64_e32 v[28:29], v[16:17], v[28:29]
	v_sub_nc_u64_e32 v[18:19], v[14:15], v[18:19]
	;; [unrolled: 1-line block ×8, first 2 shown]
	v_add_nc_u64_e32 v[14:15], v[18:19], v[14:15]
	v_add_nc_u64_e32 v[12:13], v[40:41], v[12:13]
	;; [unrolled: 1-line block ×8, first 2 shown]
	s_add_co_i32 s0, s6, s5
	s_add_co_i32 s10, s10, -1
	s_and_b32 s5, s0, 0x7ff
	s_cmp_lg_u32 s10, 0
	s_barrier_signal -1
	s_barrier_wait -1
	s_cbranch_scc0 .LBB171_4
.LBB171_2:                              ; =>This Inner Loop Header: Depth=1
	v_mov_b64_e32 v[18:19], 0x7b
	s_wait_loadcnt 0x0
	ds_store_b64 v1, v[16:17]
	s_wait_dscnt 0x0
	s_barrier_signal -1
	s_barrier_wait -1
	s_and_saveexec_b32 s0, vcc_lo
	s_cbranch_execz .LBB171_1
; %bb.3:                                ;   in Loop: Header=BB171_2 Depth=1
	ds_load_b64 v[18:19], v27
	s_branch .LBB171_1
.LBB171_4:
	s_add_nc_u64 s[0:1], s[8:9], s[12:13]
	s_clause 0x7
	global_store_b64 v0, v[14:15], s[0:1] scale_offset
	global_store_b64 v0, v[12:13], s[0:1] offset:2048 scale_offset
	global_store_b64 v0, v[10:11], s[0:1] offset:4096 scale_offset
	;; [unrolled: 1-line block ×7, first 2 shown]
	s_endpgm
	.section	.rodata,"a",@progbits
	.p2align	6, 0x0
	.amdhsa_kernel _Z6kernelI26subtract_left_partial_tileLj256ELj8ELb1EJPxPiS1_jEEvDpT3_
		.amdhsa_group_segment_fixed_size 4096
		.amdhsa_private_segment_fixed_size 0
		.amdhsa_kernarg_size 28
		.amdhsa_user_sgpr_count 2
		.amdhsa_user_sgpr_dispatch_ptr 0
		.amdhsa_user_sgpr_queue_ptr 0
		.amdhsa_user_sgpr_kernarg_segment_ptr 1
		.amdhsa_user_sgpr_dispatch_id 0
		.amdhsa_user_sgpr_kernarg_preload_length 0
		.amdhsa_user_sgpr_kernarg_preload_offset 0
		.amdhsa_user_sgpr_private_segment_size 0
		.amdhsa_wavefront_size32 1
		.amdhsa_uses_dynamic_stack 0
		.amdhsa_enable_private_segment 0
		.amdhsa_system_sgpr_workgroup_id_x 1
		.amdhsa_system_sgpr_workgroup_id_y 0
		.amdhsa_system_sgpr_workgroup_id_z 0
		.amdhsa_system_sgpr_workgroup_info 0
		.amdhsa_system_vgpr_workitem_id 0
		.amdhsa_next_free_vgpr 42
		.amdhsa_next_free_sgpr 14
		.amdhsa_named_barrier_count 0
		.amdhsa_reserve_vcc 1
		.amdhsa_float_round_mode_32 0
		.amdhsa_float_round_mode_16_64 0
		.amdhsa_float_denorm_mode_32 3
		.amdhsa_float_denorm_mode_16_64 3
		.amdhsa_fp16_overflow 0
		.amdhsa_memory_ordered 1
		.amdhsa_forward_progress 1
		.amdhsa_inst_pref_size 7
		.amdhsa_round_robin_scheduling 0
		.amdhsa_exception_fp_ieee_invalid_op 0
		.amdhsa_exception_fp_denorm_src 0
		.amdhsa_exception_fp_ieee_div_zero 0
		.amdhsa_exception_fp_ieee_overflow 0
		.amdhsa_exception_fp_ieee_underflow 0
		.amdhsa_exception_fp_ieee_inexact 0
		.amdhsa_exception_int_div_zero 0
	.end_amdhsa_kernel
	.section	.text._Z6kernelI26subtract_left_partial_tileLj256ELj8ELb1EJPxPiS1_jEEvDpT3_,"axG",@progbits,_Z6kernelI26subtract_left_partial_tileLj256ELj8ELb1EJPxPiS1_jEEvDpT3_,comdat
.Lfunc_end171:
	.size	_Z6kernelI26subtract_left_partial_tileLj256ELj8ELb1EJPxPiS1_jEEvDpT3_, .Lfunc_end171-_Z6kernelI26subtract_left_partial_tileLj256ELj8ELb1EJPxPiS1_jEEvDpT3_
                                        ; -- End function
	.set _Z6kernelI26subtract_left_partial_tileLj256ELj8ELb1EJPxPiS1_jEEvDpT3_.num_vgpr, 42
	.set _Z6kernelI26subtract_left_partial_tileLj256ELj8ELb1EJPxPiS1_jEEvDpT3_.num_agpr, 0
	.set _Z6kernelI26subtract_left_partial_tileLj256ELj8ELb1EJPxPiS1_jEEvDpT3_.numbered_sgpr, 14
	.set _Z6kernelI26subtract_left_partial_tileLj256ELj8ELb1EJPxPiS1_jEEvDpT3_.num_named_barrier, 0
	.set _Z6kernelI26subtract_left_partial_tileLj256ELj8ELb1EJPxPiS1_jEEvDpT3_.private_seg_size, 0
	.set _Z6kernelI26subtract_left_partial_tileLj256ELj8ELb1EJPxPiS1_jEEvDpT3_.uses_vcc, 1
	.set _Z6kernelI26subtract_left_partial_tileLj256ELj8ELb1EJPxPiS1_jEEvDpT3_.uses_flat_scratch, 0
	.set _Z6kernelI26subtract_left_partial_tileLj256ELj8ELb1EJPxPiS1_jEEvDpT3_.has_dyn_sized_stack, 0
	.set _Z6kernelI26subtract_left_partial_tileLj256ELj8ELb1EJPxPiS1_jEEvDpT3_.has_recursion, 0
	.set _Z6kernelI26subtract_left_partial_tileLj256ELj8ELb1EJPxPiS1_jEEvDpT3_.has_indirect_call, 0
	.section	.AMDGPU.csdata,"",@progbits
; Kernel info:
; codeLenInByte = 788
; TotalNumSgprs: 16
; NumVgprs: 42
; ScratchSize: 0
; MemoryBound: 0
; FloatMode: 240
; IeeeMode: 1
; LDSByteSize: 4096 bytes/workgroup (compile time only)
; SGPRBlocks: 0
; VGPRBlocks: 2
; NumSGPRsForWavesPerEU: 16
; NumVGPRsForWavesPerEU: 42
; NamedBarCnt: 0
; Occupancy: 16
; WaveLimiterHint : 1
; COMPUTE_PGM_RSRC2:SCRATCH_EN: 0
; COMPUTE_PGM_RSRC2:USER_SGPR: 2
; COMPUTE_PGM_RSRC2:TRAP_HANDLER: 0
; COMPUTE_PGM_RSRC2:TGID_X_EN: 1
; COMPUTE_PGM_RSRC2:TGID_Y_EN: 0
; COMPUTE_PGM_RSRC2:TGID_Z_EN: 0
; COMPUTE_PGM_RSRC2:TIDIG_COMP_CNT: 0
	.section	.text._Z6kernelI26subtract_left_partial_tileLj256ELj16ELb1EJPxPiS1_jEEvDpT3_,"axG",@progbits,_Z6kernelI26subtract_left_partial_tileLj256ELj16ELb1EJPxPiS1_jEEvDpT3_,comdat
	.protected	_Z6kernelI26subtract_left_partial_tileLj256ELj16ELb1EJPxPiS1_jEEvDpT3_ ; -- Begin function _Z6kernelI26subtract_left_partial_tileLj256ELj16ELb1EJPxPiS1_jEEvDpT3_
	.globl	_Z6kernelI26subtract_left_partial_tileLj256ELj16ELb1EJPxPiS1_jEEvDpT3_
	.p2align	8
	.type	_Z6kernelI26subtract_left_partial_tileLj256ELj16ELb1EJPxPiS1_jEEvDpT3_,@function
_Z6kernelI26subtract_left_partial_tileLj256ELj16ELb1EJPxPiS1_jEEvDpT3_: ; @_Z6kernelI26subtract_left_partial_tileLj256ELj16ELb1EJPxPiS1_jEEvDpT3_
; %bb.0:
	s_load_b128 s[4:7], s[0:1], 0x0
	s_bfe_u32 s2, ttmp6, 0x4000c
	s_and_b32 s3, ttmp6, 15
	s_add_co_i32 s2, s2, 1
	s_getreg_b32 s8, hwreg(HW_REG_IB_STS2, 6, 4)
	s_mul_i32 s2, ttmp9, s2
	v_cmp_ne_u32_e32 vcc_lo, 0, v0
	s_add_co_i32 s3, s3, s2
	s_cmp_eq_u32 s8, 0
	s_load_b96 s[8:10], s[0:1], 0x10
	s_cselect_b32 s11, ttmp9, s3
	s_mov_b32 s3, 0
	s_lshl_b32 s2, s11, 12
	v_lshlrev_b32_e32 v36, 3, v0
	s_lshl_b64 s[12:13], s[2:3], 3
	s_delay_alu instid0(VALU_DEP_1)
	v_add_nc_u32_e32 v51, -8, v36
	s_wait_kmcnt 0x0
	s_add_nc_u64 s[0:1], s[4:5], s[12:13]
	s_clause 0xf
	global_load_b64 v[30:31], v0, s[0:1] scale_offset
	global_load_b64 v[28:29], v0, s[0:1] offset:2048 scale_offset
	global_load_b64 v[26:27], v0, s[0:1] offset:4096 scale_offset
	;; [unrolled: 1-line block ×15, first 2 shown]
	s_load_b32 s3, s[6:7], s11 offset:0x0 scale_offset
	s_cvt_f32_u32 s0, s10
	s_sub_co_i32 s1, 0, s10
	s_mov_b32 s4, s8
	s_delay_alu instid0(SALU_CYCLE_1) | instskip(SKIP_1) | instid1(TRANS32_DEP_1)
	v_rcp_iflag_f32_e32 v1, s0
	v_nop
	v_readfirstlane_b32 s0, v1
	v_lshlrev_b32_e32 v1, 4, v0
	s_mul_f32 s0, s0, 0x4f7ffffe
	s_delay_alu instid0(VALU_DEP_1)
	v_or_b32_e32 v37, 14, v1
	v_or_b32_e32 v38, 13, v1
	;; [unrolled: 1-line block ×3, first 2 shown]
	s_cvt_u32_f32 s0, s0
	v_or_b32_e32 v40, 11, v1
	v_or_b32_e32 v41, 10, v1
	;; [unrolled: 1-line block ×3, first 2 shown]
	s_mul_i32 s1, s1, s0
	v_or_b32_e32 v43, 8, v1
	s_mul_hi_u32 s1, s0, s1
	v_or_b32_e32 v44, 7, v1
	s_add_co_i32 s0, s0, s1
	v_or_b32_e32 v45, 6, v1
	s_lshr_b32 s0, s0, 20
	v_or_b32_e32 v46, 5, v1
	s_mul_i32 s1, s0, s10
	s_add_co_i32 s2, s0, 1
	s_sub_co_i32 s1, 0x1000, s1
	v_or_b32_e32 v47, 4, v1
	s_sub_co_i32 s5, s1, s10
	s_cmp_ge_u32 s1, s10
	v_or_b32_e32 v48, 3, v1
	s_cselect_b32 s0, s2, s0
	s_cselect_b32 s1, s5, s1
	s_add_co_i32 s2, s0, 1
	s_cmp_ge_u32 s1, s10
	v_or_b32_e32 v49, 2, v1
	v_or_b32_e32 v50, 1, v1
	s_wait_xcnt 0x0
	s_cselect_b32 s6, s2, s0
	s_mov_b32 s5, s9
	s_add_co_i32 s6, s6, 1
	s_branch .LBB172_2
.LBB172_1:                              ;   in Loop: Header=BB172_2 Depth=1
	s_or_b32 exec_lo, exec_lo, s0
	s_wait_kmcnt 0x0
	v_cmp_gt_u32_e64 s0, s3, v1
	v_cmp_gt_u32_e64 s1, s3, v50
	;; [unrolled: 1-line block ×3, first 2 shown]
	s_add_co_i32 s10, s10, -1
	s_wait_dscnt 0x0
	v_dual_cndmask_b32 v35, 0, v35, s0 :: v_dual_cndmask_b32 v34, 0, v34, s0
	v_dual_cndmask_b32 v53, 0, v31, s1 :: v_dual_cndmask_b32 v52, 0, v30, s1
	v_cmp_gt_u32_e64 s0, s3, v48
	v_dual_cndmask_b32 v55, 0, v29, s2 :: v_dual_cndmask_b32 v54, 0, v28, s2
	s_delay_alu instid0(VALU_DEP_4) | instskip(NEXT) | instid1(VALU_DEP_4)
	v_sub_nc_u64_e32 v[34:35], v[30:31], v[34:35]
	v_sub_nc_u64_e32 v[52:53], v[28:29], v[52:53]
	s_delay_alu instid0(VALU_DEP_4) | instskip(NEXT) | instid1(VALU_DEP_4)
	v_dual_cndmask_b32 v57, 0, v27, s0 :: v_dual_cndmask_b32 v56, 0, v26, s0
	v_sub_nc_u64_e32 v[54:55], v[26:27], v[54:55]
	v_cmp_gt_u32_e64 s0, s3, v47
	v_cmp_gt_u32_e64 s1, s3, v46
	v_add_nc_u64_e32 v[30:31], v[34:35], v[30:31]
	v_sub_nc_u64_e32 v[34:35], v[24:25], v[56:57]
	v_add_nc_u64_e32 v[28:29], v[52:53], v[28:29]
	v_dual_cndmask_b32 v53, 0, v25, s0 :: v_dual_cndmask_b32 v52, 0, v24, s0
	v_add_nc_u64_e32 v[26:27], v[54:55], v[26:27]
	v_dual_cndmask_b32 v55, 0, v23, s1 :: v_dual_cndmask_b32 v54, 0, v22, s1
	v_cmp_gt_u32_e64 s0, s3, v45
	v_cmp_gt_u32_e64 s1, s3, v44
	v_add_nc_u64_e32 v[24:25], v[34:35], v[24:25]
	v_sub_nc_u64_e32 v[34:35], v[22:23], v[52:53]
	v_sub_nc_u64_e32 v[52:53], v[20:21], v[54:55]
	v_dual_cndmask_b32 v55, 0, v21, s0 :: v_dual_cndmask_b32 v54, 0, v20, s0
	v_dual_cndmask_b32 v57, 0, v19, s1 :: v_dual_cndmask_b32 v56, 0, v18, s1
	v_cmp_gt_u32_e64 s1, s3, v42
	v_cmp_gt_u32_e64 s0, s3, v43
	v_add_nc_u64_e32 v[22:23], v[34:35], v[22:23]
	v_sub_nc_u64_e32 v[34:35], v[18:19], v[54:55]
	v_sub_nc_u64_e32 v[54:55], v[16:17], v[56:57]
	v_dual_cndmask_b32 v59, 0, v15, s1 :: v_dual_cndmask_b32 v58, 0, v14, s1
	v_dual_cndmask_b32 v57, 0, v17, s0 :: v_dual_cndmask_b32 v56, 0, v16, s0
	v_cmp_gt_u32_e64 s1, s3, v40
	v_add_nc_u64_e32 v[20:21], v[52:53], v[20:21]
	s_delay_alu instid0(VALU_DEP_4)
	v_sub_nc_u64_e32 v[52:53], v[12:13], v[58:59]
	v_add_nc_u64_e32 v[18:19], v[34:35], v[18:19]
	v_sub_nc_u64_e32 v[34:35], v[14:15], v[56:57]
	v_cmp_gt_u32_e64 s0, s3, v41
	v_dual_cndmask_b32 v57, 0, v11, s1 :: v_dual_cndmask_b32 v56, 0, v10, s1
	v_add_nc_u64_e32 v[16:17], v[54:55], v[16:17]
	v_cmp_gt_u32_e64 s1, s3, v38
	s_delay_alu instid0(VALU_DEP_4)
	v_dual_cndmask_b32 v55, 0, v13, s0 :: v_dual_cndmask_b32 v54, 0, v12, s0
	v_add_nc_u64_e32 v[12:13], v[52:53], v[12:13]
	v_cmp_gt_u32_e64 s0, s3, v39
	v_sub_nc_u64_e32 v[52:53], v[8:9], v[56:57]
	v_or_b32_e32 v56, 15, v1
	v_add_nc_u64_e32 v[14:15], v[34:35], v[14:15]
	v_sub_nc_u64_e32 v[34:35], v[10:11], v[54:55]
	v_dual_cndmask_b32 v55, 0, v9, s0 :: v_dual_cndmask_b32 v57, 0, v7, s1
	v_cndmask_b32_e64 v54, 0, v8, s0
	v_cmp_gt_u32_e64 s0, s3, v37
	v_cmp_gt_u32_e64 s2, s3, v56
	v_cndmask_b32_e64 v56, 0, v6, s1
	v_add_nc_u64_e32 v[10:11], v[34:35], v[10:11]
	v_sub_nc_u64_e32 v[54:55], v[6:7], v[54:55]
	v_dual_cndmask_b32 v59, 0, v5, s0 :: v_dual_cndmask_b32 v58, 0, v4, s0
	v_dual_cndmask_b32 v61, 0, v3, s2 :: v_dual_cndmask_b32 v60, 0, v2, s2
	v_sub_nc_u64_e32 v[56:57], v[4:5], v[56:57]
	v_add_nc_u64_e32 v[8:9], v[52:53], v[8:9]
	s_delay_alu instid0(VALU_DEP_4)
	v_sub_nc_u64_e32 v[58:59], v[2:3], v[58:59]
	v_add_nc_u64_e32 v[6:7], v[54:55], v[6:7]
	v_sub_nc_u64_e32 v[60:61], v[32:33], v[60:61]
	s_add_co_i32 s0, s6, s3
	s_barrier_signal -1
	v_add_nc_u64_e32 v[4:5], v[56:57], v[4:5]
	s_and_b32 s3, s0, 0xfff
	v_add_nc_u64_e32 v[2:3], v[58:59], v[2:3]
	s_cmp_lg_u32 s10, 0
	v_add_nc_u64_e32 v[32:33], v[60:61], v[32:33]
	s_barrier_wait -1
	s_cbranch_scc0 .LBB172_4
.LBB172_2:                              ; =>This Inner Loop Header: Depth=1
	v_mov_b64_e32 v[34:35], 0x7b
	s_wait_loadcnt 0x0
	ds_store_b64 v36, v[32:33]
	s_wait_dscnt 0x0
	s_barrier_signal -1
	s_barrier_wait -1
	s_and_saveexec_b32 s0, vcc_lo
	s_cbranch_execz .LBB172_1
; %bb.3:                                ;   in Loop: Header=BB172_2 Depth=1
	ds_load_b64 v[34:35], v51
	s_branch .LBB172_1
.LBB172_4:
	s_add_nc_u64 s[0:1], s[4:5], s[12:13]
	s_clause 0xf
	global_store_b64 v0, v[30:31], s[0:1] scale_offset
	global_store_b64 v0, v[28:29], s[0:1] offset:2048 scale_offset
	global_store_b64 v0, v[26:27], s[0:1] offset:4096 scale_offset
	;; [unrolled: 1-line block ×15, first 2 shown]
	s_endpgm
	.section	.rodata,"a",@progbits
	.p2align	6, 0x0
	.amdhsa_kernel _Z6kernelI26subtract_left_partial_tileLj256ELj16ELb1EJPxPiS1_jEEvDpT3_
		.amdhsa_group_segment_fixed_size 4096
		.amdhsa_private_segment_fixed_size 0
		.amdhsa_kernarg_size 28
		.amdhsa_user_sgpr_count 2
		.amdhsa_user_sgpr_dispatch_ptr 0
		.amdhsa_user_sgpr_queue_ptr 0
		.amdhsa_user_sgpr_kernarg_segment_ptr 1
		.amdhsa_user_sgpr_dispatch_id 0
		.amdhsa_user_sgpr_kernarg_preload_length 0
		.amdhsa_user_sgpr_kernarg_preload_offset 0
		.amdhsa_user_sgpr_private_segment_size 0
		.amdhsa_wavefront_size32 1
		.amdhsa_uses_dynamic_stack 0
		.amdhsa_enable_private_segment 0
		.amdhsa_system_sgpr_workgroup_id_x 1
		.amdhsa_system_sgpr_workgroup_id_y 0
		.amdhsa_system_sgpr_workgroup_id_z 0
		.amdhsa_system_sgpr_workgroup_info 0
		.amdhsa_system_vgpr_workitem_id 0
		.amdhsa_next_free_vgpr 62
		.amdhsa_next_free_sgpr 14
		.amdhsa_named_barrier_count 0
		.amdhsa_reserve_vcc 1
		.amdhsa_float_round_mode_32 0
		.amdhsa_float_round_mode_16_64 0
		.amdhsa_float_denorm_mode_32 3
		.amdhsa_float_denorm_mode_16_64 3
		.amdhsa_fp16_overflow 0
		.amdhsa_memory_ordered 1
		.amdhsa_forward_progress 1
		.amdhsa_inst_pref_size 10
		.amdhsa_round_robin_scheduling 0
		.amdhsa_exception_fp_ieee_invalid_op 0
		.amdhsa_exception_fp_denorm_src 0
		.amdhsa_exception_fp_ieee_div_zero 0
		.amdhsa_exception_fp_ieee_overflow 0
		.amdhsa_exception_fp_ieee_underflow 0
		.amdhsa_exception_fp_ieee_inexact 0
		.amdhsa_exception_int_div_zero 0
	.end_amdhsa_kernel
	.section	.text._Z6kernelI26subtract_left_partial_tileLj256ELj16ELb1EJPxPiS1_jEEvDpT3_,"axG",@progbits,_Z6kernelI26subtract_left_partial_tileLj256ELj16ELb1EJPxPiS1_jEEvDpT3_,comdat
.Lfunc_end172:
	.size	_Z6kernelI26subtract_left_partial_tileLj256ELj16ELb1EJPxPiS1_jEEvDpT3_, .Lfunc_end172-_Z6kernelI26subtract_left_partial_tileLj256ELj16ELb1EJPxPiS1_jEEvDpT3_
                                        ; -- End function
	.set _Z6kernelI26subtract_left_partial_tileLj256ELj16ELb1EJPxPiS1_jEEvDpT3_.num_vgpr, 62
	.set _Z6kernelI26subtract_left_partial_tileLj256ELj16ELb1EJPxPiS1_jEEvDpT3_.num_agpr, 0
	.set _Z6kernelI26subtract_left_partial_tileLj256ELj16ELb1EJPxPiS1_jEEvDpT3_.numbered_sgpr, 14
	.set _Z6kernelI26subtract_left_partial_tileLj256ELj16ELb1EJPxPiS1_jEEvDpT3_.num_named_barrier, 0
	.set _Z6kernelI26subtract_left_partial_tileLj256ELj16ELb1EJPxPiS1_jEEvDpT3_.private_seg_size, 0
	.set _Z6kernelI26subtract_left_partial_tileLj256ELj16ELb1EJPxPiS1_jEEvDpT3_.uses_vcc, 1
	.set _Z6kernelI26subtract_left_partial_tileLj256ELj16ELb1EJPxPiS1_jEEvDpT3_.uses_flat_scratch, 0
	.set _Z6kernelI26subtract_left_partial_tileLj256ELj16ELb1EJPxPiS1_jEEvDpT3_.has_dyn_sized_stack, 0
	.set _Z6kernelI26subtract_left_partial_tileLj256ELj16ELb1EJPxPiS1_jEEvDpT3_.has_recursion, 0
	.set _Z6kernelI26subtract_left_partial_tileLj256ELj16ELb1EJPxPiS1_jEEvDpT3_.has_indirect_call, 0
	.section	.AMDGPU.csdata,"",@progbits
; Kernel info:
; codeLenInByte = 1248
; TotalNumSgprs: 16
; NumVgprs: 62
; ScratchSize: 0
; MemoryBound: 0
; FloatMode: 240
; IeeeMode: 1
; LDSByteSize: 4096 bytes/workgroup (compile time only)
; SGPRBlocks: 0
; VGPRBlocks: 3
; NumSGPRsForWavesPerEU: 16
; NumVGPRsForWavesPerEU: 62
; NamedBarCnt: 0
; Occupancy: 16
; WaveLimiterHint : 1
; COMPUTE_PGM_RSRC2:SCRATCH_EN: 0
; COMPUTE_PGM_RSRC2:USER_SGPR: 2
; COMPUTE_PGM_RSRC2:TRAP_HANDLER: 0
; COMPUTE_PGM_RSRC2:TGID_X_EN: 1
; COMPUTE_PGM_RSRC2:TGID_Y_EN: 0
; COMPUTE_PGM_RSRC2:TGID_Z_EN: 0
; COMPUTE_PGM_RSRC2:TIDIG_COMP_CNT: 0
	.section	.text._Z6kernelI26subtract_left_partial_tileLj256ELj32ELb1EJPxPiS1_jEEvDpT3_,"axG",@progbits,_Z6kernelI26subtract_left_partial_tileLj256ELj32ELb1EJPxPiS1_jEEvDpT3_,comdat
	.protected	_Z6kernelI26subtract_left_partial_tileLj256ELj32ELb1EJPxPiS1_jEEvDpT3_ ; -- Begin function _Z6kernelI26subtract_left_partial_tileLj256ELj32ELb1EJPxPiS1_jEEvDpT3_
	.globl	_Z6kernelI26subtract_left_partial_tileLj256ELj32ELb1EJPxPiS1_jEEvDpT3_
	.p2align	8
	.type	_Z6kernelI26subtract_left_partial_tileLj256ELj32ELb1EJPxPiS1_jEEvDpT3_,@function
_Z6kernelI26subtract_left_partial_tileLj256ELj32ELb1EJPxPiS1_jEEvDpT3_: ; @_Z6kernelI26subtract_left_partial_tileLj256ELj32ELb1EJPxPiS1_jEEvDpT3_
; %bb.0:
	s_load_b128 s[4:7], s[0:1], 0x0
	s_bfe_u32 s2, ttmp6, 0x4000c
	s_and_b32 s3, ttmp6, 15
	s_add_co_i32 s2, s2, 1
	s_getreg_b32 s8, hwreg(HW_REG_IB_STS2, 6, 4)
	s_mul_i32 s2, ttmp9, s2
	v_dual_lshlrev_b32 v1, 5, v0 :: v_dual_lshlrev_b32 v68, 3, v0
	s_add_co_i32 s3, s3, s2
	s_cmp_eq_u32 s8, 0
	s_load_b96 s[8:10], s[0:1], 0x10
	s_cselect_b32 s11, ttmp9, s3
	s_mov_b32 s3, 0
	s_lshl_b32 s2, s11, 13
	v_dual_add_nc_u32 v99, -8, v68 :: v_dual_bitop2_b32 v69, 30, v1 bitop3:0x54
	s_lshl_b64 s[12:13], s[2:3], 3
	v_or_b32_e32 v70, 29, v1
	v_or_b32_e32 v71, 28, v1
	;; [unrolled: 1-line block ×3, first 2 shown]
	s_wait_kmcnt 0x0
	s_add_nc_u64 s[0:1], s[4:5], s[12:13]
	v_or_b32_e32 v73, 26, v1
	s_clause 0x1f
	global_load_b64 v[62:63], v0, s[0:1] scale_offset
	global_load_b64 v[60:61], v0, s[0:1] offset:2048 scale_offset
	global_load_b64 v[58:59], v0, s[0:1] offset:4096 scale_offset
	;; [unrolled: 1-line block ×31, first 2 shown]
	s_load_b32 s5, s[6:7], s11 offset:0x0 scale_offset
	v_or_b32_e32 v74, 25, v1
	v_or_b32_e32 v75, 24, v1
	v_or_b32_e32 v76, 23, v1
	v_or_b32_e32 v77, 22, v1
	v_or_b32_e32 v78, 21, v1
	v_or_b32_e32 v79, 20, v1
	s_cvt_f32_u32 s0, s10
	s_sub_co_i32 s1, 0, s10
	v_or_b32_e32 v80, 19, v1
	v_or_b32_e32 v81, 18, v1
	v_rcp_iflag_f32_e32 v66, s0
	v_or_b32_e32 v82, 17, v1
	v_or_b32_e32 v83, 16, v1
	;; [unrolled: 1-line block ×6, first 2 shown]
	v_readfirstlane_b32 s0, v66
	v_or_b32_e32 v88, 11, v1
	v_or_b32_e32 v89, 10, v1
	;; [unrolled: 1-line block ×4, first 2 shown]
	s_mul_f32 s0, s0, 0x4f7ffffe
	v_or_b32_e32 v92, 7, v1
	v_or_b32_e32 v93, 6, v1
	;; [unrolled: 1-line block ×3, first 2 shown]
	s_cvt_u32_f32 s0, s0
	v_or_b32_e32 v95, 4, v1
	v_or_b32_e32 v96, 3, v1
	v_or_b32_e32 v97, 2, v1
	s_mul_i32 s1, s1, s0
	v_or_b32_e32 v98, 1, v1
	s_mul_hi_u32 s1, s0, s1
	v_cmp_ne_u32_e32 vcc_lo, 0, v0
	s_add_co_i32 s0, s0, s1
	s_delay_alu instid0(SALU_CYCLE_1) | instskip(NEXT) | instid1(SALU_CYCLE_1)
	s_lshr_b32 s0, s0, 19
	s_mul_i32 s1, s0, s10
	s_add_co_i32 s2, s0, 1
	s_sub_co_i32 s1, 0x2000, s1
	s_delay_alu instid0(SALU_CYCLE_1)
	s_sub_co_i32 s3, s1, s10
	s_cmp_ge_u32 s1, s10
	s_cselect_b32 s0, s2, s0
	s_cselect_b32 s1, s3, s1
	s_add_co_i32 s2, s0, 1
	s_cmp_ge_u32 s1, s10
	s_wait_xcnt 0x0
	s_cselect_b32 s6, s2, s0
	s_delay_alu instid0(SALU_CYCLE_1)
	s_add_co_i32 s6, s6, 1
	s_branch .LBB173_2
.LBB173_1:                              ;   in Loop: Header=BB173_2 Depth=1
	s_or_b32 exec_lo, exec_lo, s0
	s_wait_kmcnt 0x0
	v_cmp_gt_u32_e64 s2, s5, v1
	v_cmp_gt_u32_e64 s0, s5, v69
	v_or_b32_e32 v100, 31, v1
	v_cmp_gt_u32_e64 s1, s5, v98
	v_cmp_gt_u32_e64 s4, s5, v97
	s_wait_dscnt 0x0
	v_dual_cndmask_b32 v67, 0, v67, s2 :: v_dual_cndmask_b32 v101, 0, v5, s0
	s_delay_alu instid0(VALU_DEP_3) | instskip(SKIP_3) | instid1(VALU_DEP_4)
	v_dual_cndmask_b32 v66, 0, v66, s2 :: v_dual_cndmask_b32 v105, 0, v63, s1
	v_cndmask_b32_e64 v104, 0, v62, s1
	v_cmp_gt_u32_e64 s1, s5, v74
	v_cmp_gt_u32_e64 s3, s5, v100
	v_sub_nc_u64_e32 v[66:67], v[62:63], v[66:67]
	v_cmp_gt_u32_e64 s2, s5, v96
	s_delay_alu instid0(VALU_DEP_4)
	v_dual_cndmask_b32 v109, 0, v61, s4 :: v_dual_cndmask_b32 v107, 0, v15, s1
	v_cndmask_b32_e64 v108, 0, v60, s4
	v_sub_nc_u64_e32 v[104:105], v[60:61], v[104:105]
	v_dual_cndmask_b32 v103, 0, v3, s3 :: v_dual_cndmask_b32 v102, 0, v2, s3
	v_cmp_gt_u32_e64 s3, s5, v95
	v_add_nc_u64_e32 v[62:63], v[66:67], v[62:63]
	v_dual_cndmask_b32 v67, 0, v59, s2 :: v_dual_cndmask_b32 v66, 0, v58, s2
	v_sub_nc_u64_e32 v[108:109], v[58:59], v[108:109]
	v_cmp_gt_u32_e64 s2, s5, v94
	v_add_nc_u64_e32 v[60:61], v[104:105], v[60:61]
	v_dual_cndmask_b32 v105, 0, v57, s3 :: v_dual_cndmask_b32 v104, 0, v56, s3
	v_sub_nc_u64_e32 v[66:67], v[56:57], v[66:67]
	;; [unrolled: 4-line block ×17, first 2 shown]
	v_cmp_gt_u32_e64 s2, s5, v78
	v_add_nc_u64_e32 v[28:29], v[108:109], v[28:29]
	v_cndmask_b32_e64 v109, 0, v25, s3
	v_sub_nc_u64_e32 v[104:105], v[24:25], v[104:105]
	v_cndmask_b32_e64 v108, 0, v24, s3
	v_cmp_gt_u32_e64 s3, s5, v77
	v_add_nc_u64_e32 v[26:27], v[66:67], v[26:27]
	v_dual_cndmask_b32 v67, 0, v23, s2 :: v_dual_cndmask_b32 v66, 0, v22, s2
	s_delay_alu instid0(VALU_DEP_4)
	v_sub_nc_u64_e32 v[108:109], v[22:23], v[108:109]
	v_add_nc_u64_e32 v[24:25], v[104:105], v[24:25]
	v_cndmask_b32_e64 v105, 0, v21, s3
	v_cmp_gt_u32_e64 s2, s5, v76
	v_sub_nc_u64_e32 v[66:67], v[20:21], v[66:67]
	v_cndmask_b32_e64 v104, 0, v20, s3
	v_cmp_gt_u32_e64 s3, s5, v75
	v_add_nc_u64_e32 v[22:23], v[108:109], v[22:23]
	v_dual_cndmask_b32 v109, 0, v19, s2 :: v_dual_cndmask_b32 v108, 0, v18, s2
	v_cndmask_b32_e64 v106, 0, v14, s1
	v_add_nc_u64_e32 v[20:21], v[66:67], v[20:21]
	v_dual_cndmask_b32 v67, 0, v17, s3 :: v_dual_cndmask_b32 v66, 0, v16, s3
	v_sub_nc_u64_e32 v[104:105], v[18:19], v[104:105]
	v_sub_nc_u64_e32 v[108:109], v[16:17], v[108:109]
	v_sub_nc_u64_e32 v[106:107], v[12:13], v[106:107]
	v_cmp_gt_u32_e64 s1, s5, v70
	v_sub_nc_u64_e32 v[66:67], v[14:15], v[66:67]
	v_cmp_gt_u32_e64 s2, s5, v73
	v_cmp_gt_u32_e64 s3, s5, v71
	;; [unrolled: 1-line block ×3, first 2 shown]
	v_add_nc_u64_e32 v[18:19], v[104:105], v[18:19]
	v_cndmask_b32_e64 v105, 0, v7, s1
	v_add_nc_u64_e32 v[16:17], v[108:109], v[16:17]
	v_cndmask_b32_e64 v109, 0, v9, s3
	v_add_nc_u64_e32 v[14:15], v[66:67], v[14:15]
	v_dual_cndmask_b32 v67, 0, v13, s2 :: v_dual_cndmask_b32 v66, 0, v12, s2
	v_add_nc_u64_e32 v[12:13], v[106:107], v[12:13]
	v_dual_cndmask_b32 v107, 0, v11, s4 :: v_dual_cndmask_b32 v106, 0, v10, s4
	v_dual_cndmask_b32 v108, 0, v8, s3 :: v_dual_cndmask_b32 v104, 0, v6, s1
	v_cndmask_b32_e64 v100, 0, v4, s0
	v_sub_nc_u64_e32 v[66:67], v[10:11], v[66:67]
	s_delay_alu instid0(VALU_DEP_4) | instskip(NEXT) | instid1(VALU_DEP_4)
	v_sub_nc_u64_e32 v[106:107], v[8:9], v[106:107]
	v_sub_nc_u64_e32 v[108:109], v[6:7], v[108:109]
	v_sub_nc_u64_e32 v[104:105], v[4:5], v[104:105]
	v_sub_nc_u64_e32 v[100:101], v[2:3], v[100:101]
	v_sub_nc_u64_e32 v[102:103], v[64:65], v[102:103]
	s_add_co_i32 s0, s6, s5
	v_add_nc_u64_e32 v[10:11], v[66:67], v[10:11]
	v_add_nc_u64_e32 v[8:9], v[106:107], v[8:9]
	;; [unrolled: 1-line block ×6, first 2 shown]
	s_add_co_i32 s10, s10, -1
	s_and_b32 s5, s0, 0x1fff
	s_cmp_lg_u32 s10, 0
	s_barrier_signal -1
	s_barrier_wait -1
	s_cbranch_scc0 .LBB173_4
.LBB173_2:                              ; =>This Inner Loop Header: Depth=1
	v_mov_b64_e32 v[66:67], 0x7b
	s_wait_loadcnt 0x0
	ds_store_b64 v68, v[64:65]
	s_wait_dscnt 0x0
	s_barrier_signal -1
	s_barrier_wait -1
	s_and_saveexec_b32 s0, vcc_lo
	s_cbranch_execz .LBB173_1
; %bb.3:                                ;   in Loop: Header=BB173_2 Depth=1
	ds_load_b64 v[66:67], v99
	s_branch .LBB173_1
.LBB173_4:
	s_add_nc_u64 s[0:1], s[8:9], s[12:13]
	s_clause 0x1f
	global_store_b64 v0, v[62:63], s[0:1] scale_offset
	global_store_b64 v0, v[60:61], s[0:1] offset:2048 scale_offset
	global_store_b64 v0, v[58:59], s[0:1] offset:4096 scale_offset
	;; [unrolled: 1-line block ×31, first 2 shown]
	s_sendmsg sendmsg(MSG_DEALLOC_VGPRS)
	s_endpgm
	.section	.rodata,"a",@progbits
	.p2align	6, 0x0
	.amdhsa_kernel _Z6kernelI26subtract_left_partial_tileLj256ELj32ELb1EJPxPiS1_jEEvDpT3_
		.amdhsa_group_segment_fixed_size 4096
		.amdhsa_private_segment_fixed_size 0
		.amdhsa_kernarg_size 28
		.amdhsa_user_sgpr_count 2
		.amdhsa_user_sgpr_dispatch_ptr 0
		.amdhsa_user_sgpr_queue_ptr 0
		.amdhsa_user_sgpr_kernarg_segment_ptr 1
		.amdhsa_user_sgpr_dispatch_id 0
		.amdhsa_user_sgpr_kernarg_preload_length 0
		.amdhsa_user_sgpr_kernarg_preload_offset 0
		.amdhsa_user_sgpr_private_segment_size 0
		.amdhsa_wavefront_size32 1
		.amdhsa_uses_dynamic_stack 0
		.amdhsa_enable_private_segment 0
		.amdhsa_system_sgpr_workgroup_id_x 1
		.amdhsa_system_sgpr_workgroup_id_y 0
		.amdhsa_system_sgpr_workgroup_id_z 0
		.amdhsa_system_sgpr_workgroup_info 0
		.amdhsa_system_vgpr_workitem_id 0
		.amdhsa_next_free_vgpr 110
		.amdhsa_next_free_sgpr 14
		.amdhsa_named_barrier_count 0
		.amdhsa_reserve_vcc 1
		.amdhsa_float_round_mode_32 0
		.amdhsa_float_round_mode_16_64 0
		.amdhsa_float_denorm_mode_32 3
		.amdhsa_float_denorm_mode_16_64 3
		.amdhsa_fp16_overflow 0
		.amdhsa_memory_ordered 1
		.amdhsa_forward_progress 1
		.amdhsa_inst_pref_size 17
		.amdhsa_round_robin_scheduling 0
		.amdhsa_exception_fp_ieee_invalid_op 0
		.amdhsa_exception_fp_denorm_src 0
		.amdhsa_exception_fp_ieee_div_zero 0
		.amdhsa_exception_fp_ieee_overflow 0
		.amdhsa_exception_fp_ieee_underflow 0
		.amdhsa_exception_fp_ieee_inexact 0
		.amdhsa_exception_int_div_zero 0
	.end_amdhsa_kernel
	.section	.text._Z6kernelI26subtract_left_partial_tileLj256ELj32ELb1EJPxPiS1_jEEvDpT3_,"axG",@progbits,_Z6kernelI26subtract_left_partial_tileLj256ELj32ELb1EJPxPiS1_jEEvDpT3_,comdat
.Lfunc_end173:
	.size	_Z6kernelI26subtract_left_partial_tileLj256ELj32ELb1EJPxPiS1_jEEvDpT3_, .Lfunc_end173-_Z6kernelI26subtract_left_partial_tileLj256ELj32ELb1EJPxPiS1_jEEvDpT3_
                                        ; -- End function
	.set _Z6kernelI26subtract_left_partial_tileLj256ELj32ELb1EJPxPiS1_jEEvDpT3_.num_vgpr, 110
	.set _Z6kernelI26subtract_left_partial_tileLj256ELj32ELb1EJPxPiS1_jEEvDpT3_.num_agpr, 0
	.set _Z6kernelI26subtract_left_partial_tileLj256ELj32ELb1EJPxPiS1_jEEvDpT3_.numbered_sgpr, 14
	.set _Z6kernelI26subtract_left_partial_tileLj256ELj32ELb1EJPxPiS1_jEEvDpT3_.num_named_barrier, 0
	.set _Z6kernelI26subtract_left_partial_tileLj256ELj32ELb1EJPxPiS1_jEEvDpT3_.private_seg_size, 0
	.set _Z6kernelI26subtract_left_partial_tileLj256ELj32ELb1EJPxPiS1_jEEvDpT3_.uses_vcc, 1
	.set _Z6kernelI26subtract_left_partial_tileLj256ELj32ELb1EJPxPiS1_jEEvDpT3_.uses_flat_scratch, 0
	.set _Z6kernelI26subtract_left_partial_tileLj256ELj32ELb1EJPxPiS1_jEEvDpT3_.has_dyn_sized_stack, 0
	.set _Z6kernelI26subtract_left_partial_tileLj256ELj32ELb1EJPxPiS1_jEEvDpT3_.has_recursion, 0
	.set _Z6kernelI26subtract_left_partial_tileLj256ELj32ELb1EJPxPiS1_jEEvDpT3_.has_indirect_call, 0
	.section	.AMDGPU.csdata,"",@progbits
; Kernel info:
; codeLenInByte = 2156
; TotalNumSgprs: 16
; NumVgprs: 110
; ScratchSize: 0
; MemoryBound: 0
; FloatMode: 240
; IeeeMode: 1
; LDSByteSize: 4096 bytes/workgroup (compile time only)
; SGPRBlocks: 0
; VGPRBlocks: 6
; NumSGPRsForWavesPerEU: 16
; NumVGPRsForWavesPerEU: 110
; NamedBarCnt: 0
; Occupancy: 9
; WaveLimiterHint : 1
; COMPUTE_PGM_RSRC2:SCRATCH_EN: 0
; COMPUTE_PGM_RSRC2:USER_SGPR: 2
; COMPUTE_PGM_RSRC2:TRAP_HANDLER: 0
; COMPUTE_PGM_RSRC2:TGID_X_EN: 1
; COMPUTE_PGM_RSRC2:TGID_Y_EN: 0
; COMPUTE_PGM_RSRC2:TGID_Z_EN: 0
; COMPUTE_PGM_RSRC2:TIDIG_COMP_CNT: 0
	.section	.text._Z6kernelI26subtract_left_partial_tileLj256ELj1ELb1EJPdPiS1_jEEvDpT3_,"axG",@progbits,_Z6kernelI26subtract_left_partial_tileLj256ELj1ELb1EJPdPiS1_jEEvDpT3_,comdat
	.protected	_Z6kernelI26subtract_left_partial_tileLj256ELj1ELb1EJPdPiS1_jEEvDpT3_ ; -- Begin function _Z6kernelI26subtract_left_partial_tileLj256ELj1ELb1EJPdPiS1_jEEvDpT3_
	.globl	_Z6kernelI26subtract_left_partial_tileLj256ELj1ELb1EJPdPiS1_jEEvDpT3_
	.p2align	8
	.type	_Z6kernelI26subtract_left_partial_tileLj256ELj1ELb1EJPdPiS1_jEEvDpT3_,@function
_Z6kernelI26subtract_left_partial_tileLj256ELj1ELb1EJPdPiS1_jEEvDpT3_: ; @_Z6kernelI26subtract_left_partial_tileLj256ELj1ELb1EJPdPiS1_jEEvDpT3_
; %bb.0:
	s_load_b128 s[8:11], s[0:1], 0x0
	s_bfe_u32 s2, ttmp6, 0x4000c
	s_and_b32 s3, ttmp6, 15
	s_add_co_i32 s2, s2, 1
	s_getreg_b32 s4, hwreg(HW_REG_IB_STS2, 6, 4)
	s_mul_i32 s2, ttmp9, s2
	v_cmp_ne_u32_e32 vcc_lo, 0, v0
	s_add_co_i32 s3, s3, s2
	s_cmp_eq_u32 s4, 0
	s_cselect_b32 s12, ttmp9, s3
	s_mov_b32 s3, 0
	s_lshl_b32 s2, s12, 8
	s_delay_alu instid0(SALU_CYCLE_1)
	s_lshl_b64 s[4:5], s[2:3], 3
	s_wait_xcnt 0x0
	s_load_b96 s[0:2], s[0:1], 0x10
	s_wait_kmcnt 0x0
	s_add_nc_u64 s[6:7], s[8:9], s[4:5]
	global_load_b64 v[2:3], v0, s[6:7] scale_offset
	s_cvt_f32_u32 s3, s2
	s_wait_xcnt 0x0
	s_sub_co_i32 s6, 0, s2
	s_delay_alu instid0(SALU_CYCLE_1) | instskip(SKIP_1) | instid1(TRANS32_DEP_1)
	v_rcp_iflag_f32_e32 v1, s3
	v_nop
	v_readfirstlane_b32 s3, v1
	v_lshlrev_b32_e32 v1, 3, v0
	s_mul_f32 s3, s3, 0x4f7ffffe
	s_delay_alu instid0(VALU_DEP_1) | instskip(NEXT) | instid1(SALU_CYCLE_2)
	v_add_nc_u32_e32 v6, -8, v1
	s_cvt_u32_f32 s3, s3
	s_delay_alu instid0(SALU_CYCLE_3) | instskip(NEXT) | instid1(SALU_CYCLE_1)
	s_mul_i32 s6, s6, s3
	s_mul_hi_u32 s6, s3, s6
	s_delay_alu instid0(SALU_CYCLE_1) | instskip(SKIP_2) | instid1(SALU_CYCLE_1)
	s_add_co_i32 s6, s3, s6
	s_load_b32 s3, s[10:11], s12 offset:0x0 scale_offset
	s_lshr_b32 s7, s6, 24
	s_mul_i32 s6, s7, s2
	s_add_co_i32 s9, s7, 1
	s_sub_co_i32 s8, 0x100, s6
	s_mov_b32 s6, s0
	s_wait_xcnt 0x0
	s_sub_co_i32 s10, s8, s2
	s_cmp_ge_u32 s8, s2
	s_cselect_b32 s0, s9, s7
	s_cselect_b32 s7, s10, s8
	s_add_co_i32 s8, s0, 1
	s_cmp_ge_u32 s7, s2
	s_mov_b32 s7, s1
	s_cselect_b32 s0, s8, s0
	s_delay_alu instid0(SALU_CYCLE_1)
	s_add_co_i32 s1, s0, 1
	s_branch .LBB174_2
.LBB174_1:                              ;   in Loop: Header=BB174_2 Depth=1
	s_or_b32 exec_lo, exec_lo, s0
	s_wait_dscnt 0x0
	v_add_f64_e64 v[4:5], v[2:3], -v[4:5]
	s_wait_kmcnt 0x0
	v_cmp_gt_u32_e64 s0, s3, v0
	s_add_co_i32 s2, s2, -1
	s_barrier_signal -1
	s_barrier_wait -1
	v_dual_cndmask_b32 v5, v3, v5, s0 :: v_dual_cndmask_b32 v4, v2, v4, s0
	s_add_co_i32 s0, s1, s3
	s_delay_alu instid0(SALU_CYCLE_1) | instskip(SKIP_1) | instid1(VALU_DEP_1)
	s_and_b32 s3, s0, 0xff
	s_cmp_lg_u32 s2, 0
	v_add_f64_e32 v[2:3], v[2:3], v[4:5]
	s_cbranch_scc0 .LBB174_4
.LBB174_2:                              ; =>This Inner Loop Header: Depth=1
	v_mov_b64_e32 v[4:5], 0x405ec00000000000
	s_wait_loadcnt 0x0
	ds_store_b64 v1, v[2:3]
	s_wait_dscnt 0x0
	s_barrier_signal -1
	s_barrier_wait -1
	s_and_saveexec_b32 s0, vcc_lo
	s_cbranch_execz .LBB174_1
; %bb.3:                                ;   in Loop: Header=BB174_2 Depth=1
	ds_load_b64 v[4:5], v6
	s_branch .LBB174_1
.LBB174_4:
	s_add_nc_u64 s[0:1], s[6:7], s[4:5]
	global_store_b64 v0, v[2:3], s[0:1] scale_offset
	s_endpgm
	.section	.rodata,"a",@progbits
	.p2align	6, 0x0
	.amdhsa_kernel _Z6kernelI26subtract_left_partial_tileLj256ELj1ELb1EJPdPiS1_jEEvDpT3_
		.amdhsa_group_segment_fixed_size 4096
		.amdhsa_private_segment_fixed_size 0
		.amdhsa_kernarg_size 28
		.amdhsa_user_sgpr_count 2
		.amdhsa_user_sgpr_dispatch_ptr 0
		.amdhsa_user_sgpr_queue_ptr 0
		.amdhsa_user_sgpr_kernarg_segment_ptr 1
		.amdhsa_user_sgpr_dispatch_id 0
		.amdhsa_user_sgpr_kernarg_preload_length 0
		.amdhsa_user_sgpr_kernarg_preload_offset 0
		.amdhsa_user_sgpr_private_segment_size 0
		.amdhsa_wavefront_size32 1
		.amdhsa_uses_dynamic_stack 0
		.amdhsa_enable_private_segment 0
		.amdhsa_system_sgpr_workgroup_id_x 1
		.amdhsa_system_sgpr_workgroup_id_y 0
		.amdhsa_system_sgpr_workgroup_id_z 0
		.amdhsa_system_sgpr_workgroup_info 0
		.amdhsa_system_vgpr_workitem_id 0
		.amdhsa_next_free_vgpr 7
		.amdhsa_next_free_sgpr 13
		.amdhsa_named_barrier_count 0
		.amdhsa_reserve_vcc 1
		.amdhsa_float_round_mode_32 0
		.amdhsa_float_round_mode_16_64 0
		.amdhsa_float_denorm_mode_32 3
		.amdhsa_float_denorm_mode_16_64 3
		.amdhsa_fp16_overflow 0
		.amdhsa_memory_ordered 1
		.amdhsa_forward_progress 1
		.amdhsa_inst_pref_size 4
		.amdhsa_round_robin_scheduling 0
		.amdhsa_exception_fp_ieee_invalid_op 0
		.amdhsa_exception_fp_denorm_src 0
		.amdhsa_exception_fp_ieee_div_zero 0
		.amdhsa_exception_fp_ieee_overflow 0
		.amdhsa_exception_fp_ieee_underflow 0
		.amdhsa_exception_fp_ieee_inexact 0
		.amdhsa_exception_int_div_zero 0
	.end_amdhsa_kernel
	.section	.text._Z6kernelI26subtract_left_partial_tileLj256ELj1ELb1EJPdPiS1_jEEvDpT3_,"axG",@progbits,_Z6kernelI26subtract_left_partial_tileLj256ELj1ELb1EJPdPiS1_jEEvDpT3_,comdat
.Lfunc_end174:
	.size	_Z6kernelI26subtract_left_partial_tileLj256ELj1ELb1EJPdPiS1_jEEvDpT3_, .Lfunc_end174-_Z6kernelI26subtract_left_partial_tileLj256ELj1ELb1EJPdPiS1_jEEvDpT3_
                                        ; -- End function
	.set _Z6kernelI26subtract_left_partial_tileLj256ELj1ELb1EJPdPiS1_jEEvDpT3_.num_vgpr, 7
	.set _Z6kernelI26subtract_left_partial_tileLj256ELj1ELb1EJPdPiS1_jEEvDpT3_.num_agpr, 0
	.set _Z6kernelI26subtract_left_partial_tileLj256ELj1ELb1EJPdPiS1_jEEvDpT3_.numbered_sgpr, 13
	.set _Z6kernelI26subtract_left_partial_tileLj256ELj1ELb1EJPdPiS1_jEEvDpT3_.num_named_barrier, 0
	.set _Z6kernelI26subtract_left_partial_tileLj256ELj1ELb1EJPdPiS1_jEEvDpT3_.private_seg_size, 0
	.set _Z6kernelI26subtract_left_partial_tileLj256ELj1ELb1EJPdPiS1_jEEvDpT3_.uses_vcc, 1
	.set _Z6kernelI26subtract_left_partial_tileLj256ELj1ELb1EJPdPiS1_jEEvDpT3_.uses_flat_scratch, 0
	.set _Z6kernelI26subtract_left_partial_tileLj256ELj1ELb1EJPdPiS1_jEEvDpT3_.has_dyn_sized_stack, 0
	.set _Z6kernelI26subtract_left_partial_tileLj256ELj1ELb1EJPdPiS1_jEEvDpT3_.has_recursion, 0
	.set _Z6kernelI26subtract_left_partial_tileLj256ELj1ELb1EJPdPiS1_jEEvDpT3_.has_indirect_call, 0
	.section	.AMDGPU.csdata,"",@progbits
; Kernel info:
; codeLenInByte = 404
; TotalNumSgprs: 15
; NumVgprs: 7
; ScratchSize: 0
; MemoryBound: 0
; FloatMode: 240
; IeeeMode: 1
; LDSByteSize: 4096 bytes/workgroup (compile time only)
; SGPRBlocks: 0
; VGPRBlocks: 0
; NumSGPRsForWavesPerEU: 15
; NumVGPRsForWavesPerEU: 7
; NamedBarCnt: 0
; Occupancy: 16
; WaveLimiterHint : 0
; COMPUTE_PGM_RSRC2:SCRATCH_EN: 0
; COMPUTE_PGM_RSRC2:USER_SGPR: 2
; COMPUTE_PGM_RSRC2:TRAP_HANDLER: 0
; COMPUTE_PGM_RSRC2:TGID_X_EN: 1
; COMPUTE_PGM_RSRC2:TGID_Y_EN: 0
; COMPUTE_PGM_RSRC2:TGID_Z_EN: 0
; COMPUTE_PGM_RSRC2:TIDIG_COMP_CNT: 0
	.section	.text._Z6kernelI26subtract_left_partial_tileLj256ELj3ELb1EJPdPiS1_jEEvDpT3_,"axG",@progbits,_Z6kernelI26subtract_left_partial_tileLj256ELj3ELb1EJPdPiS1_jEEvDpT3_,comdat
	.protected	_Z6kernelI26subtract_left_partial_tileLj256ELj3ELb1EJPdPiS1_jEEvDpT3_ ; -- Begin function _Z6kernelI26subtract_left_partial_tileLj256ELj3ELb1EJPdPiS1_jEEvDpT3_
	.globl	_Z6kernelI26subtract_left_partial_tileLj256ELj3ELb1EJPdPiS1_jEEvDpT3_
	.p2align	8
	.type	_Z6kernelI26subtract_left_partial_tileLj256ELj3ELb1EJPdPiS1_jEEvDpT3_,@function
_Z6kernelI26subtract_left_partial_tileLj256ELj3ELb1EJPdPiS1_jEEvDpT3_: ; @_Z6kernelI26subtract_left_partial_tileLj256ELj3ELb1EJPdPiS1_jEEvDpT3_
; %bb.0:
	s_load_b128 s[12:15], s[0:1], 0x0
	s_bfe_u32 s2, ttmp6, 0x4000c
	s_and_b32 s3, ttmp6, 15
	s_add_co_i32 s2, s2, 1
	s_getreg_b32 s4, hwreg(HW_REG_IB_STS2, 6, 4)
	s_mul_i32 s2, ttmp9, s2
	v_mul_u32_u24_e32 v10, 3, v0
	s_add_co_i32 s3, s3, s2
	s_cmp_eq_u32 s4, 0
	s_load_b96 s[4:6], s[0:1], 0x10
	s_cselect_b32 s7, ttmp9, s3
	s_mov_b32 s3, 0
	s_mul_i32 s2, s7, 0x300
	v_mad_u32_u24 v11, v0, 3, 2
	s_lshl_b64 s[8:9], s[2:3], 3
	v_mad_u32_u24 v12, v0, 3, 1
	v_cmp_ne_u32_e32 vcc_lo, 0, v0
	s_wait_kmcnt 0x0
	s_add_nc_u64 s[0:1], s[12:13], s[8:9]
	s_clause 0x2
	global_load_b64 v[2:3], v0, s[0:1] scale_offset
	global_load_b64 v[4:5], v0, s[0:1] offset:2048 scale_offset
	global_load_b64 v[6:7], v0, s[0:1] offset:4096 scale_offset
	s_load_b32 s3, s[14:15], s7 offset:0x0 scale_offset
	s_cvt_f32_u32 s0, s6
	s_sub_co_i32 s1, 0, s6
	s_delay_alu instid0(SALU_CYCLE_2) | instskip(SKIP_1) | instid1(TRANS32_DEP_1)
	v_rcp_iflag_f32_e32 v1, s0
	v_nop
	v_readfirstlane_b32 s0, v1
	v_lshlrev_b32_e32 v1, 3, v0
	s_mul_f32 s0, s0, 0x4f7ffffe
	s_delay_alu instid0(VALU_DEP_1) | instskip(NEXT) | instid1(SALU_CYCLE_2)
	v_add_nc_u32_e32 v13, -8, v1
	s_cvt_u32_f32 s0, s0
	s_delay_alu instid0(SALU_CYCLE_3) | instskip(NEXT) | instid1(SALU_CYCLE_1)
	s_mul_i32 s1, s1, s0
	s_mul_hi_u32 s1, s0, s1
	s_delay_alu instid0(SALU_CYCLE_1) | instskip(NEXT) | instid1(SALU_CYCLE_1)
	s_add_co_i32 s0, s0, s1
	s_mul_hi_u32 s0, s0, 0x300
	s_delay_alu instid0(SALU_CYCLE_1)
	s_mul_i32 s1, s0, s6
	s_add_co_i32 s2, s0, 1
	s_sub_co_i32 s1, 0x300, s1
	s_wait_xcnt 0x0
	s_sub_co_i32 s7, s1, s6
	s_cmp_ge_u32 s1, s6
	s_cselect_b32 s0, s2, s0
	s_cselect_b32 s1, s7, s1
	s_add_co_i32 s2, s0, 1
	s_cmp_ge_u32 s1, s6
	s_cselect_b32 s7, s2, s0
	s_delay_alu instid0(SALU_CYCLE_1)
	s_add_co_i32 s7, s7, 1
	s_branch .LBB175_2
.LBB175_1:                              ;   in Loop: Header=BB175_2 Depth=1
	s_or_b32 exec_lo, exec_lo, s0
	v_add_f64_e64 v[14:15], v[6:7], -v[4:5]
	s_wait_dscnt 0x0
	v_add_f64_e64 v[8:9], v[2:3], -v[8:9]
	s_wait_kmcnt 0x0
	v_cmp_gt_u32_e64 s1, s3, v10
	v_add_f64_e64 v[16:17], v[4:5], -v[2:3]
	v_cmp_gt_u32_e64 s0, s3, v12
	v_cmp_gt_u32_e64 s2, s3, v11
	s_add_co_i32 s6, s6, -1
	s_barrier_signal -1
	s_barrier_wait -1
	v_dual_cndmask_b32 v14, v6, v14, s2 :: v_dual_cndmask_b32 v9, v3, v9, s1
	v_dual_cndmask_b32 v15, v7, v15, s2 :: v_dual_cndmask_b32 v17, v5, v17, s0
	v_cndmask_b32_e64 v8, v2, v8, s1
	v_cndmask_b32_e64 v16, v4, v16, s0
	s_add_co_i32 s0, s7, s3
	s_delay_alu instid0(VALU_DEP_3) | instskip(SKIP_4) | instid1(SALU_CYCLE_1)
	v_add_f64_e32 v[6:7], v[6:7], v[14:15]
	s_mul_hi_u32 s1, s0, 0xaaaaaaab
	v_add_f64_e32 v[2:3], v[2:3], v[8:9]
	v_add_f64_e32 v[4:5], v[4:5], v[16:17]
	s_lshr_b32 s1, s1, 9
	s_mulk_i32 s1, 0x300
	s_delay_alu instid0(SALU_CYCLE_1)
	s_sub_co_i32 s3, s0, s1
	s_cmp_lg_u32 s6, 0
	s_cbranch_scc0 .LBB175_4
.LBB175_2:                              ; =>This Inner Loop Header: Depth=1
	v_mov_b64_e32 v[8:9], 0x405ec00000000000
	s_wait_loadcnt 0x0
	ds_store_b64 v1, v[6:7]
	s_wait_dscnt 0x0
	s_barrier_signal -1
	s_barrier_wait -1
	s_and_saveexec_b32 s0, vcc_lo
	s_cbranch_execz .LBB175_1
; %bb.3:                                ;   in Loop: Header=BB175_2 Depth=1
	ds_load_b64 v[8:9], v13
	s_branch .LBB175_1
.LBB175_4:
	s_add_nc_u64 s[0:1], s[4:5], s[8:9]
	s_clause 0x2
	global_store_b64 v0, v[2:3], s[0:1] scale_offset
	global_store_b64 v0, v[4:5], s[0:1] offset:2048 scale_offset
	global_store_b64 v0, v[6:7], s[0:1] offset:4096 scale_offset
	s_endpgm
	.section	.rodata,"a",@progbits
	.p2align	6, 0x0
	.amdhsa_kernel _Z6kernelI26subtract_left_partial_tileLj256ELj3ELb1EJPdPiS1_jEEvDpT3_
		.amdhsa_group_segment_fixed_size 4096
		.amdhsa_private_segment_fixed_size 0
		.amdhsa_kernarg_size 28
		.amdhsa_user_sgpr_count 2
		.amdhsa_user_sgpr_dispatch_ptr 0
		.amdhsa_user_sgpr_queue_ptr 0
		.amdhsa_user_sgpr_kernarg_segment_ptr 1
		.amdhsa_user_sgpr_dispatch_id 0
		.amdhsa_user_sgpr_kernarg_preload_length 0
		.amdhsa_user_sgpr_kernarg_preload_offset 0
		.amdhsa_user_sgpr_private_segment_size 0
		.amdhsa_wavefront_size32 1
		.amdhsa_uses_dynamic_stack 0
		.amdhsa_enable_private_segment 0
		.amdhsa_system_sgpr_workgroup_id_x 1
		.amdhsa_system_sgpr_workgroup_id_y 0
		.amdhsa_system_sgpr_workgroup_id_z 0
		.amdhsa_system_sgpr_workgroup_info 0
		.amdhsa_system_vgpr_workitem_id 0
		.amdhsa_next_free_vgpr 18
		.amdhsa_next_free_sgpr 16
		.amdhsa_named_barrier_count 0
		.amdhsa_reserve_vcc 1
		.amdhsa_float_round_mode_32 0
		.amdhsa_float_round_mode_16_64 0
		.amdhsa_float_denorm_mode_32 3
		.amdhsa_float_denorm_mode_16_64 3
		.amdhsa_fp16_overflow 0
		.amdhsa_memory_ordered 1
		.amdhsa_forward_progress 1
		.amdhsa_inst_pref_size 5
		.amdhsa_round_robin_scheduling 0
		.amdhsa_exception_fp_ieee_invalid_op 0
		.amdhsa_exception_fp_denorm_src 0
		.amdhsa_exception_fp_ieee_div_zero 0
		.amdhsa_exception_fp_ieee_overflow 0
		.amdhsa_exception_fp_ieee_underflow 0
		.amdhsa_exception_fp_ieee_inexact 0
		.amdhsa_exception_int_div_zero 0
	.end_amdhsa_kernel
	.section	.text._Z6kernelI26subtract_left_partial_tileLj256ELj3ELb1EJPdPiS1_jEEvDpT3_,"axG",@progbits,_Z6kernelI26subtract_left_partial_tileLj256ELj3ELb1EJPdPiS1_jEEvDpT3_,comdat
.Lfunc_end175:
	.size	_Z6kernelI26subtract_left_partial_tileLj256ELj3ELb1EJPdPiS1_jEEvDpT3_, .Lfunc_end175-_Z6kernelI26subtract_left_partial_tileLj256ELj3ELb1EJPdPiS1_jEEvDpT3_
                                        ; -- End function
	.set _Z6kernelI26subtract_left_partial_tileLj256ELj3ELb1EJPdPiS1_jEEvDpT3_.num_vgpr, 18
	.set _Z6kernelI26subtract_left_partial_tileLj256ELj3ELb1EJPdPiS1_jEEvDpT3_.num_agpr, 0
	.set _Z6kernelI26subtract_left_partial_tileLj256ELj3ELb1EJPdPiS1_jEEvDpT3_.numbered_sgpr, 16
	.set _Z6kernelI26subtract_left_partial_tileLj256ELj3ELb1EJPdPiS1_jEEvDpT3_.num_named_barrier, 0
	.set _Z6kernelI26subtract_left_partial_tileLj256ELj3ELb1EJPdPiS1_jEEvDpT3_.private_seg_size, 0
	.set _Z6kernelI26subtract_left_partial_tileLj256ELj3ELb1EJPdPiS1_jEEvDpT3_.uses_vcc, 1
	.set _Z6kernelI26subtract_left_partial_tileLj256ELj3ELb1EJPdPiS1_jEEvDpT3_.uses_flat_scratch, 0
	.set _Z6kernelI26subtract_left_partial_tileLj256ELj3ELb1EJPdPiS1_jEEvDpT3_.has_dyn_sized_stack, 0
	.set _Z6kernelI26subtract_left_partial_tileLj256ELj3ELb1EJPdPiS1_jEEvDpT3_.has_recursion, 0
	.set _Z6kernelI26subtract_left_partial_tileLj256ELj3ELb1EJPdPiS1_jEEvDpT3_.has_indirect_call, 0
	.section	.AMDGPU.csdata,"",@progbits
; Kernel info:
; codeLenInByte = 556
; TotalNumSgprs: 18
; NumVgprs: 18
; ScratchSize: 0
; MemoryBound: 0
; FloatMode: 240
; IeeeMode: 1
; LDSByteSize: 4096 bytes/workgroup (compile time only)
; SGPRBlocks: 0
; VGPRBlocks: 1
; NumSGPRsForWavesPerEU: 18
; NumVGPRsForWavesPerEU: 18
; NamedBarCnt: 0
; Occupancy: 16
; WaveLimiterHint : 1
; COMPUTE_PGM_RSRC2:SCRATCH_EN: 0
; COMPUTE_PGM_RSRC2:USER_SGPR: 2
; COMPUTE_PGM_RSRC2:TRAP_HANDLER: 0
; COMPUTE_PGM_RSRC2:TGID_X_EN: 1
; COMPUTE_PGM_RSRC2:TGID_Y_EN: 0
; COMPUTE_PGM_RSRC2:TGID_Z_EN: 0
; COMPUTE_PGM_RSRC2:TIDIG_COMP_CNT: 0
	.section	.text._Z6kernelI26subtract_left_partial_tileLj256ELj4ELb1EJPdPiS1_jEEvDpT3_,"axG",@progbits,_Z6kernelI26subtract_left_partial_tileLj256ELj4ELb1EJPdPiS1_jEEvDpT3_,comdat
	.protected	_Z6kernelI26subtract_left_partial_tileLj256ELj4ELb1EJPdPiS1_jEEvDpT3_ ; -- Begin function _Z6kernelI26subtract_left_partial_tileLj256ELj4ELb1EJPdPiS1_jEEvDpT3_
	.globl	_Z6kernelI26subtract_left_partial_tileLj256ELj4ELb1EJPdPiS1_jEEvDpT3_
	.p2align	8
	.type	_Z6kernelI26subtract_left_partial_tileLj256ELj4ELb1EJPdPiS1_jEEvDpT3_,@function
_Z6kernelI26subtract_left_partial_tileLj256ELj4ELb1EJPdPiS1_jEEvDpT3_: ; @_Z6kernelI26subtract_left_partial_tileLj256ELj4ELb1EJPdPiS1_jEEvDpT3_
; %bb.0:
	s_load_b128 s[12:15], s[0:1], 0x0
	s_bfe_u32 s2, ttmp6, 0x4000c
	s_and_b32 s3, ttmp6, 15
	s_add_co_i32 s2, s2, 1
	s_getreg_b32 s4, hwreg(HW_REG_IB_STS2, 6, 4)
	s_mul_i32 s2, ttmp9, s2
	v_cmp_ne_u32_e32 vcc_lo, 0, v0
	s_add_co_i32 s3, s3, s2
	s_cmp_eq_u32 s4, 0
	s_load_b96 s[4:6], s[0:1], 0x10
	s_cselect_b32 s7, ttmp9, s3
	s_mov_b32 s3, 0
	s_lshl_b32 s2, s7, 10
	v_lshlrev_b32_e32 v12, 3, v0
	s_lshl_b64 s[8:9], s[2:3], 3
	s_delay_alu instid0(VALU_DEP_1)
	v_add_nc_u32_e32 v16, -8, v12
	s_wait_kmcnt 0x0
	s_add_nc_u64 s[0:1], s[12:13], s[8:9]
	s_clause 0x3
	global_load_b64 v[2:3], v0, s[0:1] scale_offset
	global_load_b64 v[4:5], v0, s[0:1] offset:2048 scale_offset
	global_load_b64 v[6:7], v0, s[0:1] offset:4096 scale_offset
	;; [unrolled: 1-line block ×3, first 2 shown]
	s_load_b32 s7, s[14:15], s7 offset:0x0 scale_offset
	s_cvt_f32_u32 s0, s6
	s_sub_co_i32 s1, 0, s6
	s_delay_alu instid0(SALU_CYCLE_2) | instskip(SKIP_1) | instid1(TRANS32_DEP_1)
	v_rcp_iflag_f32_e32 v1, s0
	v_nop
	v_readfirstlane_b32 s0, v1
	v_lshlrev_b32_e32 v1, 2, v0
	s_mul_f32 s0, s0, 0x4f7ffffe
	s_delay_alu instid0(VALU_DEP_1) | instskip(SKIP_3) | instid1(SALU_CYCLE_3)
	v_or_b32_e32 v13, 3, v1
	v_or_b32_e32 v14, 2, v1
	;; [unrolled: 1-line block ×3, first 2 shown]
	s_cvt_u32_f32 s0, s0
	s_mul_i32 s1, s1, s0
	s_delay_alu instid0(SALU_CYCLE_1) | instskip(NEXT) | instid1(SALU_CYCLE_1)
	s_mul_hi_u32 s1, s0, s1
	s_add_co_i32 s0, s0, s1
	s_delay_alu instid0(SALU_CYCLE_1) | instskip(NEXT) | instid1(SALU_CYCLE_1)
	s_lshr_b32 s0, s0, 22
	s_mul_i32 s1, s0, s6
	s_add_co_i32 s2, s0, 1
	s_sub_co_i32 s1, 0x400, s1
	s_delay_alu instid0(SALU_CYCLE_1)
	s_sub_co_i32 s3, s1, s6
	s_cmp_ge_u32 s1, s6
	s_cselect_b32 s0, s2, s0
	s_cselect_b32 s1, s3, s1
	s_add_co_i32 s2, s0, 1
	s_cmp_ge_u32 s1, s6
	s_cselect_b32 s10, s2, s0
	s_delay_alu instid0(SALU_CYCLE_1)
	s_add_co_i32 s10, s10, 1
	s_branch .LBB176_2
.LBB176_1:                              ;   in Loop: Header=BB176_2 Depth=1
	s_or_b32 exec_lo, exec_lo, s0
	s_wait_kmcnt 0x0
	v_cmp_gt_u32_e64 s2, s7, v13
	v_add_f64_e64 v[20:21], v[6:7], -v[4:5]
	v_cmp_gt_u32_e64 s3, s7, v14
	v_add_f64_e64 v[18:19], v[8:9], -v[6:7]
	s_wait_dscnt 0x0
	v_add_f64_e64 v[10:11], v[2:3], -v[10:11]
	v_cmp_gt_u32_e64 s0, s7, v15
	v_cmp_gt_u32_e64 s1, s7, v1
	s_add_co_i32 s6, s6, -1
	s_barrier_signal -1
	s_barrier_wait -1
	v_dual_cndmask_b32 v21, v7, v21, s3 :: v_dual_cndmask_b32 v19, v9, v19, s2
	v_dual_add_f64 v[22:23], v[4:5], -v[2:3] :: v_dual_cndmask_b32 v20, v6, v20, s3
	v_dual_cndmask_b32 v11, v3, v11, s1 :: v_dual_cndmask_b32 v18, v8, v18, s2
	v_cndmask_b32_e64 v10, v2, v10, s1
	s_delay_alu instid0(VALU_DEP_3) | instskip(NEXT) | instid1(VALU_DEP_3)
	v_add_f64_e32 v[6:7], v[6:7], v[20:21]
	v_add_f64_e32 v[8:9], v[8:9], v[18:19]
	v_dual_cndmask_b32 v23, v5, v23, s0 :: v_dual_cndmask_b32 v22, v4, v22, s0
	s_delay_alu instid0(VALU_DEP_4) | instskip(SKIP_1) | instid1(SALU_CYCLE_1)
	v_add_f64_e32 v[2:3], v[2:3], v[10:11]
	s_add_co_i32 s0, s10, s7
	s_and_b32 s7, s0, 0x3ff
	s_delay_alu instid0(VALU_DEP_2)
	v_add_f64_e32 v[4:5], v[4:5], v[22:23]
	s_cmp_lg_u32 s6, 0
	s_cbranch_scc0 .LBB176_4
.LBB176_2:                              ; =>This Inner Loop Header: Depth=1
	v_mov_b64_e32 v[10:11], 0x405ec00000000000
	s_wait_loadcnt 0x0
	ds_store_b64 v12, v[8:9]
	s_wait_dscnt 0x0
	s_barrier_signal -1
	s_barrier_wait -1
	s_and_saveexec_b32 s0, vcc_lo
	s_cbranch_execz .LBB176_1
; %bb.3:                                ;   in Loop: Header=BB176_2 Depth=1
	ds_load_b64 v[10:11], v16
	s_branch .LBB176_1
.LBB176_4:
	s_add_nc_u64 s[0:1], s[4:5], s[8:9]
	s_clause 0x3
	global_store_b64 v0, v[2:3], s[0:1] scale_offset
	global_store_b64 v0, v[4:5], s[0:1] offset:2048 scale_offset
	global_store_b64 v0, v[6:7], s[0:1] offset:4096 scale_offset
	;; [unrolled: 1-line block ×3, first 2 shown]
	s_endpgm
	.section	.rodata,"a",@progbits
	.p2align	6, 0x0
	.amdhsa_kernel _Z6kernelI26subtract_left_partial_tileLj256ELj4ELb1EJPdPiS1_jEEvDpT3_
		.amdhsa_group_segment_fixed_size 4096
		.amdhsa_private_segment_fixed_size 0
		.amdhsa_kernarg_size 28
		.amdhsa_user_sgpr_count 2
		.amdhsa_user_sgpr_dispatch_ptr 0
		.amdhsa_user_sgpr_queue_ptr 0
		.amdhsa_user_sgpr_kernarg_segment_ptr 1
		.amdhsa_user_sgpr_dispatch_id 0
		.amdhsa_user_sgpr_kernarg_preload_length 0
		.amdhsa_user_sgpr_kernarg_preload_offset 0
		.amdhsa_user_sgpr_private_segment_size 0
		.amdhsa_wavefront_size32 1
		.amdhsa_uses_dynamic_stack 0
		.amdhsa_enable_private_segment 0
		.amdhsa_system_sgpr_workgroup_id_x 1
		.amdhsa_system_sgpr_workgroup_id_y 0
		.amdhsa_system_sgpr_workgroup_id_z 0
		.amdhsa_system_sgpr_workgroup_info 0
		.amdhsa_system_vgpr_workitem_id 0
		.amdhsa_next_free_vgpr 24
		.amdhsa_next_free_sgpr 16
		.amdhsa_named_barrier_count 0
		.amdhsa_reserve_vcc 1
		.amdhsa_float_round_mode_32 0
		.amdhsa_float_round_mode_16_64 0
		.amdhsa_float_denorm_mode_32 3
		.amdhsa_float_denorm_mode_16_64 3
		.amdhsa_fp16_overflow 0
		.amdhsa_memory_ordered 1
		.amdhsa_forward_progress 1
		.amdhsa_inst_pref_size 5
		.amdhsa_round_robin_scheduling 0
		.amdhsa_exception_fp_ieee_invalid_op 0
		.amdhsa_exception_fp_denorm_src 0
		.amdhsa_exception_fp_ieee_div_zero 0
		.amdhsa_exception_fp_ieee_overflow 0
		.amdhsa_exception_fp_ieee_underflow 0
		.amdhsa_exception_fp_ieee_inexact 0
		.amdhsa_exception_int_div_zero 0
	.end_amdhsa_kernel
	.section	.text._Z6kernelI26subtract_left_partial_tileLj256ELj4ELb1EJPdPiS1_jEEvDpT3_,"axG",@progbits,_Z6kernelI26subtract_left_partial_tileLj256ELj4ELb1EJPdPiS1_jEEvDpT3_,comdat
.Lfunc_end176:
	.size	_Z6kernelI26subtract_left_partial_tileLj256ELj4ELb1EJPdPiS1_jEEvDpT3_, .Lfunc_end176-_Z6kernelI26subtract_left_partial_tileLj256ELj4ELb1EJPdPiS1_jEEvDpT3_
                                        ; -- End function
	.set _Z6kernelI26subtract_left_partial_tileLj256ELj4ELb1EJPdPiS1_jEEvDpT3_.num_vgpr, 24
	.set _Z6kernelI26subtract_left_partial_tileLj256ELj4ELb1EJPdPiS1_jEEvDpT3_.num_agpr, 0
	.set _Z6kernelI26subtract_left_partial_tileLj256ELj4ELb1EJPdPiS1_jEEvDpT3_.numbered_sgpr, 16
	.set _Z6kernelI26subtract_left_partial_tileLj256ELj4ELb1EJPdPiS1_jEEvDpT3_.num_named_barrier, 0
	.set _Z6kernelI26subtract_left_partial_tileLj256ELj4ELb1EJPdPiS1_jEEvDpT3_.private_seg_size, 0
	.set _Z6kernelI26subtract_left_partial_tileLj256ELj4ELb1EJPdPiS1_jEEvDpT3_.uses_vcc, 1
	.set _Z6kernelI26subtract_left_partial_tileLj256ELj4ELb1EJPdPiS1_jEEvDpT3_.uses_flat_scratch, 0
	.set _Z6kernelI26subtract_left_partial_tileLj256ELj4ELb1EJPdPiS1_jEEvDpT3_.has_dyn_sized_stack, 0
	.set _Z6kernelI26subtract_left_partial_tileLj256ELj4ELb1EJPdPiS1_jEEvDpT3_.has_recursion, 0
	.set _Z6kernelI26subtract_left_partial_tileLj256ELj4ELb1EJPdPiS1_jEEvDpT3_.has_indirect_call, 0
	.section	.AMDGPU.csdata,"",@progbits
; Kernel info:
; codeLenInByte = 588
; TotalNumSgprs: 18
; NumVgprs: 24
; ScratchSize: 0
; MemoryBound: 0
; FloatMode: 240
; IeeeMode: 1
; LDSByteSize: 4096 bytes/workgroup (compile time only)
; SGPRBlocks: 0
; VGPRBlocks: 1
; NumSGPRsForWavesPerEU: 18
; NumVGPRsForWavesPerEU: 24
; NamedBarCnt: 0
; Occupancy: 16
; WaveLimiterHint : 1
; COMPUTE_PGM_RSRC2:SCRATCH_EN: 0
; COMPUTE_PGM_RSRC2:USER_SGPR: 2
; COMPUTE_PGM_RSRC2:TRAP_HANDLER: 0
; COMPUTE_PGM_RSRC2:TGID_X_EN: 1
; COMPUTE_PGM_RSRC2:TGID_Y_EN: 0
; COMPUTE_PGM_RSRC2:TGID_Z_EN: 0
; COMPUTE_PGM_RSRC2:TIDIG_COMP_CNT: 0
	.section	.text._Z6kernelI26subtract_left_partial_tileLj256ELj8ELb1EJPdPiS1_jEEvDpT3_,"axG",@progbits,_Z6kernelI26subtract_left_partial_tileLj256ELj8ELb1EJPdPiS1_jEEvDpT3_,comdat
	.protected	_Z6kernelI26subtract_left_partial_tileLj256ELj8ELb1EJPdPiS1_jEEvDpT3_ ; -- Begin function _Z6kernelI26subtract_left_partial_tileLj256ELj8ELb1EJPdPiS1_jEEvDpT3_
	.globl	_Z6kernelI26subtract_left_partial_tileLj256ELj8ELb1EJPdPiS1_jEEvDpT3_
	.p2align	8
	.type	_Z6kernelI26subtract_left_partial_tileLj256ELj8ELb1EJPdPiS1_jEEvDpT3_,@function
_Z6kernelI26subtract_left_partial_tileLj256ELj8ELb1EJPdPiS1_jEEvDpT3_: ; @_Z6kernelI26subtract_left_partial_tileLj256ELj8ELb1EJPdPiS1_jEEvDpT3_
; %bb.0:
	s_load_b128 s[4:7], s[0:1], 0x0
	s_bfe_u32 s2, ttmp6, 0x4000c
	s_and_b32 s3, ttmp6, 15
	s_add_co_i32 s2, s2, 1
	s_getreg_b32 s8, hwreg(HW_REG_IB_STS2, 6, 4)
	s_mul_i32 s2, ttmp9, s2
	v_cmp_ne_u32_e32 vcc_lo, 0, v0
	s_add_co_i32 s3, s3, s2
	s_cmp_eq_u32 s8, 0
	s_load_b96 s[8:10], s[0:1], 0x10
	s_cselect_b32 s11, ttmp9, s3
	s_mov_b32 s3, 0
	s_lshl_b32 s2, s11, 11
	s_delay_alu instid0(SALU_CYCLE_1)
	s_lshl_b64 s[12:13], s[2:3], 3
	s_wait_kmcnt 0x0
	s_add_nc_u64 s[0:1], s[4:5], s[12:13]
	s_clause 0x7
	global_load_b64 v[14:15], v0, s[0:1] scale_offset
	global_load_b64 v[12:13], v0, s[0:1] offset:2048 scale_offset
	global_load_b64 v[10:11], v0, s[0:1] offset:4096 scale_offset
	;; [unrolled: 1-line block ×7, first 2 shown]
	s_load_b32 s5, s[6:7], s11 offset:0x0 scale_offset
	s_cvt_f32_u32 s0, s10
	s_sub_co_i32 s1, 0, s10
	s_delay_alu instid0(SALU_CYCLE_2) | instskip(SKIP_1) | instid1(TRANS32_DEP_1)
	v_rcp_iflag_f32_e32 v1, s0
	v_nop
	v_readfirstlane_b32 s0, v1
	v_lshlrev_b32_e32 v1, 3, v0
	s_mul_f32 s0, s0, 0x4f7ffffe
	s_delay_alu instid0(VALU_DEP_1) | instskip(SKIP_1) | instid1(SALU_CYCLE_1)
	v_dual_add_nc_u32 v27, -8, v1 :: v_dual_bitop2_b32 v20, 7, v1 bitop3:0x54
	v_or_b32_e32 v21, 6, v1
	s_cvt_u32_f32 s0, s0
	v_or_b32_e32 v22, 5, v1
	v_or_b32_e32 v23, 4, v1
	;; [unrolled: 1-line block ×3, first 2 shown]
	s_mul_i32 s1, s1, s0
	v_or_b32_e32 v25, 2, v1
	s_mul_hi_u32 s1, s0, s1
	v_or_b32_e32 v26, 1, v1
	s_add_co_i32 s0, s0, s1
	s_delay_alu instid0(SALU_CYCLE_1) | instskip(NEXT) | instid1(SALU_CYCLE_1)
	s_lshr_b32 s0, s0, 21
	s_mul_i32 s1, s0, s10
	s_add_co_i32 s2, s0, 1
	s_sub_co_i32 s1, 0x800, s1
	s_delay_alu instid0(SALU_CYCLE_1)
	s_sub_co_i32 s3, s1, s10
	s_cmp_ge_u32 s1, s10
	s_cselect_b32 s0, s2, s0
	s_cselect_b32 s1, s3, s1
	s_add_co_i32 s2, s0, 1
	s_cmp_ge_u32 s1, s10
	s_wait_xcnt 0x0
	s_cselect_b32 s6, s2, s0
	s_delay_alu instid0(SALU_CYCLE_1)
	s_add_co_i32 s6, s6, 1
	s_branch .LBB177_2
.LBB177_1:                              ;   in Loop: Header=BB177_2 Depth=1
	s_or_b32 exec_lo, exec_lo, s0
	v_add_f64_e64 v[28:29], v[16:17], -v[2:3]
	v_add_f64_e64 v[30:31], v[2:3], -v[4:5]
	;; [unrolled: 1-line block ×7, first 2 shown]
	s_wait_kmcnt 0x0
	v_cmp_gt_u32_e64 s0, s5, v20
	s_wait_dscnt 0x0
	v_add_f64_e64 v[18:19], v[14:15], -v[18:19]
	v_cmp_gt_u32_e64 s1, s5, v21
	v_cmp_gt_u32_e64 s2, s5, v22
	;; [unrolled: 1-line block ×4, first 2 shown]
	s_add_co_i32 s10, s10, -1
	s_barrier_signal -1
	s_barrier_wait -1
	v_dual_cndmask_b32 v29, v17, v29, s0 :: v_dual_cndmask_b32 v28, v16, v28, s0
	v_dual_cndmask_b32 v31, v3, v31, s1 :: v_dual_cndmask_b32 v30, v2, v30, s1
	v_cndmask_b32_e64 v33, v5, v33, s2
	v_cmp_gt_u32_e64 s0, s5, v23
	v_cndmask_b32_e64 v32, v4, v32, s2
	v_cmp_gt_u32_e64 s1, s5, v24
	v_cmp_gt_u32_e64 s2, s5, v25
	v_dual_cndmask_b32 v41, v13, v41, s3 :: v_dual_cndmask_b32 v19, v15, v19, s4
	s_delay_alu instid0(VALU_DEP_3) | instskip(NEXT) | instid1(VALU_DEP_3)
	v_dual_cndmask_b32 v35, v7, v35, s0 :: v_dual_cndmask_b32 v37, v9, v37, s1
	v_dual_cndmask_b32 v39, v11, v39, s2 :: v_dual_cndmask_b32 v18, v14, v18, s4
	;; [unrolled: 1-line block ×4, first 2 shown]
	s_delay_alu instid0(VALU_DEP_3) | instskip(NEXT) | instid1(VALU_DEP_3)
	v_add_f64_e32 v[14:15], v[14:15], v[18:19]
	v_add_f64_e32 v[12:13], v[12:13], v[40:41]
	s_delay_alu instid0(VALU_DEP_4) | instskip(NEXT) | instid1(VALU_DEP_4)
	v_add_f64_e32 v[10:11], v[10:11], v[38:39]
	v_add_f64_e32 v[8:9], v[8:9], v[36:37]
	;; [unrolled: 1-line block ×6, first 2 shown]
	s_add_co_i32 s0, s6, s5
	s_delay_alu instid0(SALU_CYCLE_1)
	s_and_b32 s5, s0, 0x7ff
	s_cmp_lg_u32 s10, 0
	s_cbranch_scc0 .LBB177_4
.LBB177_2:                              ; =>This Inner Loop Header: Depth=1
	v_mov_b64_e32 v[18:19], 0x405ec00000000000
	s_wait_loadcnt 0x0
	ds_store_b64 v1, v[16:17]
	s_wait_dscnt 0x0
	s_barrier_signal -1
	s_barrier_wait -1
	s_and_saveexec_b32 s0, vcc_lo
	s_cbranch_execz .LBB177_1
; %bb.3:                                ;   in Loop: Header=BB177_2 Depth=1
	ds_load_b64 v[18:19], v27
	s_branch .LBB177_1
.LBB177_4:
	s_add_nc_u64 s[0:1], s[8:9], s[12:13]
	s_clause 0x7
	global_store_b64 v0, v[14:15], s[0:1] scale_offset
	global_store_b64 v0, v[12:13], s[0:1] offset:2048 scale_offset
	global_store_b64 v0, v[10:11], s[0:1] offset:4096 scale_offset
	;; [unrolled: 1-line block ×7, first 2 shown]
	s_endpgm
	.section	.rodata,"a",@progbits
	.p2align	6, 0x0
	.amdhsa_kernel _Z6kernelI26subtract_left_partial_tileLj256ELj8ELb1EJPdPiS1_jEEvDpT3_
		.amdhsa_group_segment_fixed_size 4096
		.amdhsa_private_segment_fixed_size 0
		.amdhsa_kernarg_size 28
		.amdhsa_user_sgpr_count 2
		.amdhsa_user_sgpr_dispatch_ptr 0
		.amdhsa_user_sgpr_queue_ptr 0
		.amdhsa_user_sgpr_kernarg_segment_ptr 1
		.amdhsa_user_sgpr_dispatch_id 0
		.amdhsa_user_sgpr_kernarg_preload_length 0
		.amdhsa_user_sgpr_kernarg_preload_offset 0
		.amdhsa_user_sgpr_private_segment_size 0
		.amdhsa_wavefront_size32 1
		.amdhsa_uses_dynamic_stack 0
		.amdhsa_enable_private_segment 0
		.amdhsa_system_sgpr_workgroup_id_x 1
		.amdhsa_system_sgpr_workgroup_id_y 0
		.amdhsa_system_sgpr_workgroup_id_z 0
		.amdhsa_system_sgpr_workgroup_info 0
		.amdhsa_system_vgpr_workitem_id 0
		.amdhsa_next_free_vgpr 42
		.amdhsa_next_free_sgpr 14
		.amdhsa_named_barrier_count 0
		.amdhsa_reserve_vcc 1
		.amdhsa_float_round_mode_32 0
		.amdhsa_float_round_mode_16_64 0
		.amdhsa_float_denorm_mode_32 3
		.amdhsa_float_denorm_mode_16_64 3
		.amdhsa_fp16_overflow 0
		.amdhsa_memory_ordered 1
		.amdhsa_forward_progress 1
		.amdhsa_inst_pref_size 7
		.amdhsa_round_robin_scheduling 0
		.amdhsa_exception_fp_ieee_invalid_op 0
		.amdhsa_exception_fp_denorm_src 0
		.amdhsa_exception_fp_ieee_div_zero 0
		.amdhsa_exception_fp_ieee_overflow 0
		.amdhsa_exception_fp_ieee_underflow 0
		.amdhsa_exception_fp_ieee_inexact 0
		.amdhsa_exception_int_div_zero 0
	.end_amdhsa_kernel
	.section	.text._Z6kernelI26subtract_left_partial_tileLj256ELj8ELb1EJPdPiS1_jEEvDpT3_,"axG",@progbits,_Z6kernelI26subtract_left_partial_tileLj256ELj8ELb1EJPdPiS1_jEEvDpT3_,comdat
.Lfunc_end177:
	.size	_Z6kernelI26subtract_left_partial_tileLj256ELj8ELb1EJPdPiS1_jEEvDpT3_, .Lfunc_end177-_Z6kernelI26subtract_left_partial_tileLj256ELj8ELb1EJPdPiS1_jEEvDpT3_
                                        ; -- End function
	.set _Z6kernelI26subtract_left_partial_tileLj256ELj8ELb1EJPdPiS1_jEEvDpT3_.num_vgpr, 42
	.set _Z6kernelI26subtract_left_partial_tileLj256ELj8ELb1EJPdPiS1_jEEvDpT3_.num_agpr, 0
	.set _Z6kernelI26subtract_left_partial_tileLj256ELj8ELb1EJPdPiS1_jEEvDpT3_.numbered_sgpr, 14
	.set _Z6kernelI26subtract_left_partial_tileLj256ELj8ELb1EJPdPiS1_jEEvDpT3_.num_named_barrier, 0
	.set _Z6kernelI26subtract_left_partial_tileLj256ELj8ELb1EJPdPiS1_jEEvDpT3_.private_seg_size, 0
	.set _Z6kernelI26subtract_left_partial_tileLj256ELj8ELb1EJPdPiS1_jEEvDpT3_.uses_vcc, 1
	.set _Z6kernelI26subtract_left_partial_tileLj256ELj8ELb1EJPdPiS1_jEEvDpT3_.uses_flat_scratch, 0
	.set _Z6kernelI26subtract_left_partial_tileLj256ELj8ELb1EJPdPiS1_jEEvDpT3_.has_dyn_sized_stack, 0
	.set _Z6kernelI26subtract_left_partial_tileLj256ELj8ELb1EJPdPiS1_jEEvDpT3_.has_recursion, 0
	.set _Z6kernelI26subtract_left_partial_tileLj256ELj8ELb1EJPdPiS1_jEEvDpT3_.has_indirect_call, 0
	.section	.AMDGPU.csdata,"",@progbits
; Kernel info:
; codeLenInByte = 836
; TotalNumSgprs: 16
; NumVgprs: 42
; ScratchSize: 0
; MemoryBound: 0
; FloatMode: 240
; IeeeMode: 1
; LDSByteSize: 4096 bytes/workgroup (compile time only)
; SGPRBlocks: 0
; VGPRBlocks: 2
; NumSGPRsForWavesPerEU: 16
; NumVGPRsForWavesPerEU: 42
; NamedBarCnt: 0
; Occupancy: 16
; WaveLimiterHint : 1
; COMPUTE_PGM_RSRC2:SCRATCH_EN: 0
; COMPUTE_PGM_RSRC2:USER_SGPR: 2
; COMPUTE_PGM_RSRC2:TRAP_HANDLER: 0
; COMPUTE_PGM_RSRC2:TGID_X_EN: 1
; COMPUTE_PGM_RSRC2:TGID_Y_EN: 0
; COMPUTE_PGM_RSRC2:TGID_Z_EN: 0
; COMPUTE_PGM_RSRC2:TIDIG_COMP_CNT: 0
	.section	.text._Z6kernelI26subtract_left_partial_tileLj256ELj16ELb1EJPdPiS1_jEEvDpT3_,"axG",@progbits,_Z6kernelI26subtract_left_partial_tileLj256ELj16ELb1EJPdPiS1_jEEvDpT3_,comdat
	.protected	_Z6kernelI26subtract_left_partial_tileLj256ELj16ELb1EJPdPiS1_jEEvDpT3_ ; -- Begin function _Z6kernelI26subtract_left_partial_tileLj256ELj16ELb1EJPdPiS1_jEEvDpT3_
	.globl	_Z6kernelI26subtract_left_partial_tileLj256ELj16ELb1EJPdPiS1_jEEvDpT3_
	.p2align	8
	.type	_Z6kernelI26subtract_left_partial_tileLj256ELj16ELb1EJPdPiS1_jEEvDpT3_,@function
_Z6kernelI26subtract_left_partial_tileLj256ELj16ELb1EJPdPiS1_jEEvDpT3_: ; @_Z6kernelI26subtract_left_partial_tileLj256ELj16ELb1EJPdPiS1_jEEvDpT3_
; %bb.0:
	s_load_b128 s[4:7], s[0:1], 0x0
	s_bfe_u32 s2, ttmp6, 0x4000c
	s_and_b32 s3, ttmp6, 15
	s_add_co_i32 s2, s2, 1
	s_getreg_b32 s8, hwreg(HW_REG_IB_STS2, 6, 4)
	s_mul_i32 s2, ttmp9, s2
	v_cmp_ne_u32_e32 vcc_lo, 0, v0
	s_add_co_i32 s3, s3, s2
	s_cmp_eq_u32 s8, 0
	s_load_b96 s[8:10], s[0:1], 0x10
	s_cselect_b32 s11, ttmp9, s3
	s_mov_b32 s3, 0
	s_lshl_b32 s2, s11, 12
	v_lshlrev_b32_e32 v36, 3, v0
	s_lshl_b64 s[12:13], s[2:3], 3
	s_delay_alu instid0(VALU_DEP_1)
	v_add_nc_u32_e32 v48, -8, v36
	s_wait_kmcnt 0x0
	s_add_nc_u64 s[0:1], s[4:5], s[12:13]
	s_clause 0xf
	global_load_b64 v[30:31], v0, s[0:1] scale_offset
	global_load_b64 v[28:29], v0, s[0:1] offset:2048 scale_offset
	global_load_b64 v[26:27], v0, s[0:1] offset:4096 scale_offset
	;; [unrolled: 1-line block ×15, first 2 shown]
	s_load_b32 s11, s[6:7], s11 offset:0x0 scale_offset
	s_cvt_f32_u32 s0, s10
	s_sub_co_i32 s1, 0, s10
	s_delay_alu instid0(SALU_CYCLE_2) | instskip(SKIP_1) | instid1(TRANS32_DEP_1)
	v_rcp_iflag_f32_e32 v1, s0
	v_nop
	v_readfirstlane_b32 s0, v1
	v_lshlrev_b32_e32 v1, 4, v0
	s_mul_f32 s0, s0, 0x4f7ffffe
	s_delay_alu instid0(VALU_DEP_1)
	v_or_b32_e32 v37, 11, v1
	v_or_b32_e32 v38, 10, v1
	;; [unrolled: 1-line block ×3, first 2 shown]
	s_cvt_u32_f32 s0, s0
	v_or_b32_e32 v40, 8, v1
	v_or_b32_e32 v41, 7, v1
	v_or_b32_e32 v42, 6, v1
	s_mul_i32 s1, s1, s0
	v_or_b32_e32 v43, 5, v1
	s_mul_hi_u32 s1, s0, s1
	v_or_b32_e32 v44, 4, v1
	s_add_co_i32 s0, s0, s1
	v_or_b32_e32 v45, 3, v1
	s_lshr_b32 s0, s0, 20
	v_or_b32_e32 v46, 2, v1
	s_mul_i32 s1, s0, s10
	s_add_co_i32 s2, s0, 1
	s_sub_co_i32 s1, 0x1000, s1
	v_or_b32_e32 v47, 1, v1
	s_sub_co_i32 s3, s1, s10
	s_cmp_ge_u32 s1, s10
	s_cselect_b32 s0, s2, s0
	s_cselect_b32 s1, s3, s1
	s_add_co_i32 s2, s0, 1
	s_cmp_ge_u32 s1, s10
	s_cselect_b32 s14, s2, s0
	s_delay_alu instid0(SALU_CYCLE_1)
	s_add_co_i32 s14, s14, 1
	s_branch .LBB178_2
.LBB178_1:                              ;   in Loop: Header=BB178_2 Depth=1
	s_or_b32 exec_lo, exec_lo, s0
	v_dual_add_f64 v[50:51], v[32:33], -v[2:3] :: v_dual_bitop2_b32 v49, 15, v1 bitop3:0x54
	v_add_f64_e64 v[54:55], v[4:5], -v[6:7]
	v_add_f64_e64 v[58:59], v[8:9], -v[10:11]
	;; [unrolled: 1-line block ×3, first 2 shown]
	s_wait_kmcnt 0x0
	v_cmp_gt_u32_e64 s4, s11, v37
	v_cmp_gt_u32_e64 s0, s11, v49
	v_add_f64_e64 v[56:57], v[6:7], -v[8:9]
	v_or_b32_e32 v49, 14, v1
	v_add_f64_e64 v[52:53], v[2:3], -v[4:5]
	v_cmp_gt_u32_e64 s6, s11, v39
	v_cmp_gt_u32_e64 s7, s11, v40
	;; [unrolled: 1-line block ×4, first 2 shown]
	v_or_b32_e32 v49, 13, v1
	v_add_f64_e64 v[68:69], v[18:19], -v[20:21]
	v_add_f64_e64 v[74:75], v[26:27], -v[28:29]
	s_add_co_i32 s10, s10, -1
	s_wait_dscnt 0x0
	v_cmp_gt_u32_e64 s2, s11, v49
	v_add_f64_e64 v[64:65], v[14:15], -v[16:17]
	v_or_b32_e32 v49, 12, v1
	v_add_f64_e64 v[60:61], v[10:11], -v[12:13]
	v_add_f64_e64 v[78:79], v[22:23], -v[24:25]
	s_barrier_signal -1
	s_barrier_wait -1
	v_cmp_gt_u32_e64 s3, s11, v49
	v_cndmask_b32_e64 v51, v33, v51, s0
	v_add_f64_e64 v[66:67], v[16:17], -v[18:19]
	v_add_f64_e64 v[70:71], v[20:21], -v[22:23]
	v_cndmask_b32_e64 v50, v32, v50, s0
	v_add_f64_e64 v[72:73], v[24:25], -v[26:27]
	v_add_f64_e64 v[76:77], v[28:29], -v[30:31]
	v_dual_cndmask_b32 v55, v5, v55, s2 :: v_dual_cndmask_b32 v54, v4, v54, s2
	v_cndmask_b32_e64 v57, v7, v57, s3
	v_cmp_gt_u32_e64 s2, s11, v45
	v_add_f64_e64 v[34:35], v[30:31], -v[34:35]
	v_cmp_gt_u32_e64 s0, s11, v41
	v_dual_cndmask_b32 v53, v3, v53, s1 :: v_dual_cndmask_b32 v52, v2, v52, s1
	v_cndmask_b32_e64 v59, v9, v59, s4
	v_cmp_gt_u32_e64 s1, s11, v42
	v_dual_cndmask_b32 v56, v6, v56, s3 :: v_dual_cndmask_b32 v58, v8, v58, s4
	v_cmp_gt_u32_e64 s3, s11, v44
	v_dual_cndmask_b32 v63, v13, v63, s6 :: v_dual_cndmask_b32 v64, v14, v64, s7
	v_dual_cndmask_b32 v62, v12, v62, s6 :: v_dual_cndmask_b32 v65, v15, v65, s7
	;; [unrolled: 1-line block ×3, first 2 shown]
	s_delay_alu instid0(VALU_DEP_4) | instskip(NEXT) | instid1(VALU_DEP_3)
	v_dual_cndmask_b32 v79, v23, v79, s3 :: v_dual_cndmask_b32 v78, v22, v78, s3
	v_add_f64_e32 v[12:13], v[12:13], v[62:63]
	v_add_f64_e32 v[8:9], v[8:9], v[58:59]
	s_delay_alu instid0(VALU_DEP_4)
	v_add_f64_e32 v[10:11], v[10:11], v[60:61]
	v_add_f64_e32 v[6:7], v[6:7], v[56:57]
	;; [unrolled: 1-line block ×3, first 2 shown]
	v_dual_cndmask_b32 v69, v19, v69, s1 :: v_dual_cndmask_b32 v66, v16, v66, s0
	v_cndmask_b32_e64 v67, v17, v67, s0
	v_cmp_gt_u32_e64 s0, s11, v43
	v_dual_cndmask_b32 v68, v18, v68, s1 :: v_dual_cndmask_b32 v73, v25, v73, s2
	v_cndmask_b32_e64 v72, v24, v72, s2
	v_cmp_gt_u32_e64 s1, s11, v1
	s_delay_alu instid0(VALU_DEP_4) | instskip(SKIP_2) | instid1(VALU_DEP_4)
	v_dual_cndmask_b32 v71, v21, v71, s0 :: v_dual_cndmask_b32 v70, v20, v70, s0
	v_cmp_gt_u32_e64 s0, s11, v46
	v_cmp_gt_u32_e64 s2, s11, v47
	v_dual_cndmask_b32 v35, v31, v35, s1 :: v_dual_cndmask_b32 v34, v30, v34, s1
	v_add_f64_e32 v[18:19], v[18:19], v[68:69]
	s_delay_alu instid0(VALU_DEP_3) | instskip(SKIP_1) | instid1(VALU_DEP_4)
	v_dual_cndmask_b32 v75, v27, v75, s0 :: v_dual_cndmask_b32 v77, v29, v77, s2
	v_dual_cndmask_b32 v76, v28, v76, s2 :: v_dual_cndmask_b32 v74, v26, v74, s0
	v_add_f64_e32 v[30:31], v[30:31], v[34:35]
	v_add_f64_e32 v[24:25], v[24:25], v[72:73]
	;; [unrolled: 1-line block ×3, first 2 shown]
	s_delay_alu instid0(VALU_DEP_4)
	v_add_f64_e32 v[28:29], v[28:29], v[76:77]
	v_add_f64_e32 v[26:27], v[26:27], v[74:75]
	;; [unrolled: 1-line block ×7, first 2 shown]
	s_add_co_i32 s0, s14, s11
	s_delay_alu instid0(SALU_CYCLE_1)
	s_and_b32 s11, s0, 0xfff
	s_cmp_lg_u32 s10, 0
	s_cbranch_scc0 .LBB178_4
.LBB178_2:                              ; =>This Inner Loop Header: Depth=1
	v_mov_b64_e32 v[34:35], 0x405ec00000000000
	s_wait_loadcnt 0x0
	ds_store_b64 v36, v[32:33]
	s_wait_dscnt 0x0
	s_barrier_signal -1
	s_barrier_wait -1
	s_and_saveexec_b32 s0, vcc_lo
	s_cbranch_execz .LBB178_1
; %bb.3:                                ;   in Loop: Header=BB178_2 Depth=1
	ds_load_b64 v[34:35], v48
	s_branch .LBB178_1
.LBB178_4:
	s_add_nc_u64 s[0:1], s[8:9], s[12:13]
	s_clause 0xf
	global_store_b64 v0, v[30:31], s[0:1] scale_offset
	global_store_b64 v0, v[28:29], s[0:1] offset:2048 scale_offset
	global_store_b64 v0, v[26:27], s[0:1] offset:4096 scale_offset
	;; [unrolled: 1-line block ×15, first 2 shown]
	s_sendmsg sendmsg(MSG_DEALLOC_VGPRS)
	s_endpgm
	.section	.rodata,"a",@progbits
	.p2align	6, 0x0
	.amdhsa_kernel _Z6kernelI26subtract_left_partial_tileLj256ELj16ELb1EJPdPiS1_jEEvDpT3_
		.amdhsa_group_segment_fixed_size 4096
		.amdhsa_private_segment_fixed_size 0
		.amdhsa_kernarg_size 28
		.amdhsa_user_sgpr_count 2
		.amdhsa_user_sgpr_dispatch_ptr 0
		.amdhsa_user_sgpr_queue_ptr 0
		.amdhsa_user_sgpr_kernarg_segment_ptr 1
		.amdhsa_user_sgpr_dispatch_id 0
		.amdhsa_user_sgpr_kernarg_preload_length 0
		.amdhsa_user_sgpr_kernarg_preload_offset 0
		.amdhsa_user_sgpr_private_segment_size 0
		.amdhsa_wavefront_size32 1
		.amdhsa_uses_dynamic_stack 0
		.amdhsa_enable_private_segment 0
		.amdhsa_system_sgpr_workgroup_id_x 1
		.amdhsa_system_sgpr_workgroup_id_y 0
		.amdhsa_system_sgpr_workgroup_id_z 0
		.amdhsa_system_sgpr_workgroup_info 0
		.amdhsa_system_vgpr_workitem_id 0
		.amdhsa_next_free_vgpr 80
		.amdhsa_next_free_sgpr 15
		.amdhsa_named_barrier_count 0
		.amdhsa_reserve_vcc 1
		.amdhsa_float_round_mode_32 0
		.amdhsa_float_round_mode_16_64 0
		.amdhsa_float_denorm_mode_32 3
		.amdhsa_float_denorm_mode_16_64 3
		.amdhsa_fp16_overflow 0
		.amdhsa_memory_ordered 1
		.amdhsa_forward_progress 1
		.amdhsa_inst_pref_size 11
		.amdhsa_round_robin_scheduling 0
		.amdhsa_exception_fp_ieee_invalid_op 0
		.amdhsa_exception_fp_denorm_src 0
		.amdhsa_exception_fp_ieee_div_zero 0
		.amdhsa_exception_fp_ieee_overflow 0
		.amdhsa_exception_fp_ieee_underflow 0
		.amdhsa_exception_fp_ieee_inexact 0
		.amdhsa_exception_int_div_zero 0
	.end_amdhsa_kernel
	.section	.text._Z6kernelI26subtract_left_partial_tileLj256ELj16ELb1EJPdPiS1_jEEvDpT3_,"axG",@progbits,_Z6kernelI26subtract_left_partial_tileLj256ELj16ELb1EJPdPiS1_jEEvDpT3_,comdat
.Lfunc_end178:
	.size	_Z6kernelI26subtract_left_partial_tileLj256ELj16ELb1EJPdPiS1_jEEvDpT3_, .Lfunc_end178-_Z6kernelI26subtract_left_partial_tileLj256ELj16ELb1EJPdPiS1_jEEvDpT3_
                                        ; -- End function
	.set _Z6kernelI26subtract_left_partial_tileLj256ELj16ELb1EJPdPiS1_jEEvDpT3_.num_vgpr, 80
	.set _Z6kernelI26subtract_left_partial_tileLj256ELj16ELb1EJPdPiS1_jEEvDpT3_.num_agpr, 0
	.set _Z6kernelI26subtract_left_partial_tileLj256ELj16ELb1EJPdPiS1_jEEvDpT3_.numbered_sgpr, 15
	.set _Z6kernelI26subtract_left_partial_tileLj256ELj16ELb1EJPdPiS1_jEEvDpT3_.num_named_barrier, 0
	.set _Z6kernelI26subtract_left_partial_tileLj256ELj16ELb1EJPdPiS1_jEEvDpT3_.private_seg_size, 0
	.set _Z6kernelI26subtract_left_partial_tileLj256ELj16ELb1EJPdPiS1_jEEvDpT3_.uses_vcc, 1
	.set _Z6kernelI26subtract_left_partial_tileLj256ELj16ELb1EJPdPiS1_jEEvDpT3_.uses_flat_scratch, 0
	.set _Z6kernelI26subtract_left_partial_tileLj256ELj16ELb1EJPdPiS1_jEEvDpT3_.has_dyn_sized_stack, 0
	.set _Z6kernelI26subtract_left_partial_tileLj256ELj16ELb1EJPdPiS1_jEEvDpT3_.has_recursion, 0
	.set _Z6kernelI26subtract_left_partial_tileLj256ELj16ELb1EJPdPiS1_jEEvDpT3_.has_indirect_call, 0
	.section	.AMDGPU.csdata,"",@progbits
; Kernel info:
; codeLenInByte = 1324
; TotalNumSgprs: 17
; NumVgprs: 80
; ScratchSize: 0
; MemoryBound: 0
; FloatMode: 240
; IeeeMode: 1
; LDSByteSize: 4096 bytes/workgroup (compile time only)
; SGPRBlocks: 0
; VGPRBlocks: 4
; NumSGPRsForWavesPerEU: 17
; NumVGPRsForWavesPerEU: 80
; NamedBarCnt: 0
; Occupancy: 12
; WaveLimiterHint : 1
; COMPUTE_PGM_RSRC2:SCRATCH_EN: 0
; COMPUTE_PGM_RSRC2:USER_SGPR: 2
; COMPUTE_PGM_RSRC2:TRAP_HANDLER: 0
; COMPUTE_PGM_RSRC2:TGID_X_EN: 1
; COMPUTE_PGM_RSRC2:TGID_Y_EN: 0
; COMPUTE_PGM_RSRC2:TGID_Z_EN: 0
; COMPUTE_PGM_RSRC2:TIDIG_COMP_CNT: 0
	.section	.text._Z6kernelI26subtract_left_partial_tileLj256ELj32ELb1EJPdPiS1_jEEvDpT3_,"axG",@progbits,_Z6kernelI26subtract_left_partial_tileLj256ELj32ELb1EJPdPiS1_jEEvDpT3_,comdat
	.protected	_Z6kernelI26subtract_left_partial_tileLj256ELj32ELb1EJPdPiS1_jEEvDpT3_ ; -- Begin function _Z6kernelI26subtract_left_partial_tileLj256ELj32ELb1EJPdPiS1_jEEvDpT3_
	.globl	_Z6kernelI26subtract_left_partial_tileLj256ELj32ELb1EJPdPiS1_jEEvDpT3_
	.p2align	8
	.type	_Z6kernelI26subtract_left_partial_tileLj256ELj32ELb1EJPdPiS1_jEEvDpT3_,@function
_Z6kernelI26subtract_left_partial_tileLj256ELj32ELb1EJPdPiS1_jEEvDpT3_: ; @_Z6kernelI26subtract_left_partial_tileLj256ELj32ELb1EJPdPiS1_jEEvDpT3_
; %bb.0:
	s_load_b128 s[4:7], s[0:1], 0x0
	s_bfe_u32 s2, ttmp6, 0x4000c
	s_and_b32 s3, ttmp6, 15
	s_add_co_i32 s2, s2, 1
	s_getreg_b32 s8, hwreg(HW_REG_IB_STS2, 6, 4)
	s_mul_i32 s2, ttmp9, s2
	v_dual_lshlrev_b32 v1, 5, v0 :: v_dual_lshlrev_b32 v68, 3, v0
	s_add_co_i32 s3, s3, s2
	s_cmp_eq_u32 s8, 0
	s_load_b96 s[8:10], s[0:1], 0x10
	s_cselect_b32 s11, ttmp9, s3
	s_mov_b32 s3, 0
	s_lshl_b32 s2, s11, 13
	v_dual_add_nc_u32 v96, -8, v68 :: v_dual_bitop2_b32 v69, 27, v1 bitop3:0x54
	s_lshl_b64 s[12:13], s[2:3], 3
	v_or_b32_e32 v70, 26, v1
	v_or_b32_e32 v71, 25, v1
	;; [unrolled: 1-line block ×3, first 2 shown]
	s_wait_kmcnt 0x0
	s_add_nc_u64 s[0:1], s[4:5], s[12:13]
	v_or_b32_e32 v73, 23, v1
	s_clause 0x1f
	global_load_b64 v[62:63], v0, s[0:1] scale_offset
	global_load_b64 v[60:61], v0, s[0:1] offset:2048 scale_offset
	global_load_b64 v[58:59], v0, s[0:1] offset:4096 scale_offset
	;; [unrolled: 1-line block ×31, first 2 shown]
	s_load_b32 s11, s[6:7], s11 offset:0x0 scale_offset
	v_or_b32_e32 v74, 22, v1
	v_or_b32_e32 v75, 21, v1
	;; [unrolled: 1-line block ×6, first 2 shown]
	s_cvt_f32_u32 s0, s10
	s_sub_co_i32 s1, 0, s10
	v_or_b32_e32 v80, 16, v1
	v_or_b32_e32 v81, 15, v1
	v_rcp_iflag_f32_e32 v66, s0
	v_or_b32_e32 v82, 14, v1
	v_or_b32_e32 v83, 13, v1
	;; [unrolled: 1-line block ×6, first 2 shown]
	v_readfirstlane_b32 s0, v66
	v_or_b32_e32 v88, 8, v1
	v_or_b32_e32 v89, 7, v1
	;; [unrolled: 1-line block ×4, first 2 shown]
	s_mul_f32 s0, s0, 0x4f7ffffe
	v_or_b32_e32 v92, 4, v1
	v_or_b32_e32 v93, 3, v1
	;; [unrolled: 1-line block ×3, first 2 shown]
	s_cvt_u32_f32 s0, s0
	v_or_b32_e32 v95, 1, v1
	v_cmp_ne_u32_e32 vcc_lo, 0, v0
	s_delay_alu instid0(SALU_CYCLE_1) | instskip(NEXT) | instid1(SALU_CYCLE_1)
	s_mul_i32 s1, s1, s0
	s_mul_hi_u32 s1, s0, s1
	s_delay_alu instid0(SALU_CYCLE_1) | instskip(NEXT) | instid1(SALU_CYCLE_1)
	s_add_co_i32 s0, s0, s1
	s_lshr_b32 s0, s0, 19
	s_delay_alu instid0(SALU_CYCLE_1) | instskip(SKIP_2) | instid1(SALU_CYCLE_1)
	s_mul_i32 s1, s0, s10
	s_add_co_i32 s2, s0, 1
	s_sub_co_i32 s1, 0x2000, s1
	s_sub_co_i32 s3, s1, s10
	s_cmp_ge_u32 s1, s10
	s_cselect_b32 s0, s2, s0
	s_cselect_b32 s1, s3, s1
	s_add_co_i32 s2, s0, 1
	s_cmp_ge_u32 s1, s10
	s_cselect_b32 s14, s2, s0
	s_delay_alu instid0(SALU_CYCLE_1)
	s_add_co_i32 s14, s14, 1
	s_branch .LBB179_2
.LBB179_1:                              ;   in Loop: Header=BB179_2 Depth=1
	s_or_b32 exec_lo, exec_lo, s0
	v_dual_add_f64 v[98:99], v[64:65], -v[2:3] :: v_dual_bitop2_b32 v97, 31, v1 bitop3:0x54
	v_dual_add_f64 v[106:107], v[8:9], -v[10:11] :: v_dual_bitop2_b32 v125, 29, v1 bitop3:0x54
	;; [unrolled: 1-line block ×3, first 2 shown]
	s_wait_kmcnt 0x0
	s_delay_alu instid0(VALU_DEP_3)
	v_cmp_gt_u32_e64 s4, s11, v97
	v_add_f64_e64 v[100:101], v[2:3], -v[4:5]
	v_add_f64_e64 v[104:105], v[6:7], -v[8:9]
	v_cmp_gt_u32_e64 s6, s11, v125
	v_add_f64_e64 v[108:109], v[10:11], -v[12:13]
	v_cmp_gt_u32_e64 s0, s11, v69
	;; [unrolled: 2-line block ×3, first 2 shown]
	v_add_f64_e64 v[112:113], v[14:15], -v[16:17]
	v_dual_add_f64 v[110:111], v[12:13], -v[14:15] :: v_dual_bitop2_b32 v126, 28, v1 bitop3:0x54
	v_cmp_gt_u32_e64 s1, s11, v70
	v_add_f64_e64 v[120:121], v[22:23], -v[24:25]
	v_cmp_gt_u32_e64 s2, s11, v71
	v_cmp_gt_u32_e64 s3, s11, v72
	;; [unrolled: 1-line block ×3, first 2 shown]
	v_add_f64_e64 v[124:125], v[26:27], -v[28:29]
	v_add_f64_e64 v[158:159], v[54:55], -v[56:57]
	s_add_co_i32 s10, s10, -1
	s_wait_dscnt 0x0
	s_barrier_signal -1
	s_barrier_wait -1
	v_add_f64_e64 v[130:131], v[32:33], -v[34:35]
	v_add_f64_e64 v[134:135], v[36:37], -v[38:39]
	v_dual_add_f64 v[132:133], v[34:35], -v[36:37] :: v_dual_cndmask_b32 v99, v65, v99, s4
	v_add_f64_e64 v[114:115], v[16:17], -v[18:19]
	v_add_f64_e64 v[118:119], v[20:21], -v[22:23]
	v_cndmask_b32_e64 v98, v64, v98, s4
	v_add_f64_e64 v[122:123], v[24:25], -v[26:27]
	v_dual_cndmask_b32 v103, v5, v103, s6 :: v_dual_cndmask_b32 v102, v4, v102, s6
	v_dual_cndmask_b32 v101, v3, v101, s5 :: v_dual_cndmask_b32 v104, v6, v104, s7
	;; [unrolled: 1-line block ×4, first 2 shown]
	v_dual_add_f64 v[126:127], v[28:29], -v[30:31] :: v_dual_cndmask_b32 v113, v15, v113, s3
	v_cmp_gt_u32_e64 s0, s11, v73
	v_add_f64_e64 v[128:129], v[30:31], -v[32:33]
	v_cmp_gt_u32_e64 s1, s11, v74
	v_dual_cndmask_b32 v100, v2, v100, s5 :: v_dual_cndmask_b32 v105, v7, v105, s7
	v_dual_cndmask_b32 v112, v14, v112, s3 :: v_dual_cndmask_b32 v111, v13, v111, s2
	s_delay_alu instid0(VALU_DEP_3) | instskip(SKIP_1) | instid1(VALU_DEP_3)
	v_dual_cndmask_b32 v117, v19, v117, s1 :: v_dual_cndmask_b32 v110, v12, v110, s2
	v_cmp_gt_u32_e64 s2, s11, v79
	v_add_f64_e32 v[14:15], v[14:15], v[112:113]
	v_add_f64_e32 v[10:11], v[10:11], v[108:109]
	;; [unrolled: 1-line block ×8, first 2 shown]
	v_dual_cndmask_b32 v115, v17, v115, s0 :: v_dual_cndmask_b32 v114, v16, v114, s0
	v_cmp_gt_u32_e64 s0, s11, v75
	v_cndmask_b32_e64 v116, v18, v116, s1
	v_cmp_gt_u32_e64 s1, s11, v76
	v_add_f64_e64 v[138:139], v[40:41], -v[42:43]
	s_delay_alu instid0(VALU_DEP_4)
	v_dual_add_f64 v[136:137], v[38:39], -v[40:41] :: v_dual_cndmask_b32 v118, v20, v118, s0
	v_cndmask_b32_e64 v119, v21, v119, s0
	v_cmp_gt_u32_e64 s0, s11, v77
	v_add_f64_e64 v[144:145], v[46:47], -v[48:49]
	v_dual_cndmask_b32 v121, v23, v121, s1 :: v_dual_cndmask_b32 v120, v22, v120, s1
	v_add_f64_e64 v[142:143], v[44:45], -v[46:47]
	s_delay_alu instid0(VALU_DEP_4) | instskip(SKIP_4) | instid1(VALU_DEP_4)
	v_dual_add_f64 v[140:141], v[42:43], -v[44:45] :: v_dual_cndmask_b32 v123, v25, v123, s0
	v_cmp_gt_u32_e64 s1, s11, v78
	v_cndmask_b32_e64 v122, v24, v122, s0
	v_cmp_gt_u32_e64 s0, s11, v80
	v_dual_cndmask_b32 v127, v29, v127, s2 :: v_dual_cndmask_b32 v126, v28, v126, s2
	v_dual_cndmask_b32 v125, v27, v125, s1 :: v_dual_cndmask_b32 v124, v26, v124, s1
	v_cmp_gt_u32_e64 s1, s11, v81
	s_delay_alu instid0(VALU_DEP_4) | instskip(SKIP_4) | instid1(VALU_DEP_3)
	v_dual_add_f64 v[146:147], v[48:49], -v[50:51] :: v_dual_cndmask_b32 v129, v31, v129, s0
	v_cndmask_b32_e64 v128, v30, v128, s0
	v_cmp_gt_u32_e64 s0, s11, v82
	v_cmp_gt_u32_e64 s2, s11, v85
	v_dual_add_f64 v[148:149], v[50:51], -v[52:53] :: v_dual_cndmask_b32 v130, v32, v130, s1
	v_dual_add_f64 v[150:151], v[52:53], -v[54:55] :: v_dual_cndmask_b32 v133, v35, v133, s0
	;; [unrolled: 1-line block ×3, first 2 shown]
	v_cmp_gt_u32_e64 s0, s11, v83
	v_cndmask_b32_e64 v131, v33, v131, s1
	v_dual_cndmask_b32 v139, v41, v139, s2 :: v_dual_cndmask_b32 v138, v40, v138, s2
	v_cmp_gt_u32_e64 s2, s11, v88
	v_cmp_gt_u32_e64 s1, s11, v84
	v_dual_add_f64 v[154:155], v[58:59], -v[60:61] :: v_dual_cndmask_b32 v135, v37, v135, s0
	s_delay_alu instid0(VALU_DEP_3)
	v_dual_add_f64 v[156:157], v[60:61], -v[62:63] :: v_dual_cndmask_b32 v145, v47, v145, s2
	v_cndmask_b32_e64 v144, v46, v144, s2
	v_cmp_gt_u32_e64 s2, s11, v93
	v_add_f64_e64 v[66:67], v[62:63], -v[66:67]
	v_dual_cndmask_b32 v134, v36, v134, s0 :: v_dual_cndmask_b32 v136, v38, v136, s1
	v_cmp_gt_u32_e64 s0, s11, v86
	v_cndmask_b32_e64 v137, v39, v137, s1
	v_cmp_gt_u32_e64 s1, s11, v87
	v_add_f64_e32 v[46:47], v[46:47], v[144:145]
	s_delay_alu instid0(VALU_DEP_4) | instskip(SKIP_4) | instid1(VALU_DEP_3)
	v_dual_add_f64 v[40:41], v[40:41], v[138:139] :: v_dual_cndmask_b32 v141, v43, v141, s0
	v_cndmask_b32_e64 v140, v42, v140, s0
	v_cmp_gt_u32_e64 s0, s11, v89
	v_dual_cndmask_b32 v143, v45, v143, s1 :: v_dual_cndmask_b32 v142, v44, v142, s1
	v_cmp_gt_u32_e64 s1, s11, v90
	v_dual_add_f64 v[42:43], v[42:43], v[140:141] :: v_dual_cndmask_b32 v147, v49, v147, s0
	v_cndmask_b32_e64 v146, v48, v146, s0
	v_cmp_gt_u32_e64 s0, s11, v91
	s_delay_alu instid0(VALU_DEP_4) | instskip(SKIP_2) | instid1(VALU_DEP_4)
	v_dual_cndmask_b32 v149, v51, v149, s1 :: v_dual_cndmask_b32 v148, v50, v148, s1
	v_cndmask_b32_e64 v153, v57, v153, s2
	v_cmp_gt_u32_e64 s1, s11, v95
	v_dual_cndmask_b32 v151, v53, v151, s0 :: v_dual_cndmask_b32 v150, v52, v150, s0
	v_cmp_gt_u32_e64 s0, s11, v1
	v_cndmask_b32_e64 v152, v56, v152, s2
	v_cmp_gt_u32_e64 s2, s11, v94
	v_add_f64_e32 v[50:51], v[50:51], v[148:149]
	v_dual_cndmask_b32 v157, v61, v157, s1 :: v_dual_cndmask_b32 v156, v60, v156, s1
	v_add_f64_e32 v[52:53], v[52:53], v[150:151]
	s_delay_alu instid0(VALU_DEP_4) | instskip(SKIP_4) | instid1(VALU_DEP_4)
	v_cndmask_b32_e64 v155, v59, v155, s2
	v_dual_cndmask_b32 v67, v63, v67, s0 :: v_dual_cndmask_b32 v66, v62, v66, s0
	v_cmp_gt_u32_e64 s0, s11, v92
	v_dual_add_f64 v[60:61], v[60:61], v[156:157] :: v_dual_cndmask_b32 v154, v58, v154, s2
	v_add_f64_e32 v[56:57], v[56:57], v[152:153]
	v_add_f64_e32 v[62:63], v[62:63], v[66:67]
	s_delay_alu instid0(VALU_DEP_4) | instskip(NEXT) | instid1(VALU_DEP_4)
	v_dual_cndmask_b32 v159, v55, v159, s0 :: v_dual_cndmask_b32 v158, v54, v158, s0
	v_add_f64_e32 v[58:59], v[58:59], v[154:155]
	v_add_f64_e32 v[48:49], v[48:49], v[146:147]
	;; [unrolled: 1-line block ×16, first 2 shown]
	s_add_co_i32 s0, s14, s11
	s_delay_alu instid0(SALU_CYCLE_1)
	s_and_b32 s11, s0, 0x1fff
	s_cmp_lg_u32 s10, 0
	s_cbranch_scc0 .LBB179_4
.LBB179_2:                              ; =>This Inner Loop Header: Depth=1
	v_mov_b64_e32 v[66:67], 0x405ec00000000000
	s_wait_loadcnt 0x0
	ds_store_b64 v68, v[64:65]
	s_wait_dscnt 0x0
	s_barrier_signal -1
	s_barrier_wait -1
	s_and_saveexec_b32 s0, vcc_lo
	s_cbranch_execz .LBB179_1
; %bb.3:                                ;   in Loop: Header=BB179_2 Depth=1
	ds_load_b64 v[66:67], v96
	s_branch .LBB179_1
.LBB179_4:
	s_add_nc_u64 s[0:1], s[8:9], s[12:13]
	s_clause 0x1f
	global_store_b64 v0, v[62:63], s[0:1] scale_offset
	global_store_b64 v0, v[60:61], s[0:1] offset:2048 scale_offset
	global_store_b64 v0, v[58:59], s[0:1] offset:4096 scale_offset
	;; [unrolled: 1-line block ×31, first 2 shown]
	s_sendmsg sendmsg(MSG_DEALLOC_VGPRS)
	s_endpgm
	.section	.rodata,"a",@progbits
	.p2align	6, 0x0
	.amdhsa_kernel _Z6kernelI26subtract_left_partial_tileLj256ELj32ELb1EJPdPiS1_jEEvDpT3_
		.amdhsa_group_segment_fixed_size 4096
		.amdhsa_private_segment_fixed_size 0
		.amdhsa_kernarg_size 28
		.amdhsa_user_sgpr_count 2
		.amdhsa_user_sgpr_dispatch_ptr 0
		.amdhsa_user_sgpr_queue_ptr 0
		.amdhsa_user_sgpr_kernarg_segment_ptr 1
		.amdhsa_user_sgpr_dispatch_id 0
		.amdhsa_user_sgpr_kernarg_preload_length 0
		.amdhsa_user_sgpr_kernarg_preload_offset 0
		.amdhsa_user_sgpr_private_segment_size 0
		.amdhsa_wavefront_size32 1
		.amdhsa_uses_dynamic_stack 0
		.amdhsa_enable_private_segment 0
		.amdhsa_system_sgpr_workgroup_id_x 1
		.amdhsa_system_sgpr_workgroup_id_y 0
		.amdhsa_system_sgpr_workgroup_id_z 0
		.amdhsa_system_sgpr_workgroup_info 0
		.amdhsa_system_vgpr_workitem_id 0
		.amdhsa_next_free_vgpr 160
		.amdhsa_next_free_sgpr 15
		.amdhsa_named_barrier_count 0
		.amdhsa_reserve_vcc 1
		.amdhsa_float_round_mode_32 0
		.amdhsa_float_round_mode_16_64 0
		.amdhsa_float_denorm_mode_32 3
		.amdhsa_float_denorm_mode_16_64 3
		.amdhsa_fp16_overflow 0
		.amdhsa_memory_ordered 1
		.amdhsa_forward_progress 1
		.amdhsa_inst_pref_size 19
		.amdhsa_round_robin_scheduling 0
		.amdhsa_exception_fp_ieee_invalid_op 0
		.amdhsa_exception_fp_denorm_src 0
		.amdhsa_exception_fp_ieee_div_zero 0
		.amdhsa_exception_fp_ieee_overflow 0
		.amdhsa_exception_fp_ieee_underflow 0
		.amdhsa_exception_fp_ieee_inexact 0
		.amdhsa_exception_int_div_zero 0
	.end_amdhsa_kernel
	.section	.text._Z6kernelI26subtract_left_partial_tileLj256ELj32ELb1EJPdPiS1_jEEvDpT3_,"axG",@progbits,_Z6kernelI26subtract_left_partial_tileLj256ELj32ELb1EJPdPiS1_jEEvDpT3_,comdat
.Lfunc_end179:
	.size	_Z6kernelI26subtract_left_partial_tileLj256ELj32ELb1EJPdPiS1_jEEvDpT3_, .Lfunc_end179-_Z6kernelI26subtract_left_partial_tileLj256ELj32ELb1EJPdPiS1_jEEvDpT3_
                                        ; -- End function
	.set _Z6kernelI26subtract_left_partial_tileLj256ELj32ELb1EJPdPiS1_jEEvDpT3_.num_vgpr, 160
	.set _Z6kernelI26subtract_left_partial_tileLj256ELj32ELb1EJPdPiS1_jEEvDpT3_.num_agpr, 0
	.set _Z6kernelI26subtract_left_partial_tileLj256ELj32ELb1EJPdPiS1_jEEvDpT3_.numbered_sgpr, 15
	.set _Z6kernelI26subtract_left_partial_tileLj256ELj32ELb1EJPdPiS1_jEEvDpT3_.num_named_barrier, 0
	.set _Z6kernelI26subtract_left_partial_tileLj256ELj32ELb1EJPdPiS1_jEEvDpT3_.private_seg_size, 0
	.set _Z6kernelI26subtract_left_partial_tileLj256ELj32ELb1EJPdPiS1_jEEvDpT3_.uses_vcc, 1
	.set _Z6kernelI26subtract_left_partial_tileLj256ELj32ELb1EJPdPiS1_jEEvDpT3_.uses_flat_scratch, 0
	.set _Z6kernelI26subtract_left_partial_tileLj256ELj32ELb1EJPdPiS1_jEEvDpT3_.has_dyn_sized_stack, 0
	.set _Z6kernelI26subtract_left_partial_tileLj256ELj32ELb1EJPdPiS1_jEEvDpT3_.has_recursion, 0
	.set _Z6kernelI26subtract_left_partial_tileLj256ELj32ELb1EJPdPiS1_jEEvDpT3_.has_indirect_call, 0
	.section	.AMDGPU.csdata,"",@progbits
; Kernel info:
; codeLenInByte = 2308
; TotalNumSgprs: 17
; NumVgprs: 160
; ScratchSize: 0
; MemoryBound: 0
; FloatMode: 240
; IeeeMode: 1
; LDSByteSize: 4096 bytes/workgroup (compile time only)
; SGPRBlocks: 0
; VGPRBlocks: 9
; NumSGPRsForWavesPerEU: 17
; NumVGPRsForWavesPerEU: 160
; NamedBarCnt: 0
; Occupancy: 6
; WaveLimiterHint : 1
; COMPUTE_PGM_RSRC2:SCRATCH_EN: 0
; COMPUTE_PGM_RSRC2:USER_SGPR: 2
; COMPUTE_PGM_RSRC2:TRAP_HANDLER: 0
; COMPUTE_PGM_RSRC2:TGID_X_EN: 1
; COMPUTE_PGM_RSRC2:TGID_Y_EN: 0
; COMPUTE_PGM_RSRC2:TGID_Z_EN: 0
; COMPUTE_PGM_RSRC2:TIDIG_COMP_CNT: 0
	.section	.text._Z6kernelI27subtract_right_partial_tileLj256ELj1ELb0EJPiS1_S1_jEEvDpT3_,"axG",@progbits,_Z6kernelI27subtract_right_partial_tileLj256ELj1ELb0EJPiS1_S1_jEEvDpT3_,comdat
	.protected	_Z6kernelI27subtract_right_partial_tileLj256ELj1ELb0EJPiS1_S1_jEEvDpT3_ ; -- Begin function _Z6kernelI27subtract_right_partial_tileLj256ELj1ELb0EJPiS1_S1_jEEvDpT3_
	.globl	_Z6kernelI27subtract_right_partial_tileLj256ELj1ELb0EJPiS1_S1_jEEvDpT3_
	.p2align	8
	.type	_Z6kernelI27subtract_right_partial_tileLj256ELj1ELb0EJPiS1_S1_jEEvDpT3_,@function
_Z6kernelI27subtract_right_partial_tileLj256ELj1ELb0EJPiS1_S1_jEEvDpT3_: ; @_Z6kernelI27subtract_right_partial_tileLj256ELj1ELb0EJPiS1_S1_jEEvDpT3_
; %bb.0:
	s_load_b128 s[8:11], s[0:1], 0x0
	s_bfe_u32 s2, ttmp6, 0x4000c
	s_and_b32 s3, ttmp6, 15
	s_add_co_i32 s2, s2, 1
	s_getreg_b32 s4, hwreg(HW_REG_IB_STS2, 6, 4)
	s_mul_i32 s2, ttmp9, s2
	v_add_nc_u32_e32 v3, 1, v0
	s_add_co_i32 s3, s3, s2
	s_cmp_eq_u32 s4, 0
	s_cselect_b32 s12, ttmp9, s3
	s_mov_b32 s3, 0
	s_lshl_b32 s2, s12, 8
	s_delay_alu instid0(SALU_CYCLE_1)
	s_lshl_b64 s[4:5], s[2:3], 2
	s_wait_xcnt 0x0
	s_load_b96 s[0:2], s[0:1], 0x10
	s_wait_kmcnt 0x0
	s_add_nc_u64 s[6:7], s[8:9], s[4:5]
	global_load_b32 v1, v0, s[6:7] scale_offset
	s_cvt_f32_u32 s3, s2
	s_wait_xcnt 0x0
	s_sub_co_i32 s6, 0, s2
	s_delay_alu instid0(SALU_CYCLE_1) | instskip(SKIP_1) | instid1(TRANS32_DEP_1)
	v_rcp_iflag_f32_e32 v2, s3
	v_nop
	v_readfirstlane_b32 s3, v2
	v_lshlrev_b32_e32 v2, 2, v0
	s_mul_f32 s3, s3, 0x4f7ffffe
	s_delay_alu instid0(SALU_CYCLE_3) | instskip(NEXT) | instid1(SALU_CYCLE_3)
	s_cvt_u32_f32 s3, s3
	s_mul_i32 s6, s6, s3
	s_delay_alu instid0(SALU_CYCLE_1) | instskip(NEXT) | instid1(SALU_CYCLE_1)
	s_mul_hi_u32 s6, s3, s6
	s_add_co_i32 s6, s3, s6
	s_load_b32 s3, s[10:11], s12 offset:0x0 scale_offset
	s_lshr_b32 s6, s6, 24
	s_delay_alu instid0(SALU_CYCLE_1) | instskip(SKIP_2) | instid1(SALU_CYCLE_1)
	s_mul_i32 s7, s6, s2
	s_add_co_i32 s8, s6, 1
	s_sub_co_i32 s7, 0x100, s7
	s_sub_co_i32 s9, s7, s2
	s_cmp_ge_u32 s7, s2
	s_cselect_b32 s6, s8, s6
	s_cselect_b32 s7, s9, s7
	s_add_co_i32 s8, s6, 1
	s_cmp_ge_u32 s7, s2
	s_cselect_b32 s6, s8, s6
	s_delay_alu instid0(SALU_CYCLE_1)
	s_add_co_i32 s6, s6, 1
	s_branch .LBB180_2
.LBB180_1:                              ;   in Loop: Header=BB180_2 Depth=1
	s_or_b32 exec_lo, exec_lo, s7
	s_add_co_i32 s3, s6, s3
	s_delay_alu instid0(VALU_DEP_1)
	v_add_nc_u32_e32 v1, v4, v1
	s_add_co_i32 s2, s2, -1
	s_and_b32 s3, s3, 0xff
	s_cmp_lg_u32 s2, 0
	s_barrier_signal -1
	s_barrier_wait -1
	s_cbranch_scc0 .LBB180_4
.LBB180_2:                              ; =>This Inner Loop Header: Depth=1
	s_wait_loadcnt 0x0
	v_mov_b32_e32 v4, v1
	s_mov_b32 s7, exec_lo
	ds_store_b32 v2, v1 offset:1024
	s_wait_dscnt 0x0
	s_barrier_signal -1
	s_barrier_wait -1
	s_wait_kmcnt 0x0
	v_cmpx_gt_u32_e64 s3, v3
	s_cbranch_execz .LBB180_1
; %bb.3:                                ;   in Loop: Header=BB180_2 Depth=1
	ds_load_b32 v4, v2 offset:1028
	s_wait_dscnt 0x0
	v_sub_nc_u32_e32 v4, v1, v4
	s_branch .LBB180_1
.LBB180_4:
	s_add_nc_u64 s[0:1], s[0:1], s[4:5]
	global_store_b32 v0, v1, s[0:1] scale_offset
	s_endpgm
	.section	.rodata,"a",@progbits
	.p2align	6, 0x0
	.amdhsa_kernel _Z6kernelI27subtract_right_partial_tileLj256ELj1ELb0EJPiS1_S1_jEEvDpT3_
		.amdhsa_group_segment_fixed_size 2048
		.amdhsa_private_segment_fixed_size 0
		.amdhsa_kernarg_size 28
		.amdhsa_user_sgpr_count 2
		.amdhsa_user_sgpr_dispatch_ptr 0
		.amdhsa_user_sgpr_queue_ptr 0
		.amdhsa_user_sgpr_kernarg_segment_ptr 1
		.amdhsa_user_sgpr_dispatch_id 0
		.amdhsa_user_sgpr_kernarg_preload_length 0
		.amdhsa_user_sgpr_kernarg_preload_offset 0
		.amdhsa_user_sgpr_private_segment_size 0
		.amdhsa_wavefront_size32 1
		.amdhsa_uses_dynamic_stack 0
		.amdhsa_enable_private_segment 0
		.amdhsa_system_sgpr_workgroup_id_x 1
		.amdhsa_system_sgpr_workgroup_id_y 0
		.amdhsa_system_sgpr_workgroup_id_z 0
		.amdhsa_system_sgpr_workgroup_info 0
		.amdhsa_system_vgpr_workitem_id 0
		.amdhsa_next_free_vgpr 5
		.amdhsa_next_free_sgpr 13
		.amdhsa_named_barrier_count 0
		.amdhsa_reserve_vcc 0
		.amdhsa_float_round_mode_32 0
		.amdhsa_float_round_mode_16_64 0
		.amdhsa_float_denorm_mode_32 3
		.amdhsa_float_denorm_mode_16_64 3
		.amdhsa_fp16_overflow 0
		.amdhsa_memory_ordered 1
		.amdhsa_forward_progress 1
		.amdhsa_inst_pref_size 3
		.amdhsa_round_robin_scheduling 0
		.amdhsa_exception_fp_ieee_invalid_op 0
		.amdhsa_exception_fp_denorm_src 0
		.amdhsa_exception_fp_ieee_div_zero 0
		.amdhsa_exception_fp_ieee_overflow 0
		.amdhsa_exception_fp_ieee_underflow 0
		.amdhsa_exception_fp_ieee_inexact 0
		.amdhsa_exception_int_div_zero 0
	.end_amdhsa_kernel
	.section	.text._Z6kernelI27subtract_right_partial_tileLj256ELj1ELb0EJPiS1_S1_jEEvDpT3_,"axG",@progbits,_Z6kernelI27subtract_right_partial_tileLj256ELj1ELb0EJPiS1_S1_jEEvDpT3_,comdat
.Lfunc_end180:
	.size	_Z6kernelI27subtract_right_partial_tileLj256ELj1ELb0EJPiS1_S1_jEEvDpT3_, .Lfunc_end180-_Z6kernelI27subtract_right_partial_tileLj256ELj1ELb0EJPiS1_S1_jEEvDpT3_
                                        ; -- End function
	.set _Z6kernelI27subtract_right_partial_tileLj256ELj1ELb0EJPiS1_S1_jEEvDpT3_.num_vgpr, 5
	.set _Z6kernelI27subtract_right_partial_tileLj256ELj1ELb0EJPiS1_S1_jEEvDpT3_.num_agpr, 0
	.set _Z6kernelI27subtract_right_partial_tileLj256ELj1ELb0EJPiS1_S1_jEEvDpT3_.numbered_sgpr, 13
	.set _Z6kernelI27subtract_right_partial_tileLj256ELj1ELb0EJPiS1_S1_jEEvDpT3_.num_named_barrier, 0
	.set _Z6kernelI27subtract_right_partial_tileLj256ELj1ELb0EJPiS1_S1_jEEvDpT3_.private_seg_size, 0
	.set _Z6kernelI27subtract_right_partial_tileLj256ELj1ELb0EJPiS1_S1_jEEvDpT3_.uses_vcc, 0
	.set _Z6kernelI27subtract_right_partial_tileLj256ELj1ELb0EJPiS1_S1_jEEvDpT3_.uses_flat_scratch, 0
	.set _Z6kernelI27subtract_right_partial_tileLj256ELj1ELb0EJPiS1_S1_jEEvDpT3_.has_dyn_sized_stack, 0
	.set _Z6kernelI27subtract_right_partial_tileLj256ELj1ELb0EJPiS1_S1_jEEvDpT3_.has_recursion, 0
	.set _Z6kernelI27subtract_right_partial_tileLj256ELj1ELb0EJPiS1_S1_jEEvDpT3_.has_indirect_call, 0
	.section	.AMDGPU.csdata,"",@progbits
; Kernel info:
; codeLenInByte = 364
; TotalNumSgprs: 13
; NumVgprs: 5
; ScratchSize: 0
; MemoryBound: 0
; FloatMode: 240
; IeeeMode: 1
; LDSByteSize: 2048 bytes/workgroup (compile time only)
; SGPRBlocks: 0
; VGPRBlocks: 0
; NumSGPRsForWavesPerEU: 13
; NumVGPRsForWavesPerEU: 5
; NamedBarCnt: 0
; Occupancy: 16
; WaveLimiterHint : 0
; COMPUTE_PGM_RSRC2:SCRATCH_EN: 0
; COMPUTE_PGM_RSRC2:USER_SGPR: 2
; COMPUTE_PGM_RSRC2:TRAP_HANDLER: 0
; COMPUTE_PGM_RSRC2:TGID_X_EN: 1
; COMPUTE_PGM_RSRC2:TGID_Y_EN: 0
; COMPUTE_PGM_RSRC2:TGID_Z_EN: 0
; COMPUTE_PGM_RSRC2:TIDIG_COMP_CNT: 0
	.section	.text._Z6kernelI27subtract_right_partial_tileLj256ELj3ELb0EJPiS1_S1_jEEvDpT3_,"axG",@progbits,_Z6kernelI27subtract_right_partial_tileLj256ELj3ELb0EJPiS1_S1_jEEvDpT3_,comdat
	.protected	_Z6kernelI27subtract_right_partial_tileLj256ELj3ELb0EJPiS1_S1_jEEvDpT3_ ; -- Begin function _Z6kernelI27subtract_right_partial_tileLj256ELj3ELb0EJPiS1_S1_jEEvDpT3_
	.globl	_Z6kernelI27subtract_right_partial_tileLj256ELj3ELb0EJPiS1_S1_jEEvDpT3_
	.p2align	8
	.type	_Z6kernelI27subtract_right_partial_tileLj256ELj3ELb0EJPiS1_S1_jEEvDpT3_,@function
_Z6kernelI27subtract_right_partial_tileLj256ELj3ELb0EJPiS1_S1_jEEvDpT3_: ; @_Z6kernelI27subtract_right_partial_tileLj256ELj3ELb0EJPiS1_S1_jEEvDpT3_
; %bb.0:
	s_load_b128 s[8:11], s[0:1], 0x0
	s_bfe_u32 s2, ttmp6, 0x4000c
	s_and_b32 s3, ttmp6, 15
	s_add_co_i32 s2, s2, 1
	s_getreg_b32 s4, hwreg(HW_REG_IB_STS2, 6, 4)
	s_mul_i32 s2, ttmp9, s2
	v_mad_u32_u24 v5, v0, 3, 1
	s_add_co_i32 s3, s3, s2
	s_cmp_eq_u32 s4, 0
	v_mad_u32_u24 v6, v0, 3, 2
	s_cselect_b32 s12, ttmp9, s3
	s_mov_b32 s3, 0
	s_mul_i32 s2, s12, 0x300
	v_mad_u32_u24 v7, v0, 3, 3
	s_lshl_b64 s[4:5], s[2:3], 2
	s_wait_xcnt 0x0
	s_load_b96 s[0:2], s[0:1], 0x10
	s_wait_kmcnt 0x0
	s_add_nc_u64 s[6:7], s[8:9], s[4:5]
	s_clause 0x2
	global_load_b32 v1, v0, s[6:7] scale_offset
	global_load_b32 v2, v0, s[6:7] offset:1024 scale_offset
	global_load_b32 v3, v0, s[6:7] offset:2048 scale_offset
	s_cvt_f32_u32 s3, s2
	s_wait_xcnt 0x0
	s_sub_co_i32 s6, 0, s2
	s_delay_alu instid0(SALU_CYCLE_1) | instskip(SKIP_1) | instid1(TRANS32_DEP_1)
	v_rcp_iflag_f32_e32 v4, s3
	v_nop
	v_readfirstlane_b32 s3, v4
	v_lshlrev_b32_e32 v4, 2, v0
	s_mul_f32 s3, s3, 0x4f7ffffe
	s_delay_alu instid0(SALU_CYCLE_3) | instskip(NEXT) | instid1(SALU_CYCLE_3)
	s_cvt_u32_f32 s3, s3
	s_mul_i32 s6, s6, s3
	s_delay_alu instid0(SALU_CYCLE_1) | instskip(NEXT) | instid1(SALU_CYCLE_1)
	s_mul_hi_u32 s6, s3, s6
	s_add_co_i32 s3, s3, s6
	s_delay_alu instid0(SALU_CYCLE_1) | instskip(SKIP_4) | instid1(SALU_CYCLE_1)
	s_mul_hi_u32 s6, s3, 0x300
	s_load_b32 s3, s[10:11], s12 offset:0x0 scale_offset
	s_mul_i32 s7, s6, s2
	s_add_co_i32 s8, s6, 1
	s_sub_co_i32 s7, 0x300, s7
	s_sub_co_i32 s9, s7, s2
	s_cmp_ge_u32 s7, s2
	s_cselect_b32 s6, s8, s6
	s_cselect_b32 s7, s9, s7
	s_add_co_i32 s8, s6, 1
	s_cmp_ge_u32 s7, s2
	s_cselect_b32 s6, s8, s6
	s_delay_alu instid0(SALU_CYCLE_1)
	s_add_co_i32 s6, s6, 1
	s_branch .LBB181_2
.LBB181_1:                              ;   in Loop: Header=BB181_2 Depth=1
	s_or_b32 exec_lo, exec_lo, s7
	s_add_co_i32 s3, s6, s3
	v_dual_add_nc_u32 v1, v8, v1 :: v_dual_add_nc_u32 v2, v9, v2
	s_mul_hi_u32 s7, s3, 0xaaaaaaab
	v_add_nc_u32_e32 v3, v10, v3
	s_lshr_b32 s7, s7, 9
	s_add_co_i32 s2, s2, -1
	s_mulk_i32 s7, 0x300
	s_delay_alu instid0(SALU_CYCLE_1)
	s_sub_co_i32 s3, s3, s7
	s_cmp_lg_u32 s2, 0
	s_barrier_signal -1
	s_barrier_wait -1
	s_cbranch_scc0 .LBB181_4
.LBB181_2:                              ; =>This Inner Loop Header: Depth=1
	s_wait_loadcnt 0x0
	v_dual_sub_nc_u32 v8, v1, v2 :: v_dual_sub_nc_u32 v9, v2, v3
	s_wait_kmcnt 0x0
	v_cmp_gt_u32_e32 vcc_lo, s3, v5
	v_mov_b32_e32 v10, v3
	s_mov_b32 s7, exec_lo
	ds_store_b32 v4, v1 offset:1024
	s_wait_dscnt 0x0
	v_cndmask_b32_e32 v8, v1, v8, vcc_lo
	v_cmp_gt_u32_e32 vcc_lo, s3, v6
	s_barrier_signal -1
	s_barrier_wait -1
	v_cndmask_b32_e32 v9, v2, v9, vcc_lo
	v_cmpx_gt_u32_e64 s3, v7
	s_cbranch_execz .LBB181_1
; %bb.3:                                ;   in Loop: Header=BB181_2 Depth=1
	ds_load_b32 v10, v4 offset:1028
	s_wait_dscnt 0x0
	v_sub_nc_u32_e32 v10, v3, v10
	s_branch .LBB181_1
.LBB181_4:
	s_add_nc_u64 s[0:1], s[0:1], s[4:5]
	s_clause 0x2
	global_store_b32 v0, v1, s[0:1] scale_offset
	global_store_b32 v0, v2, s[0:1] offset:1024 scale_offset
	global_store_b32 v0, v3, s[0:1] offset:2048 scale_offset
	s_endpgm
	.section	.rodata,"a",@progbits
	.p2align	6, 0x0
	.amdhsa_kernel _Z6kernelI27subtract_right_partial_tileLj256ELj3ELb0EJPiS1_S1_jEEvDpT3_
		.amdhsa_group_segment_fixed_size 2048
		.amdhsa_private_segment_fixed_size 0
		.amdhsa_kernarg_size 28
		.amdhsa_user_sgpr_count 2
		.amdhsa_user_sgpr_dispatch_ptr 0
		.amdhsa_user_sgpr_queue_ptr 0
		.amdhsa_user_sgpr_kernarg_segment_ptr 1
		.amdhsa_user_sgpr_dispatch_id 0
		.amdhsa_user_sgpr_kernarg_preload_length 0
		.amdhsa_user_sgpr_kernarg_preload_offset 0
		.amdhsa_user_sgpr_private_segment_size 0
		.amdhsa_wavefront_size32 1
		.amdhsa_uses_dynamic_stack 0
		.amdhsa_enable_private_segment 0
		.amdhsa_system_sgpr_workgroup_id_x 1
		.amdhsa_system_sgpr_workgroup_id_y 0
		.amdhsa_system_sgpr_workgroup_id_z 0
		.amdhsa_system_sgpr_workgroup_info 0
		.amdhsa_system_vgpr_workitem_id 0
		.amdhsa_next_free_vgpr 11
		.amdhsa_next_free_sgpr 13
		.amdhsa_named_barrier_count 0
		.amdhsa_reserve_vcc 1
		.amdhsa_float_round_mode_32 0
		.amdhsa_float_round_mode_16_64 0
		.amdhsa_float_denorm_mode_32 3
		.amdhsa_float_denorm_mode_16_64 3
		.amdhsa_fp16_overflow 0
		.amdhsa_memory_ordered 1
		.amdhsa_forward_progress 1
		.amdhsa_inst_pref_size 4
		.amdhsa_round_robin_scheduling 0
		.amdhsa_exception_fp_ieee_invalid_op 0
		.amdhsa_exception_fp_denorm_src 0
		.amdhsa_exception_fp_ieee_div_zero 0
		.amdhsa_exception_fp_ieee_overflow 0
		.amdhsa_exception_fp_ieee_underflow 0
		.amdhsa_exception_fp_ieee_inexact 0
		.amdhsa_exception_int_div_zero 0
	.end_amdhsa_kernel
	.section	.text._Z6kernelI27subtract_right_partial_tileLj256ELj3ELb0EJPiS1_S1_jEEvDpT3_,"axG",@progbits,_Z6kernelI27subtract_right_partial_tileLj256ELj3ELb0EJPiS1_S1_jEEvDpT3_,comdat
.Lfunc_end181:
	.size	_Z6kernelI27subtract_right_partial_tileLj256ELj3ELb0EJPiS1_S1_jEEvDpT3_, .Lfunc_end181-_Z6kernelI27subtract_right_partial_tileLj256ELj3ELb0EJPiS1_S1_jEEvDpT3_
                                        ; -- End function
	.set _Z6kernelI27subtract_right_partial_tileLj256ELj3ELb0EJPiS1_S1_jEEvDpT3_.num_vgpr, 11
	.set _Z6kernelI27subtract_right_partial_tileLj256ELj3ELb0EJPiS1_S1_jEEvDpT3_.num_agpr, 0
	.set _Z6kernelI27subtract_right_partial_tileLj256ELj3ELb0EJPiS1_S1_jEEvDpT3_.numbered_sgpr, 13
	.set _Z6kernelI27subtract_right_partial_tileLj256ELj3ELb0EJPiS1_S1_jEEvDpT3_.num_named_barrier, 0
	.set _Z6kernelI27subtract_right_partial_tileLj256ELj3ELb0EJPiS1_S1_jEEvDpT3_.private_seg_size, 0
	.set _Z6kernelI27subtract_right_partial_tileLj256ELj3ELb0EJPiS1_S1_jEEvDpT3_.uses_vcc, 1
	.set _Z6kernelI27subtract_right_partial_tileLj256ELj3ELb0EJPiS1_S1_jEEvDpT3_.uses_flat_scratch, 0
	.set _Z6kernelI27subtract_right_partial_tileLj256ELj3ELb0EJPiS1_S1_jEEvDpT3_.has_dyn_sized_stack, 0
	.set _Z6kernelI27subtract_right_partial_tileLj256ELj3ELb0EJPiS1_S1_jEEvDpT3_.has_recursion, 0
	.set _Z6kernelI27subtract_right_partial_tileLj256ELj3ELb0EJPiS1_S1_jEEvDpT3_.has_indirect_call, 0
	.section	.AMDGPU.csdata,"",@progbits
; Kernel info:
; codeLenInByte = 496
; TotalNumSgprs: 15
; NumVgprs: 11
; ScratchSize: 0
; MemoryBound: 0
; FloatMode: 240
; IeeeMode: 1
; LDSByteSize: 2048 bytes/workgroup (compile time only)
; SGPRBlocks: 0
; VGPRBlocks: 0
; NumSGPRsForWavesPerEU: 15
; NumVGPRsForWavesPerEU: 11
; NamedBarCnt: 0
; Occupancy: 16
; WaveLimiterHint : 1
; COMPUTE_PGM_RSRC2:SCRATCH_EN: 0
; COMPUTE_PGM_RSRC2:USER_SGPR: 2
; COMPUTE_PGM_RSRC2:TRAP_HANDLER: 0
; COMPUTE_PGM_RSRC2:TGID_X_EN: 1
; COMPUTE_PGM_RSRC2:TGID_Y_EN: 0
; COMPUTE_PGM_RSRC2:TGID_Z_EN: 0
; COMPUTE_PGM_RSRC2:TIDIG_COMP_CNT: 0
	.section	.text._Z6kernelI27subtract_right_partial_tileLj256ELj4ELb0EJPiS1_S1_jEEvDpT3_,"axG",@progbits,_Z6kernelI27subtract_right_partial_tileLj256ELj4ELb0EJPiS1_S1_jEEvDpT3_,comdat
	.protected	_Z6kernelI27subtract_right_partial_tileLj256ELj4ELb0EJPiS1_S1_jEEvDpT3_ ; -- Begin function _Z6kernelI27subtract_right_partial_tileLj256ELj4ELb0EJPiS1_S1_jEEvDpT3_
	.globl	_Z6kernelI27subtract_right_partial_tileLj256ELj4ELb0EJPiS1_S1_jEEvDpT3_
	.p2align	8
	.type	_Z6kernelI27subtract_right_partial_tileLj256ELj4ELb0EJPiS1_S1_jEEvDpT3_,@function
_Z6kernelI27subtract_right_partial_tileLj256ELj4ELb0EJPiS1_S1_jEEvDpT3_: ; @_Z6kernelI27subtract_right_partial_tileLj256ELj4ELb0EJPiS1_S1_jEEvDpT3_
; %bb.0:
	s_load_b128 s[8:11], s[0:1], 0x0
	s_bfe_u32 s2, ttmp6, 0x4000c
	s_and_b32 s3, ttmp6, 15
	s_add_co_i32 s2, s2, 1
	s_getreg_b32 s4, hwreg(HW_REG_IB_STS2, 6, 4)
	s_mul_i32 s2, ttmp9, s2
	s_delay_alu instid0(SALU_CYCLE_1) | instskip(SKIP_4) | instid1(SALU_CYCLE_1)
	s_add_co_i32 s3, s3, s2
	s_cmp_eq_u32 s4, 0
	s_cselect_b32 s12, ttmp9, s3
	s_mov_b32 s3, 0
	s_lshl_b32 s2, s12, 10
	s_lshl_b64 s[4:5], s[2:3], 2
	s_wait_xcnt 0x0
	s_load_b96 s[0:2], s[0:1], 0x10
	s_wait_kmcnt 0x0
	s_add_nc_u64 s[6:7], s[8:9], s[4:5]
	s_clause 0x3
	global_load_b32 v1, v0, s[6:7] scale_offset
	global_load_b32 v2, v0, s[6:7] offset:1024 scale_offset
	global_load_b32 v3, v0, s[6:7] offset:2048 scale_offset
	;; [unrolled: 1-line block ×3, first 2 shown]
	s_cvt_f32_u32 s3, s2
	s_wait_xcnt 0x0
	s_sub_co_i32 s6, 0, s2
	s_delay_alu instid0(SALU_CYCLE_1) | instskip(SKIP_1) | instid1(TRANS32_DEP_1)
	v_rcp_iflag_f32_e32 v5, s3
	v_nop
	v_readfirstlane_b32 s3, v5
	v_lshlrev_b32_e32 v5, 2, v0
	s_mul_f32 s3, s3, 0x4f7ffffe
	s_delay_alu instid0(VALU_DEP_1) | instskip(SKIP_1) | instid1(SALU_CYCLE_1)
	v_dual_add_nc_u32 v9, 4, v5 :: v_dual_bitop2_b32 v6, 1, v5 bitop3:0x54
	v_or_b32_e32 v7, 2, v5
	s_cvt_u32_f32 s3, s3
	v_or_b32_e32 v8, 3, v5
	s_delay_alu instid0(SALU_CYCLE_2) | instskip(NEXT) | instid1(SALU_CYCLE_1)
	s_mul_i32 s6, s6, s3
	s_mul_hi_u32 s6, s3, s6
	s_delay_alu instid0(SALU_CYCLE_1) | instskip(NEXT) | instid1(SALU_CYCLE_1)
	s_add_co_i32 s3, s3, s6
	s_lshr_b32 s6, s3, 22
	s_load_b32 s3, s[10:11], s12 offset:0x0 scale_offset
	s_mul_i32 s7, s6, s2
	s_add_co_i32 s8, s6, 1
	s_sub_co_i32 s7, 0x400, s7
	s_delay_alu instid0(SALU_CYCLE_1)
	s_sub_co_i32 s9, s7, s2
	s_cmp_ge_u32 s7, s2
	s_cselect_b32 s6, s8, s6
	s_cselect_b32 s7, s9, s7
	s_add_co_i32 s8, s6, 1
	s_cmp_ge_u32 s7, s2
	s_cselect_b32 s6, s8, s6
	s_delay_alu instid0(SALU_CYCLE_1)
	s_add_co_i32 s6, s6, 1
	s_branch .LBB182_2
.LBB182_1:                              ;   in Loop: Header=BB182_2 Depth=1
	s_or_b32 exec_lo, exec_lo, s7
	v_dual_add_nc_u32 v1, v10, v1 :: v_dual_add_nc_u32 v2, v11, v2
	s_delay_alu instid0(VALU_DEP_2)
	v_dual_add_nc_u32 v3, v12, v3 :: v_dual_add_nc_u32 v4, v13, v4
	s_add_co_i32 s3, s6, s3
	s_add_co_i32 s2, s2, -1
	s_and_b32 s3, s3, 0x3ff
	s_cmp_lg_u32 s2, 0
	s_barrier_signal -1
	s_barrier_wait -1
	s_cbranch_scc0 .LBB182_4
.LBB182_2:                              ; =>This Inner Loop Header: Depth=1
	s_wait_loadcnt 0x1
	v_dual_sub_nc_u32 v10, v1, v2 :: v_dual_sub_nc_u32 v11, v2, v3
	s_wait_kmcnt 0x0
	v_cmp_gt_u32_e32 vcc_lo, s3, v6
	s_wait_loadcnt 0x0
	v_dual_mov_b32 v13, v4 :: v_dual_sub_nc_u32 v12, v3, v4
	s_mov_b32 s7, exec_lo
	ds_store_b32 v5, v1 offset:1024
	v_cndmask_b32_e32 v10, v1, v10, vcc_lo
	v_cmp_gt_u32_e32 vcc_lo, s3, v7
	s_wait_dscnt 0x0
	s_barrier_signal -1
	s_barrier_wait -1
	v_cndmask_b32_e32 v11, v2, v11, vcc_lo
	v_cmp_gt_u32_e32 vcc_lo, s3, v8
	v_cndmask_b32_e32 v12, v3, v12, vcc_lo
	v_cmpx_gt_u32_e64 s3, v9
	s_cbranch_execz .LBB182_1
; %bb.3:                                ;   in Loop: Header=BB182_2 Depth=1
	ds_load_b32 v13, v5 offset:1028
	s_wait_dscnt 0x0
	v_sub_nc_u32_e32 v13, v4, v13
	s_branch .LBB182_1
.LBB182_4:
	s_add_nc_u64 s[0:1], s[0:1], s[4:5]
	s_clause 0x3
	global_store_b32 v0, v1, s[0:1] scale_offset
	global_store_b32 v0, v2, s[0:1] offset:1024 scale_offset
	global_store_b32 v0, v3, s[0:1] offset:2048 scale_offset
	;; [unrolled: 1-line block ×3, first 2 shown]
	s_endpgm
	.section	.rodata,"a",@progbits
	.p2align	6, 0x0
	.amdhsa_kernel _Z6kernelI27subtract_right_partial_tileLj256ELj4ELb0EJPiS1_S1_jEEvDpT3_
		.amdhsa_group_segment_fixed_size 2048
		.amdhsa_private_segment_fixed_size 0
		.amdhsa_kernarg_size 28
		.amdhsa_user_sgpr_count 2
		.amdhsa_user_sgpr_dispatch_ptr 0
		.amdhsa_user_sgpr_queue_ptr 0
		.amdhsa_user_sgpr_kernarg_segment_ptr 1
		.amdhsa_user_sgpr_dispatch_id 0
		.amdhsa_user_sgpr_kernarg_preload_length 0
		.amdhsa_user_sgpr_kernarg_preload_offset 0
		.amdhsa_user_sgpr_private_segment_size 0
		.amdhsa_wavefront_size32 1
		.amdhsa_uses_dynamic_stack 0
		.amdhsa_enable_private_segment 0
		.amdhsa_system_sgpr_workgroup_id_x 1
		.amdhsa_system_sgpr_workgroup_id_y 0
		.amdhsa_system_sgpr_workgroup_id_z 0
		.amdhsa_system_sgpr_workgroup_info 0
		.amdhsa_system_vgpr_workitem_id 0
		.amdhsa_next_free_vgpr 14
		.amdhsa_next_free_sgpr 13
		.amdhsa_named_barrier_count 0
		.amdhsa_reserve_vcc 1
		.amdhsa_float_round_mode_32 0
		.amdhsa_float_round_mode_16_64 0
		.amdhsa_float_denorm_mode_32 3
		.amdhsa_float_denorm_mode_16_64 3
		.amdhsa_fp16_overflow 0
		.amdhsa_memory_ordered 1
		.amdhsa_forward_progress 1
		.amdhsa_inst_pref_size 5
		.amdhsa_round_robin_scheduling 0
		.amdhsa_exception_fp_ieee_invalid_op 0
		.amdhsa_exception_fp_denorm_src 0
		.amdhsa_exception_fp_ieee_div_zero 0
		.amdhsa_exception_fp_ieee_overflow 0
		.amdhsa_exception_fp_ieee_underflow 0
		.amdhsa_exception_fp_ieee_inexact 0
		.amdhsa_exception_int_div_zero 0
	.end_amdhsa_kernel
	.section	.text._Z6kernelI27subtract_right_partial_tileLj256ELj4ELb0EJPiS1_S1_jEEvDpT3_,"axG",@progbits,_Z6kernelI27subtract_right_partial_tileLj256ELj4ELb0EJPiS1_S1_jEEvDpT3_,comdat
.Lfunc_end182:
	.size	_Z6kernelI27subtract_right_partial_tileLj256ELj4ELb0EJPiS1_S1_jEEvDpT3_, .Lfunc_end182-_Z6kernelI27subtract_right_partial_tileLj256ELj4ELb0EJPiS1_S1_jEEvDpT3_
                                        ; -- End function
	.set _Z6kernelI27subtract_right_partial_tileLj256ELj4ELb0EJPiS1_S1_jEEvDpT3_.num_vgpr, 14
	.set _Z6kernelI27subtract_right_partial_tileLj256ELj4ELb0EJPiS1_S1_jEEvDpT3_.num_agpr, 0
	.set _Z6kernelI27subtract_right_partial_tileLj256ELj4ELb0EJPiS1_S1_jEEvDpT3_.numbered_sgpr, 13
	.set _Z6kernelI27subtract_right_partial_tileLj256ELj4ELb0EJPiS1_S1_jEEvDpT3_.num_named_barrier, 0
	.set _Z6kernelI27subtract_right_partial_tileLj256ELj4ELb0EJPiS1_S1_jEEvDpT3_.private_seg_size, 0
	.set _Z6kernelI27subtract_right_partial_tileLj256ELj4ELb0EJPiS1_S1_jEEvDpT3_.uses_vcc, 1
	.set _Z6kernelI27subtract_right_partial_tileLj256ELj4ELb0EJPiS1_S1_jEEvDpT3_.uses_flat_scratch, 0
	.set _Z6kernelI27subtract_right_partial_tileLj256ELj4ELb0EJPiS1_S1_jEEvDpT3_.has_dyn_sized_stack, 0
	.set _Z6kernelI27subtract_right_partial_tileLj256ELj4ELb0EJPiS1_S1_jEEvDpT3_.has_recursion, 0
	.set _Z6kernelI27subtract_right_partial_tileLj256ELj4ELb0EJPiS1_S1_jEEvDpT3_.has_indirect_call, 0
	.section	.AMDGPU.csdata,"",@progbits
; Kernel info:
; codeLenInByte = 528
; TotalNumSgprs: 15
; NumVgprs: 14
; ScratchSize: 0
; MemoryBound: 0
; FloatMode: 240
; IeeeMode: 1
; LDSByteSize: 2048 bytes/workgroup (compile time only)
; SGPRBlocks: 0
; VGPRBlocks: 0
; NumSGPRsForWavesPerEU: 15
; NumVGPRsForWavesPerEU: 14
; NamedBarCnt: 0
; Occupancy: 16
; WaveLimiterHint : 1
; COMPUTE_PGM_RSRC2:SCRATCH_EN: 0
; COMPUTE_PGM_RSRC2:USER_SGPR: 2
; COMPUTE_PGM_RSRC2:TRAP_HANDLER: 0
; COMPUTE_PGM_RSRC2:TGID_X_EN: 1
; COMPUTE_PGM_RSRC2:TGID_Y_EN: 0
; COMPUTE_PGM_RSRC2:TGID_Z_EN: 0
; COMPUTE_PGM_RSRC2:TIDIG_COMP_CNT: 0
	.section	.text._Z6kernelI27subtract_right_partial_tileLj256ELj8ELb0EJPiS1_S1_jEEvDpT3_,"axG",@progbits,_Z6kernelI27subtract_right_partial_tileLj256ELj8ELb0EJPiS1_S1_jEEvDpT3_,comdat
	.protected	_Z6kernelI27subtract_right_partial_tileLj256ELj8ELb0EJPiS1_S1_jEEvDpT3_ ; -- Begin function _Z6kernelI27subtract_right_partial_tileLj256ELj8ELb0EJPiS1_S1_jEEvDpT3_
	.globl	_Z6kernelI27subtract_right_partial_tileLj256ELj8ELb0EJPiS1_S1_jEEvDpT3_
	.p2align	8
	.type	_Z6kernelI27subtract_right_partial_tileLj256ELj8ELb0EJPiS1_S1_jEEvDpT3_,@function
_Z6kernelI27subtract_right_partial_tileLj256ELj8ELb0EJPiS1_S1_jEEvDpT3_: ; @_Z6kernelI27subtract_right_partial_tileLj256ELj8ELb0EJPiS1_S1_jEEvDpT3_
; %bb.0:
	s_load_b128 s[4:7], s[0:1], 0x0
	s_bfe_u32 s2, ttmp6, 0x4000c
	s_and_b32 s3, ttmp6, 15
	s_add_co_i32 s2, s2, 1
	s_getreg_b32 s8, hwreg(HW_REG_IB_STS2, 6, 4)
	s_mul_i32 s2, ttmp9, s2
	v_lshlrev_b32_e32 v17, 3, v0
	s_add_co_i32 s3, s3, s2
	s_cmp_eq_u32 s8, 0
	s_cselect_b32 s10, ttmp9, s3
	s_mov_b32 s3, 0
	s_lshl_b32 s2, s10, 11
	s_delay_alu instid0(SALU_CYCLE_1)
	s_lshl_b64 s[8:9], s[2:3], 2
	s_wait_xcnt 0x0
	s_load_b96 s[0:2], s[0:1], 0x10
	s_wait_kmcnt 0x0
	s_add_nc_u64 s[4:5], s[4:5], s[8:9]
	s_clause 0x7
	global_load_b32 v1, v0, s[4:5] scale_offset
	global_load_b32 v2, v0, s[4:5] offset:1024 scale_offset
	global_load_b32 v3, v0, s[4:5] offset:2048 scale_offset
	;; [unrolled: 1-line block ×7, first 2 shown]
	s_cvt_f32_u32 s3, s2
	s_wait_xcnt 0x0
	s_sub_co_i32 s4, 0, s2
	s_delay_alu instid0(SALU_CYCLE_1) | instskip(SKIP_1) | instid1(TRANS32_DEP_1)
	v_rcp_iflag_f32_e32 v9, s3
	v_nop
	v_readfirstlane_b32 s3, v9
	v_dual_lshlrev_b32 v9, 2, v0 :: v_dual_bitop2_b32 v10, 1, v17 bitop3:0x54
	v_or_b32_e32 v11, 2, v17
	v_or_b32_e32 v12, 3, v17
	s_mul_f32 s3, s3, 0x4f7ffffe
	v_or_b32_e32 v13, 4, v17
	v_or_b32_e32 v14, 5, v17
	;; [unrolled: 1-line block ×3, first 2 shown]
	s_cvt_u32_f32 s3, s3
	v_dual_add_nc_u32 v17, 8, v17 :: v_dual_bitop2_b32 v16, 7, v17 bitop3:0x54
	s_delay_alu instid0(SALU_CYCLE_2) | instskip(NEXT) | instid1(SALU_CYCLE_1)
	s_mul_i32 s4, s4, s3
	s_mul_hi_u32 s4, s3, s4
	s_delay_alu instid0(SALU_CYCLE_1) | instskip(NEXT) | instid1(SALU_CYCLE_1)
	s_add_co_i32 s3, s3, s4
	s_lshr_b32 s4, s3, 21
	s_load_b32 s3, s[6:7], s10 offset:0x0 scale_offset
	s_mul_i32 s5, s4, s2
	s_wait_xcnt 0x0
	s_add_co_i32 s6, s4, 1
	s_sub_co_i32 s5, 0x800, s5
	s_delay_alu instid0(SALU_CYCLE_1)
	s_sub_co_i32 s7, s5, s2
	s_cmp_ge_u32 s5, s2
	s_cselect_b32 s4, s6, s4
	s_cselect_b32 s5, s7, s5
	s_add_co_i32 s6, s4, 1
	s_cmp_ge_u32 s5, s2
	s_cselect_b32 s4, s6, s4
	s_delay_alu instid0(SALU_CYCLE_1)
	s_add_co_i32 s4, s4, 1
	s_branch .LBB183_2
.LBB183_1:                              ;   in Loop: Header=BB183_2 Depth=1
	s_or_b32 exec_lo, exec_lo, s5
	v_cmp_gt_u32_e32 vcc_lo, s3, v10
	s_add_co_i32 s2, s2, -1
	s_barrier_signal -1
	s_barrier_wait -1
	v_cndmask_b32_e32 v19, 0, v2, vcc_lo
	v_cmp_gt_u32_e32 vcc_lo, s3, v11
	v_cndmask_b32_e32 v20, 0, v3, vcc_lo
	v_cmp_gt_u32_e32 vcc_lo, s3, v12
	s_delay_alu instid0(VALU_DEP_2) | instskip(SKIP_2) | instid1(VALU_DEP_3)
	v_dual_sub_nc_u32 v19, v1, v19 :: v_dual_sub_nc_u32 v20, v2, v20
	v_cndmask_b32_e32 v21, 0, v4, vcc_lo
	v_cmp_gt_u32_e32 vcc_lo, s3, v13
	v_dual_add_nc_u32 v1, v19, v1 :: v_dual_add_nc_u32 v2, v20, v2
	v_cndmask_b32_e32 v22, 0, v5, vcc_lo
	v_cmp_gt_u32_e32 vcc_lo, s3, v14
	v_dual_sub_nc_u32 v21, v3, v21 :: v_dual_cndmask_b32 v23, 0, v6, vcc_lo
	v_cmp_gt_u32_e32 vcc_lo, s3, v15
	v_cndmask_b32_e32 v24, 0, v7, vcc_lo
	v_cmp_gt_u32_e32 vcc_lo, s3, v16
	s_delay_alu instid0(VALU_DEP_4) | instskip(SKIP_3) | instid1(VALU_DEP_3)
	v_dual_sub_nc_u32 v22, v4, v22 :: v_dual_sub_nc_u32 v23, v5, v23
	s_add_co_i32 s3, s4, s3
	v_dual_add_nc_u32 v3, v21, v3 :: v_dual_cndmask_b32 v25, 0, v8, vcc_lo
	v_sub_nc_u32_e32 v24, v6, v24
	v_add_nc_u32_e32 v4, v22, v4
	s_and_b32 s3, s3, 0x7ff
	s_delay_alu instid0(VALU_DEP_3) | instskip(NEXT) | instid1(VALU_DEP_3)
	v_dual_add_nc_u32 v8, v18, v8 :: v_dual_sub_nc_u32 v25, v7, v25
	v_dual_add_nc_u32 v5, v23, v5 :: v_dual_add_nc_u32 v6, v24, v6
	s_cmp_lg_u32 s2, 0
	s_delay_alu instid0(VALU_DEP_2)
	v_add_nc_u32_e32 v7, v25, v7
	s_cbranch_scc0 .LBB183_4
.LBB183_2:                              ; =>This Inner Loop Header: Depth=1
	s_wait_loadcnt 0x0
	v_mov_b32_e32 v18, v8
	s_mov_b32 s5, exec_lo
	ds_store_b32 v9, v1 offset:1024
	s_wait_dscnt 0x0
	s_barrier_signal -1
	s_barrier_wait -1
	s_wait_kmcnt 0x0
	v_cmpx_gt_u32_e64 s3, v17
	s_cbranch_execz .LBB183_1
; %bb.3:                                ;   in Loop: Header=BB183_2 Depth=1
	ds_load_b32 v18, v9 offset:1028
	s_wait_dscnt 0x0
	v_sub_nc_u32_e32 v18, v8, v18
	s_branch .LBB183_1
.LBB183_4:
	s_add_nc_u64 s[0:1], s[0:1], s[8:9]
	s_clause 0x7
	global_store_b32 v0, v1, s[0:1] scale_offset
	global_store_b32 v0, v2, s[0:1] offset:1024 scale_offset
	global_store_b32 v0, v3, s[0:1] offset:2048 scale_offset
	;; [unrolled: 1-line block ×7, first 2 shown]
	s_endpgm
	.section	.rodata,"a",@progbits
	.p2align	6, 0x0
	.amdhsa_kernel _Z6kernelI27subtract_right_partial_tileLj256ELj8ELb0EJPiS1_S1_jEEvDpT3_
		.amdhsa_group_segment_fixed_size 2048
		.amdhsa_private_segment_fixed_size 0
		.amdhsa_kernarg_size 28
		.amdhsa_user_sgpr_count 2
		.amdhsa_user_sgpr_dispatch_ptr 0
		.amdhsa_user_sgpr_queue_ptr 0
		.amdhsa_user_sgpr_kernarg_segment_ptr 1
		.amdhsa_user_sgpr_dispatch_id 0
		.amdhsa_user_sgpr_kernarg_preload_length 0
		.amdhsa_user_sgpr_kernarg_preload_offset 0
		.amdhsa_user_sgpr_private_segment_size 0
		.amdhsa_wavefront_size32 1
		.amdhsa_uses_dynamic_stack 0
		.amdhsa_enable_private_segment 0
		.amdhsa_system_sgpr_workgroup_id_x 1
		.amdhsa_system_sgpr_workgroup_id_y 0
		.amdhsa_system_sgpr_workgroup_id_z 0
		.amdhsa_system_sgpr_workgroup_info 0
		.amdhsa_system_vgpr_workitem_id 0
		.amdhsa_next_free_vgpr 26
		.amdhsa_next_free_sgpr 11
		.amdhsa_named_barrier_count 0
		.amdhsa_reserve_vcc 1
		.amdhsa_float_round_mode_32 0
		.amdhsa_float_round_mode_16_64 0
		.amdhsa_float_denorm_mode_32 3
		.amdhsa_float_denorm_mode_16_64 3
		.amdhsa_fp16_overflow 0
		.amdhsa_memory_ordered 1
		.amdhsa_forward_progress 1
		.amdhsa_inst_pref_size 6
		.amdhsa_round_robin_scheduling 0
		.amdhsa_exception_fp_ieee_invalid_op 0
		.amdhsa_exception_fp_denorm_src 0
		.amdhsa_exception_fp_ieee_div_zero 0
		.amdhsa_exception_fp_ieee_overflow 0
		.amdhsa_exception_fp_ieee_underflow 0
		.amdhsa_exception_fp_ieee_inexact 0
		.amdhsa_exception_int_div_zero 0
	.end_amdhsa_kernel
	.section	.text._Z6kernelI27subtract_right_partial_tileLj256ELj8ELb0EJPiS1_S1_jEEvDpT3_,"axG",@progbits,_Z6kernelI27subtract_right_partial_tileLj256ELj8ELb0EJPiS1_S1_jEEvDpT3_,comdat
.Lfunc_end183:
	.size	_Z6kernelI27subtract_right_partial_tileLj256ELj8ELb0EJPiS1_S1_jEEvDpT3_, .Lfunc_end183-_Z6kernelI27subtract_right_partial_tileLj256ELj8ELb0EJPiS1_S1_jEEvDpT3_
                                        ; -- End function
	.set _Z6kernelI27subtract_right_partial_tileLj256ELj8ELb0EJPiS1_S1_jEEvDpT3_.num_vgpr, 26
	.set _Z6kernelI27subtract_right_partial_tileLj256ELj8ELb0EJPiS1_S1_jEEvDpT3_.num_agpr, 0
	.set _Z6kernelI27subtract_right_partial_tileLj256ELj8ELb0EJPiS1_S1_jEEvDpT3_.numbered_sgpr, 11
	.set _Z6kernelI27subtract_right_partial_tileLj256ELj8ELb0EJPiS1_S1_jEEvDpT3_.num_named_barrier, 0
	.set _Z6kernelI27subtract_right_partial_tileLj256ELj8ELb0EJPiS1_S1_jEEvDpT3_.private_seg_size, 0
	.set _Z6kernelI27subtract_right_partial_tileLj256ELj8ELb0EJPiS1_S1_jEEvDpT3_.uses_vcc, 1
	.set _Z6kernelI27subtract_right_partial_tileLj256ELj8ELb0EJPiS1_S1_jEEvDpT3_.uses_flat_scratch, 0
	.set _Z6kernelI27subtract_right_partial_tileLj256ELj8ELb0EJPiS1_S1_jEEvDpT3_.has_dyn_sized_stack, 0
	.set _Z6kernelI27subtract_right_partial_tileLj256ELj8ELb0EJPiS1_S1_jEEvDpT3_.has_recursion, 0
	.set _Z6kernelI27subtract_right_partial_tileLj256ELj8ELb0EJPiS1_S1_jEEvDpT3_.has_indirect_call, 0
	.section	.AMDGPU.csdata,"",@progbits
; Kernel info:
; codeLenInByte = 736
; TotalNumSgprs: 13
; NumVgprs: 26
; ScratchSize: 0
; MemoryBound: 0
; FloatMode: 240
; IeeeMode: 1
; LDSByteSize: 2048 bytes/workgroup (compile time only)
; SGPRBlocks: 0
; VGPRBlocks: 1
; NumSGPRsForWavesPerEU: 13
; NumVGPRsForWavesPerEU: 26
; NamedBarCnt: 0
; Occupancy: 16
; WaveLimiterHint : 1
; COMPUTE_PGM_RSRC2:SCRATCH_EN: 0
; COMPUTE_PGM_RSRC2:USER_SGPR: 2
; COMPUTE_PGM_RSRC2:TRAP_HANDLER: 0
; COMPUTE_PGM_RSRC2:TGID_X_EN: 1
; COMPUTE_PGM_RSRC2:TGID_Y_EN: 0
; COMPUTE_PGM_RSRC2:TGID_Z_EN: 0
; COMPUTE_PGM_RSRC2:TIDIG_COMP_CNT: 0
	.section	.text._Z6kernelI27subtract_right_partial_tileLj256ELj16ELb0EJPiS1_S1_jEEvDpT3_,"axG",@progbits,_Z6kernelI27subtract_right_partial_tileLj256ELj16ELb0EJPiS1_S1_jEEvDpT3_,comdat
	.protected	_Z6kernelI27subtract_right_partial_tileLj256ELj16ELb0EJPiS1_S1_jEEvDpT3_ ; -- Begin function _Z6kernelI27subtract_right_partial_tileLj256ELj16ELb0EJPiS1_S1_jEEvDpT3_
	.globl	_Z6kernelI27subtract_right_partial_tileLj256ELj16ELb0EJPiS1_S1_jEEvDpT3_
	.p2align	8
	.type	_Z6kernelI27subtract_right_partial_tileLj256ELj16ELb0EJPiS1_S1_jEEvDpT3_,@function
_Z6kernelI27subtract_right_partial_tileLj256ELj16ELb0EJPiS1_S1_jEEvDpT3_: ; @_Z6kernelI27subtract_right_partial_tileLj256ELj16ELb0EJPiS1_S1_jEEvDpT3_
; %bb.0:
	s_load_b128 s[4:7], s[0:1], 0x0
	s_bfe_u32 s2, ttmp6, 0x4000c
	s_and_b32 s3, ttmp6, 15
	s_add_co_i32 s2, s2, 1
	s_getreg_b32 s8, hwreg(HW_REG_IB_STS2, 6, 4)
	s_mul_i32 s2, ttmp9, s2
	v_lshlrev_b32_e32 v33, 4, v0
	s_add_co_i32 s3, s3, s2
	s_cmp_eq_u32 s8, 0
	s_cselect_b32 s10, ttmp9, s3
	s_mov_b32 s3, 0
	s_lshl_b32 s2, s10, 12
	s_delay_alu instid0(SALU_CYCLE_1)
	s_lshl_b64 s[8:9], s[2:3], 2
	s_wait_xcnt 0x0
	s_load_b96 s[0:2], s[0:1], 0x10
	s_wait_kmcnt 0x0
	s_add_nc_u64 s[4:5], s[4:5], s[8:9]
	s_clause 0xf
	global_load_b32 v16, v0, s[4:5] scale_offset
	global_load_b32 v15, v0, s[4:5] offset:1024 scale_offset
	global_load_b32 v14, v0, s[4:5] offset:2048 scale_offset
	;; [unrolled: 1-line block ×15, first 2 shown]
	s_cvt_f32_u32 s3, s2
	s_wait_xcnt 0x0
	s_sub_co_i32 s4, 0, s2
	s_delay_alu instid0(SALU_CYCLE_1) | instskip(SKIP_1) | instid1(TRANS32_DEP_1)
	v_rcp_iflag_f32_e32 v17, s3
	v_nop
	v_readfirstlane_b32 s3, v17
	v_dual_lshlrev_b32 v17, 2, v0 :: v_dual_bitop2_b32 v18, 1, v33 bitop3:0x54
	v_or_b32_e32 v19, 2, v33
	v_or_b32_e32 v20, 3, v33
	s_mul_f32 s3, s3, 0x4f7ffffe
	v_or_b32_e32 v21, 4, v33
	v_or_b32_e32 v22, 5, v33
	;; [unrolled: 1-line block ×3, first 2 shown]
	s_cvt_u32_f32 s3, s3
	v_or_b32_e32 v24, 7, v33
	v_or_b32_e32 v25, 8, v33
	;; [unrolled: 1-line block ×3, first 2 shown]
	s_mul_i32 s4, s4, s3
	v_or_b32_e32 v27, 10, v33
	s_mul_hi_u32 s4, s3, s4
	v_or_b32_e32 v28, 11, v33
	s_add_co_i32 s3, s3, s4
	v_or_b32_e32 v29, 12, v33
	s_lshr_b32 s4, s3, 20
	v_or_b32_e32 v30, 13, v33
	s_mul_i32 s3, s4, s2
	s_add_co_i32 s11, s4, 1
	s_sub_co_i32 s5, 0x1000, s3
	s_load_b32 s3, s[6:7], s10 offset:0x0 scale_offset
	s_sub_co_i32 s12, s5, s2
	s_cmp_ge_u32 s5, s2
	v_or_b32_e32 v31, 14, v33
	s_cselect_b32 s4, s11, s4
	s_cselect_b32 s5, s12, s5
	s_wait_xcnt 0x0
	s_add_co_i32 s6, s4, 1
	s_cmp_ge_u32 s5, s2
	v_dual_add_nc_u32 v33, 16, v33 :: v_dual_bitop2_b32 v32, 15, v33 bitop3:0x54
	s_cselect_b32 s4, s6, s4
	s_delay_alu instid0(SALU_CYCLE_1)
	s_add_co_i32 s4, s4, 1
	s_branch .LBB184_2
.LBB184_1:                              ;   in Loop: Header=BB184_2 Depth=1
	s_or_b32 exec_lo, exec_lo, s5
	v_cmp_gt_u32_e32 vcc_lo, s3, v18
	s_add_co_i32 s2, s2, -1
	s_barrier_signal -1
	s_barrier_wait -1
	v_cndmask_b32_e32 v35, 0, v15, vcc_lo
	v_cmp_gt_u32_e32 vcc_lo, s3, v19
	v_cndmask_b32_e32 v36, 0, v14, vcc_lo
	v_cmp_gt_u32_e32 vcc_lo, s3, v20
	s_delay_alu instid0(VALU_DEP_2) | instskip(SKIP_1) | instid1(VALU_DEP_2)
	v_dual_cndmask_b32 v37, 0, v13 :: v_dual_sub_nc_u32 v36, v15, v36
	v_cmp_gt_u32_e32 vcc_lo, s3, v21
	v_dual_cndmask_b32 v38, 0, v12 :: v_dual_add_nc_u32 v15, v36, v15
	v_cmp_gt_u32_e32 vcc_lo, s3, v22
	s_delay_alu instid0(VALU_DEP_4) | instskip(SKIP_2) | instid1(VALU_DEP_3)
	v_dual_sub_nc_u32 v35, v16, v35 :: v_dual_sub_nc_u32 v37, v14, v37
	v_cndmask_b32_e32 v39, 0, v11, vcc_lo
	v_cmp_gt_u32_e32 vcc_lo, s3, v23
	v_dual_sub_nc_u32 v38, v13, v38 :: v_dual_add_nc_u32 v16, v35, v16
	s_delay_alu instid0(VALU_DEP_3) | instskip(SKIP_1) | instid1(VALU_DEP_3)
	v_dual_cndmask_b32 v40, 0, v10 :: v_dual_sub_nc_u32 v39, v12, v39
	v_cmp_gt_u32_e32 vcc_lo, s3, v24
	v_dual_add_nc_u32 v14, v37, v14 :: v_dual_add_nc_u32 v13, v38, v13
	v_cndmask_b32_e32 v41, 0, v9, vcc_lo
	v_cmp_gt_u32_e32 vcc_lo, s3, v25
	v_sub_nc_u32_e32 v40, v11, v40
	v_add_nc_u32_e32 v12, v39, v12
	v_cndmask_b32_e32 v42, 0, v8, vcc_lo
	v_cmp_gt_u32_e32 vcc_lo, s3, v26
	s_delay_alu instid0(VALU_DEP_4)
	v_add_nc_u32_e32 v11, v40, v11
	v_cndmask_b32_e32 v43, 0, v7, vcc_lo
	v_cmp_gt_u32_e32 vcc_lo, s3, v27
	v_dual_sub_nc_u32 v41, v10, v41 :: v_dual_sub_nc_u32 v42, v9, v42
	v_cndmask_b32_e32 v44, 0, v6, vcc_lo
	v_cmp_gt_u32_e32 vcc_lo, s3, v28
	s_delay_alu instid0(VALU_DEP_3) | instskip(NEXT) | instid1(VALU_DEP_3)
	v_dual_sub_nc_u32 v43, v8, v43 :: v_dual_add_nc_u32 v10, v41, v10
	v_dual_add_nc_u32 v9, v42, v9 :: v_dual_sub_nc_u32 v44, v7, v44
	v_cndmask_b32_e32 v45, 0, v5, vcc_lo
	v_cmp_gt_u32_e32 vcc_lo, s3, v29
	s_delay_alu instid0(VALU_DEP_3) | instskip(SKIP_2) | instid1(VALU_DEP_2)
	v_dual_add_nc_u32 v8, v43, v8 :: v_dual_add_nc_u32 v7, v44, v7
	v_cndmask_b32_e32 v46, 0, v4, vcc_lo
	v_cmp_gt_u32_e32 vcc_lo, s3, v30
	v_dual_cndmask_b32 v47, 0, v3 :: v_dual_sub_nc_u32 v46, v5, v46
	v_cmp_gt_u32_e32 vcc_lo, s3, v31
	s_delay_alu instid0(VALU_DEP_2) | instskip(SKIP_1) | instid1(VALU_DEP_4)
	v_dual_cndmask_b32 v48, 0, v2 :: v_dual_add_nc_u32 v5, v46, v5
	v_cmp_gt_u32_e32 vcc_lo, s3, v32
	v_dual_sub_nc_u32 v45, v6, v45 :: v_dual_sub_nc_u32 v47, v4, v47
	s_add_co_i32 s3, s4, s3
	s_delay_alu instid0(VALU_DEP_3) | instskip(NEXT) | instid1(VALU_DEP_2)
	v_dual_cndmask_b32 v49, 0, v1 :: v_dual_sub_nc_u32 v48, v3, v48
	v_dual_add_nc_u32 v6, v45, v6 :: v_dual_add_nc_u32 v1, v34, v1
	s_and_b32 s3, s3, 0xfff
	s_delay_alu instid0(VALU_DEP_2) | instskip(NEXT) | instid1(VALU_DEP_3)
	v_dual_sub_nc_u32 v49, v2, v49 :: v_dual_add_nc_u32 v4, v47, v4
	v_add_nc_u32_e32 v3, v48, v3
	s_cmp_lg_u32 s2, 0
	s_delay_alu instid0(VALU_DEP_2)
	v_add_nc_u32_e32 v2, v49, v2
	s_cbranch_scc0 .LBB184_4
.LBB184_2:                              ; =>This Inner Loop Header: Depth=1
	s_wait_loadcnt 0x0
	v_mov_b32_e32 v34, v1
	s_mov_b32 s5, exec_lo
	ds_store_b32 v17, v16 offset:1024
	s_wait_dscnt 0x0
	s_barrier_signal -1
	s_barrier_wait -1
	s_wait_kmcnt 0x0
	v_cmpx_gt_u32_e64 s3, v33
	s_cbranch_execz .LBB184_1
; %bb.3:                                ;   in Loop: Header=BB184_2 Depth=1
	ds_load_b32 v34, v17 offset:1028
	s_wait_dscnt 0x0
	v_sub_nc_u32_e32 v34, v1, v34
	s_branch .LBB184_1
.LBB184_4:
	s_add_nc_u64 s[0:1], s[0:1], s[8:9]
	s_clause 0xf
	global_store_b32 v0, v16, s[0:1] scale_offset
	global_store_b32 v0, v15, s[0:1] offset:1024 scale_offset
	global_store_b32 v0, v14, s[0:1] offset:2048 scale_offset
	;; [unrolled: 1-line block ×15, first 2 shown]
	s_endpgm
	.section	.rodata,"a",@progbits
	.p2align	6, 0x0
	.amdhsa_kernel _Z6kernelI27subtract_right_partial_tileLj256ELj16ELb0EJPiS1_S1_jEEvDpT3_
		.amdhsa_group_segment_fixed_size 2048
		.amdhsa_private_segment_fixed_size 0
		.amdhsa_kernarg_size 28
		.amdhsa_user_sgpr_count 2
		.amdhsa_user_sgpr_dispatch_ptr 0
		.amdhsa_user_sgpr_queue_ptr 0
		.amdhsa_user_sgpr_kernarg_segment_ptr 1
		.amdhsa_user_sgpr_dispatch_id 0
		.amdhsa_user_sgpr_kernarg_preload_length 0
		.amdhsa_user_sgpr_kernarg_preload_offset 0
		.amdhsa_user_sgpr_private_segment_size 0
		.amdhsa_wavefront_size32 1
		.amdhsa_uses_dynamic_stack 0
		.amdhsa_enable_private_segment 0
		.amdhsa_system_sgpr_workgroup_id_x 1
		.amdhsa_system_sgpr_workgroup_id_y 0
		.amdhsa_system_sgpr_workgroup_id_z 0
		.amdhsa_system_sgpr_workgroup_info 0
		.amdhsa_system_vgpr_workitem_id 0
		.amdhsa_next_free_vgpr 50
		.amdhsa_next_free_sgpr 13
		.amdhsa_named_barrier_count 0
		.amdhsa_reserve_vcc 1
		.amdhsa_float_round_mode_32 0
		.amdhsa_float_round_mode_16_64 0
		.amdhsa_float_denorm_mode_32 3
		.amdhsa_float_denorm_mode_16_64 3
		.amdhsa_fp16_overflow 0
		.amdhsa_memory_ordered 1
		.amdhsa_forward_progress 1
		.amdhsa_inst_pref_size 9
		.amdhsa_round_robin_scheduling 0
		.amdhsa_exception_fp_ieee_invalid_op 0
		.amdhsa_exception_fp_denorm_src 0
		.amdhsa_exception_fp_ieee_div_zero 0
		.amdhsa_exception_fp_ieee_overflow 0
		.amdhsa_exception_fp_ieee_underflow 0
		.amdhsa_exception_fp_ieee_inexact 0
		.amdhsa_exception_int_div_zero 0
	.end_amdhsa_kernel
	.section	.text._Z6kernelI27subtract_right_partial_tileLj256ELj16ELb0EJPiS1_S1_jEEvDpT3_,"axG",@progbits,_Z6kernelI27subtract_right_partial_tileLj256ELj16ELb0EJPiS1_S1_jEEvDpT3_,comdat
.Lfunc_end184:
	.size	_Z6kernelI27subtract_right_partial_tileLj256ELj16ELb0EJPiS1_S1_jEEvDpT3_, .Lfunc_end184-_Z6kernelI27subtract_right_partial_tileLj256ELj16ELb0EJPiS1_S1_jEEvDpT3_
                                        ; -- End function
	.set _Z6kernelI27subtract_right_partial_tileLj256ELj16ELb0EJPiS1_S1_jEEvDpT3_.num_vgpr, 50
	.set _Z6kernelI27subtract_right_partial_tileLj256ELj16ELb0EJPiS1_S1_jEEvDpT3_.num_agpr, 0
	.set _Z6kernelI27subtract_right_partial_tileLj256ELj16ELb0EJPiS1_S1_jEEvDpT3_.numbered_sgpr, 13
	.set _Z6kernelI27subtract_right_partial_tileLj256ELj16ELb0EJPiS1_S1_jEEvDpT3_.num_named_barrier, 0
	.set _Z6kernelI27subtract_right_partial_tileLj256ELj16ELb0EJPiS1_S1_jEEvDpT3_.private_seg_size, 0
	.set _Z6kernelI27subtract_right_partial_tileLj256ELj16ELb0EJPiS1_S1_jEEvDpT3_.uses_vcc, 1
	.set _Z6kernelI27subtract_right_partial_tileLj256ELj16ELb0EJPiS1_S1_jEEvDpT3_.uses_flat_scratch, 0
	.set _Z6kernelI27subtract_right_partial_tileLj256ELj16ELb0EJPiS1_S1_jEEvDpT3_.has_dyn_sized_stack, 0
	.set _Z6kernelI27subtract_right_partial_tileLj256ELj16ELb0EJPiS1_S1_jEEvDpT3_.has_recursion, 0
	.set _Z6kernelI27subtract_right_partial_tileLj256ELj16ELb0EJPiS1_S1_jEEvDpT3_.has_indirect_call, 0
	.section	.AMDGPU.csdata,"",@progbits
; Kernel info:
; codeLenInByte = 1112
; TotalNumSgprs: 15
; NumVgprs: 50
; ScratchSize: 0
; MemoryBound: 0
; FloatMode: 240
; IeeeMode: 1
; LDSByteSize: 2048 bytes/workgroup (compile time only)
; SGPRBlocks: 0
; VGPRBlocks: 3
; NumSGPRsForWavesPerEU: 15
; NumVGPRsForWavesPerEU: 50
; NamedBarCnt: 0
; Occupancy: 16
; WaveLimiterHint : 1
; COMPUTE_PGM_RSRC2:SCRATCH_EN: 0
; COMPUTE_PGM_RSRC2:USER_SGPR: 2
; COMPUTE_PGM_RSRC2:TRAP_HANDLER: 0
; COMPUTE_PGM_RSRC2:TGID_X_EN: 1
; COMPUTE_PGM_RSRC2:TGID_Y_EN: 0
; COMPUTE_PGM_RSRC2:TGID_Z_EN: 0
; COMPUTE_PGM_RSRC2:TIDIG_COMP_CNT: 0
	.section	.text._Z6kernelI27subtract_right_partial_tileLj256ELj32ELb0EJPiS1_S1_jEEvDpT3_,"axG",@progbits,_Z6kernelI27subtract_right_partial_tileLj256ELj32ELb0EJPiS1_S1_jEEvDpT3_,comdat
	.protected	_Z6kernelI27subtract_right_partial_tileLj256ELj32ELb0EJPiS1_S1_jEEvDpT3_ ; -- Begin function _Z6kernelI27subtract_right_partial_tileLj256ELj32ELb0EJPiS1_S1_jEEvDpT3_
	.globl	_Z6kernelI27subtract_right_partial_tileLj256ELj32ELb0EJPiS1_S1_jEEvDpT3_
	.p2align	8
	.type	_Z6kernelI27subtract_right_partial_tileLj256ELj32ELb0EJPiS1_S1_jEEvDpT3_,@function
_Z6kernelI27subtract_right_partial_tileLj256ELj32ELb0EJPiS1_S1_jEEvDpT3_: ; @_Z6kernelI27subtract_right_partial_tileLj256ELj32ELb0EJPiS1_S1_jEEvDpT3_
; %bb.0:
	s_load_b128 s[4:7], s[0:1], 0x0
	s_bfe_u32 s2, ttmp6, 0x4000c
	s_and_b32 s3, ttmp6, 15
	s_add_co_i32 s2, s2, 1
	s_getreg_b32 s8, hwreg(HW_REG_IB_STS2, 6, 4)
	s_mul_i32 s2, ttmp9, s2
	v_dual_lshlrev_b32 v64, 5, v0 :: v_dual_lshlrev_b32 v65, 2, v0
	s_add_co_i32 s3, s3, s2
	s_cmp_eq_u32 s8, 0
	s_cselect_b32 s10, ttmp9, s3
	s_mov_b32 s3, 0
	s_lshl_b32 s2, s10, 13
	v_or_b32_e32 v34, 2, v64
	s_lshl_b64 s[8:9], s[2:3], 2
	v_or_b32_e32 v35, 3, v64
	v_or_b32_e32 v36, 4, v64
	;; [unrolled: 1-line block ×4, first 2 shown]
	s_wait_kmcnt 0x0
	s_add_nc_u64 s[2:3], s[4:5], s[8:9]
	v_or_b32_e32 v39, 7, v64
	s_clause 0x1f
	global_load_b32 v1, v0, s[2:3] scale_offset
	global_load_b32 v5, v0, s[2:3] offset:1024 scale_offset
	global_load_b32 v4, v0, s[2:3] offset:2048 scale_offset
	;; [unrolled: 1-line block ×31, first 2 shown]
	s_wait_xcnt 0x0
	s_load_b96 s[0:2], s[0:1], 0x10
	v_or_b32_e32 v40, 8, v64
	v_or_b32_e32 v41, 9, v64
	;; [unrolled: 1-line block ×19, first 2 shown]
	s_wait_kmcnt 0x0
	s_cvt_f32_u32 s3, s2
	s_sub_co_i32 s4, 0, s2
	v_or_b32_e32 v59, 27, v64
	v_or_b32_e32 v60, 28, v64
	v_rcp_iflag_f32_e32 v33, s3
	v_or_b32_e32 v61, 29, v64
	v_or_b32_e32 v62, 30, v64
	;; [unrolled: 1-line block ×3, first 2 shown]
	s_delay_alu instid0(TRANS32_DEP_1) | instskip(SKIP_2) | instid1(SALU_CYCLE_3)
	v_readfirstlane_b32 s3, v33
	v_dual_add_nc_u32 v64, 32, v64 :: v_dual_bitop2_b32 v33, 1, v64 bitop3:0x54
	s_mul_f32 s3, s3, 0x4f7ffffe
	s_cvt_u32_f32 s3, s3
	s_delay_alu instid0(SALU_CYCLE_3) | instskip(NEXT) | instid1(SALU_CYCLE_1)
	s_mul_i32 s4, s4, s3
	s_mul_hi_u32 s4, s3, s4
	s_delay_alu instid0(SALU_CYCLE_1) | instskip(NEXT) | instid1(SALU_CYCLE_1)
	s_add_co_i32 s3, s3, s4
	s_lshr_b32 s4, s3, 19
	s_delay_alu instid0(SALU_CYCLE_1)
	s_mul_i32 s3, s4, s2
	s_add_co_i32 s11, s4, 1
	s_sub_co_i32 s5, 0x2000, s3
	s_load_b32 s3, s[6:7], s10 offset:0x0 scale_offset
	s_sub_co_i32 s12, s5, s2
	s_cmp_ge_u32 s5, s2
	s_cselect_b32 s4, s11, s4
	s_cselect_b32 s5, s12, s5
	s_wait_xcnt 0x0
	s_add_co_i32 s6, s4, 1
	s_cmp_ge_u32 s5, s2
	s_cselect_b32 s4, s6, s4
	s_delay_alu instid0(SALU_CYCLE_1)
	s_add_co_i32 s4, s4, 1
	s_branch .LBB185_2
.LBB185_1:                              ;   in Loop: Header=BB185_2 Depth=1
	s_or_b32 exec_lo, exec_lo, s5
	v_cmp_gt_u32_e32 vcc_lo, s3, v33
	s_add_co_i32 s2, s2, -1
	s_barrier_signal -1
	s_barrier_wait -1
	v_cndmask_b32_e32 v67, 0, v5, vcc_lo
	v_cmp_gt_u32_e32 vcc_lo, s3, v34
	v_cndmask_b32_e32 v68, 0, v4, vcc_lo
	v_cmp_gt_u32_e32 vcc_lo, s3, v35
	s_delay_alu instid0(VALU_DEP_2) | instskip(SKIP_3) | instid1(VALU_DEP_2)
	v_dual_cndmask_b32 v69, 0, v3 :: v_dual_sub_nc_u32 v68, v5, v68
	v_cmp_gt_u32_e32 vcc_lo, s3, v36
	v_dual_cndmask_b32 v70, 0, v2 :: v_dual_sub_nc_u32 v67, v1, v67
	v_cmp_gt_u32_e32 vcc_lo, s3, v37
	v_add_nc_u32_e32 v1, v67, v1
	s_delay_alu instid0(VALU_DEP_3) | instskip(SKIP_2) | instid1(VALU_DEP_3)
	v_dual_cndmask_b32 v71, 0, v8 :: v_dual_sub_nc_u32 v70, v3, v70
	v_cmp_gt_u32_e32 vcc_lo, s3, v38
	v_sub_nc_u32_e32 v69, v4, v69
	v_dual_add_nc_u32 v5, v68, v5 :: v_dual_add_nc_u32 v3, v70, v3
	v_cndmask_b32_e32 v72, 0, v7, vcc_lo
	v_cmp_gt_u32_e32 vcc_lo, s3, v39
	s_delay_alu instid0(VALU_DEP_4) | instskip(NEXT) | instid1(VALU_DEP_3)
	v_dual_add_nc_u32 v4, v69, v4 :: v_dual_sub_nc_u32 v71, v2, v71
	v_dual_cndmask_b32 v73, 0, v6 :: v_dual_sub_nc_u32 v72, v8, v72
	v_cmp_gt_u32_e32 vcc_lo, s3, v40
	s_delay_alu instid0(VALU_DEP_2)
	v_dual_add_nc_u32 v2, v71, v2 :: v_dual_add_nc_u32 v8, v72, v8
	v_cndmask_b32_e32 v74, 0, v11, vcc_lo
	v_cmp_gt_u32_e32 vcc_lo, s3, v41
	v_dual_sub_nc_u32 v73, v7, v73 :: v_dual_cndmask_b32 v75, 0, v10, vcc_lo
	v_cmp_gt_u32_e32 vcc_lo, s3, v42
	v_cndmask_b32_e32 v76, 0, v9, vcc_lo
	v_cmp_gt_u32_e32 vcc_lo, s3, v43
	s_delay_alu instid0(VALU_DEP_4) | instskip(SKIP_2) | instid1(VALU_DEP_2)
	v_dual_sub_nc_u32 v74, v6, v74 :: v_dual_sub_nc_u32 v75, v11, v75
	v_cndmask_b32_e32 v77, 0, v12, vcc_lo
	v_cmp_gt_u32_e32 vcc_lo, s3, v44
	v_dual_sub_nc_u32 v76, v10, v76 :: v_dual_sub_nc_u32 v77, v9, v77
	v_cndmask_b32_e32 v78, 0, v13, vcc_lo
	v_cmp_gt_u32_e32 vcc_lo, s3, v45
	s_delay_alu instid0(VALU_DEP_3)
	v_add_nc_u32_e32 v10, v76, v10
	v_cndmask_b32_e32 v67, 0, v14, vcc_lo
	v_cmp_gt_u32_e32 vcc_lo, s3, v46
	v_dual_sub_nc_u32 v78, v12, v78 :: v_dual_add_nc_u32 v9, v77, v9
	v_cndmask_b32_e32 v68, 0, v15, vcc_lo
	v_cmp_gt_u32_e32 vcc_lo, s3, v47
	s_delay_alu instid0(VALU_DEP_3) | instskip(NEXT) | instid1(VALU_DEP_3)
	v_dual_sub_nc_u32 v67, v13, v67 :: v_dual_add_nc_u32 v12, v78, v12
	v_sub_nc_u32_e32 v68, v14, v68
	v_cndmask_b32_e32 v69, 0, v16, vcc_lo
	v_cmp_gt_u32_e32 vcc_lo, s3, v48
	s_delay_alu instid0(VALU_DEP_4) | instskip(SKIP_2) | instid1(VALU_DEP_2)
	v_add_nc_u32_e32 v13, v67, v13
	v_cndmask_b32_e32 v70, 0, v17, vcc_lo
	v_cmp_gt_u32_e32 vcc_lo, s3, v49
	v_dual_sub_nc_u32 v69, v15, v69 :: v_dual_sub_nc_u32 v70, v16, v70
	v_cndmask_b32_e32 v71, 0, v18, vcc_lo
	v_cmp_gt_u32_e32 vcc_lo, s3, v50
	v_cndmask_b32_e32 v72, 0, v19, vcc_lo
	v_cmp_gt_u32_e32 vcc_lo, s3, v51
	v_add_nc_u32_e32 v7, v73, v7
	s_delay_alu instid0(VALU_DEP_3)
	v_dual_sub_nc_u32 v71, v17, v71 :: v_dual_sub_nc_u32 v72, v18, v72
	v_cndmask_b32_e32 v73, 0, v32, vcc_lo
	v_cmp_gt_u32_e32 vcc_lo, s3, v52
	v_dual_add_nc_u32 v6, v74, v6 :: v_dual_cndmask_b32 v74, 0, v31, vcc_lo
	v_cmp_gt_u32_e32 vcc_lo, s3, v53
	v_add_nc_u32_e32 v11, v75, v11
	s_delay_alu instid0(VALU_DEP_3) | instskip(SKIP_2) | instid1(VALU_DEP_2)
	v_dual_sub_nc_u32 v73, v19, v73 :: v_dual_sub_nc_u32 v74, v32, v74
	v_cndmask_b32_e32 v75, 0, v30, vcc_lo
	v_cmp_gt_u32_e32 vcc_lo, s3, v54
	v_dual_add_nc_u32 v32, v74, v32 :: v_dual_sub_nc_u32 v75, v31, v75
	v_cndmask_b32_e32 v76, 0, v29, vcc_lo
	v_cmp_gt_u32_e32 vcc_lo, s3, v55
	v_cndmask_b32_e32 v77, 0, v28, vcc_lo
	v_cmp_gt_u32_e32 vcc_lo, s3, v56
	s_delay_alu instid0(VALU_DEP_4) | instskip(SKIP_3) | instid1(VALU_DEP_4)
	v_dual_add_nc_u32 v14, v68, v14 :: v_dual_sub_nc_u32 v76, v30, v76
	v_add_nc_u32_e32 v31, v75, v31
	v_cndmask_b32_e32 v78, 0, v27, vcc_lo
	v_cmp_gt_u32_e32 vcc_lo, s3, v57
	v_dual_sub_nc_u32 v77, v29, v77 :: v_dual_add_nc_u32 v30, v76, v30
	s_delay_alu instid0(VALU_DEP_3) | instskip(SKIP_2) | instid1(VALU_DEP_3)
	v_sub_nc_u32_e32 v78, v28, v78
	v_cndmask_b32_e32 v67, 0, v26, vcc_lo
	v_cmp_gt_u32_e32 vcc_lo, s3, v58
	v_dual_add_nc_u32 v29, v77, v29 :: v_dual_add_nc_u32 v28, v78, v28
	v_cndmask_b32_e32 v68, 0, v25, vcc_lo
	v_cmp_gt_u32_e32 vcc_lo, s3, v59
	v_add_nc_u32_e32 v15, v69, v15
	s_delay_alu instid0(VALU_DEP_3) | instskip(SKIP_2) | instid1(VALU_DEP_3)
	v_dual_sub_nc_u32 v67, v27, v67 :: v_dual_sub_nc_u32 v68, v26, v68
	v_cndmask_b32_e32 v69, 0, v24, vcc_lo
	v_cmp_gt_u32_e32 vcc_lo, s3, v60
	v_dual_add_nc_u32 v16, v70, v16 :: v_dual_add_nc_u32 v27, v67, v27
	s_delay_alu instid0(VALU_DEP_4) | instskip(SKIP_2) | instid1(VALU_DEP_3)
	v_dual_add_nc_u32 v26, v68, v26 :: v_dual_cndmask_b32 v70, 0, v23, vcc_lo
	v_cmp_gt_u32_e32 vcc_lo, s3, v61
	v_add_nc_u32_e32 v17, v71, v17
	v_dual_sub_nc_u32 v69, v25, v69 :: v_dual_sub_nc_u32 v70, v24, v70
	v_cndmask_b32_e32 v71, 0, v22, vcc_lo
	v_cmp_gt_u32_e32 vcc_lo, s3, v62
	s_delay_alu instid0(VALU_DEP_3) | instskip(NEXT) | instid1(VALU_DEP_4)
	v_dual_add_nc_u32 v18, v72, v18 :: v_dual_add_nc_u32 v25, v69, v25
	v_dual_add_nc_u32 v24, v70, v24 :: v_dual_cndmask_b32 v72, 0, v21, vcc_lo
	v_cmp_gt_u32_e32 vcc_lo, s3, v63
	v_add_nc_u32_e32 v19, v73, v19
	v_sub_nc_u32_e32 v71, v23, v71
	s_add_co_i32 s3, s4, s3
	v_sub_nc_u32_e32 v72, v22, v72
	v_dual_cndmask_b32 v73, 0, v20 :: v_dual_add_nc_u32 v20, v66, v20
	s_delay_alu instid0(VALU_DEP_3) | instskip(SKIP_1) | instid1(VALU_DEP_2)
	v_add_nc_u32_e32 v23, v71, v23
	s_and_b32 s3, s3, 0x1fff
	v_dual_add_nc_u32 v22, v72, v22 :: v_dual_sub_nc_u32 v73, v21, v73
	s_cmp_lg_u32 s2, 0
	s_delay_alu instid0(VALU_DEP_1)
	v_add_nc_u32_e32 v21, v73, v21
	s_cbranch_scc0 .LBB185_4
.LBB185_2:                              ; =>This Inner Loop Header: Depth=1
	s_wait_loadcnt 0x0
	v_mov_b32_e32 v66, v20
	s_mov_b32 s5, exec_lo
	ds_store_b32 v65, v1 offset:1024
	s_wait_dscnt 0x0
	s_barrier_signal -1
	s_barrier_wait -1
	s_wait_kmcnt 0x0
	v_cmpx_gt_u32_e64 s3, v64
	s_cbranch_execz .LBB185_1
; %bb.3:                                ;   in Loop: Header=BB185_2 Depth=1
	ds_load_b32 v66, v65 offset:1028
	s_wait_dscnt 0x0
	v_sub_nc_u32_e32 v66, v20, v66
	s_branch .LBB185_1
.LBB185_4:
	s_add_nc_u64 s[0:1], s[0:1], s[8:9]
	s_clause 0x1f
	global_store_b32 v0, v1, s[0:1] scale_offset
	global_store_b32 v0, v5, s[0:1] offset:1024 scale_offset
	global_store_b32 v0, v4, s[0:1] offset:2048 scale_offset
	;; [unrolled: 1-line block ×31, first 2 shown]
	s_sendmsg sendmsg(MSG_DEALLOC_VGPRS)
	s_endpgm
	.section	.rodata,"a",@progbits
	.p2align	6, 0x0
	.amdhsa_kernel _Z6kernelI27subtract_right_partial_tileLj256ELj32ELb0EJPiS1_S1_jEEvDpT3_
		.amdhsa_group_segment_fixed_size 2048
		.amdhsa_private_segment_fixed_size 0
		.amdhsa_kernarg_size 28
		.amdhsa_user_sgpr_count 2
		.amdhsa_user_sgpr_dispatch_ptr 0
		.amdhsa_user_sgpr_queue_ptr 0
		.amdhsa_user_sgpr_kernarg_segment_ptr 1
		.amdhsa_user_sgpr_dispatch_id 0
		.amdhsa_user_sgpr_kernarg_preload_length 0
		.amdhsa_user_sgpr_kernarg_preload_offset 0
		.amdhsa_user_sgpr_private_segment_size 0
		.amdhsa_wavefront_size32 1
		.amdhsa_uses_dynamic_stack 0
		.amdhsa_enable_private_segment 0
		.amdhsa_system_sgpr_workgroup_id_x 1
		.amdhsa_system_sgpr_workgroup_id_y 0
		.amdhsa_system_sgpr_workgroup_id_z 0
		.amdhsa_system_sgpr_workgroup_info 0
		.amdhsa_system_vgpr_workitem_id 0
		.amdhsa_next_free_vgpr 79
		.amdhsa_next_free_sgpr 13
		.amdhsa_named_barrier_count 0
		.amdhsa_reserve_vcc 1
		.amdhsa_float_round_mode_32 0
		.amdhsa_float_round_mode_16_64 0
		.amdhsa_float_denorm_mode_32 3
		.amdhsa_float_denorm_mode_16_64 3
		.amdhsa_fp16_overflow 0
		.amdhsa_memory_ordered 1
		.amdhsa_forward_progress 1
		.amdhsa_inst_pref_size 15
		.amdhsa_round_robin_scheduling 0
		.amdhsa_exception_fp_ieee_invalid_op 0
		.amdhsa_exception_fp_denorm_src 0
		.amdhsa_exception_fp_ieee_div_zero 0
		.amdhsa_exception_fp_ieee_overflow 0
		.amdhsa_exception_fp_ieee_underflow 0
		.amdhsa_exception_fp_ieee_inexact 0
		.amdhsa_exception_int_div_zero 0
	.end_amdhsa_kernel
	.section	.text._Z6kernelI27subtract_right_partial_tileLj256ELj32ELb0EJPiS1_S1_jEEvDpT3_,"axG",@progbits,_Z6kernelI27subtract_right_partial_tileLj256ELj32ELb0EJPiS1_S1_jEEvDpT3_,comdat
.Lfunc_end185:
	.size	_Z6kernelI27subtract_right_partial_tileLj256ELj32ELb0EJPiS1_S1_jEEvDpT3_, .Lfunc_end185-_Z6kernelI27subtract_right_partial_tileLj256ELj32ELb0EJPiS1_S1_jEEvDpT3_
                                        ; -- End function
	.set _Z6kernelI27subtract_right_partial_tileLj256ELj32ELb0EJPiS1_S1_jEEvDpT3_.num_vgpr, 79
	.set _Z6kernelI27subtract_right_partial_tileLj256ELj32ELb0EJPiS1_S1_jEEvDpT3_.num_agpr, 0
	.set _Z6kernelI27subtract_right_partial_tileLj256ELj32ELb0EJPiS1_S1_jEEvDpT3_.numbered_sgpr, 13
	.set _Z6kernelI27subtract_right_partial_tileLj256ELj32ELb0EJPiS1_S1_jEEvDpT3_.num_named_barrier, 0
	.set _Z6kernelI27subtract_right_partial_tileLj256ELj32ELb0EJPiS1_S1_jEEvDpT3_.private_seg_size, 0
	.set _Z6kernelI27subtract_right_partial_tileLj256ELj32ELb0EJPiS1_S1_jEEvDpT3_.uses_vcc, 1
	.set _Z6kernelI27subtract_right_partial_tileLj256ELj32ELb0EJPiS1_S1_jEEvDpT3_.uses_flat_scratch, 0
	.set _Z6kernelI27subtract_right_partial_tileLj256ELj32ELb0EJPiS1_S1_jEEvDpT3_.has_dyn_sized_stack, 0
	.set _Z6kernelI27subtract_right_partial_tileLj256ELj32ELb0EJPiS1_S1_jEEvDpT3_.has_recursion, 0
	.set _Z6kernelI27subtract_right_partial_tileLj256ELj32ELb0EJPiS1_S1_jEEvDpT3_.has_indirect_call, 0
	.section	.AMDGPU.csdata,"",@progbits
; Kernel info:
; codeLenInByte = 1904
; TotalNumSgprs: 15
; NumVgprs: 79
; ScratchSize: 0
; MemoryBound: 0
; FloatMode: 240
; IeeeMode: 1
; LDSByteSize: 2048 bytes/workgroup (compile time only)
; SGPRBlocks: 0
; VGPRBlocks: 4
; NumSGPRsForWavesPerEU: 15
; NumVGPRsForWavesPerEU: 79
; NamedBarCnt: 0
; Occupancy: 12
; WaveLimiterHint : 1
; COMPUTE_PGM_RSRC2:SCRATCH_EN: 0
; COMPUTE_PGM_RSRC2:USER_SGPR: 2
; COMPUTE_PGM_RSRC2:TRAP_HANDLER: 0
; COMPUTE_PGM_RSRC2:TGID_X_EN: 1
; COMPUTE_PGM_RSRC2:TGID_Y_EN: 0
; COMPUTE_PGM_RSRC2:TGID_Z_EN: 0
; COMPUTE_PGM_RSRC2:TIDIG_COMP_CNT: 0
	.section	.text._Z6kernelI27subtract_right_partial_tileLj256ELj1ELb0EJPfPiS1_jEEvDpT3_,"axG",@progbits,_Z6kernelI27subtract_right_partial_tileLj256ELj1ELb0EJPfPiS1_jEEvDpT3_,comdat
	.protected	_Z6kernelI27subtract_right_partial_tileLj256ELj1ELb0EJPfPiS1_jEEvDpT3_ ; -- Begin function _Z6kernelI27subtract_right_partial_tileLj256ELj1ELb0EJPfPiS1_jEEvDpT3_
	.globl	_Z6kernelI27subtract_right_partial_tileLj256ELj1ELb0EJPfPiS1_jEEvDpT3_
	.p2align	8
	.type	_Z6kernelI27subtract_right_partial_tileLj256ELj1ELb0EJPfPiS1_jEEvDpT3_,@function
_Z6kernelI27subtract_right_partial_tileLj256ELj1ELb0EJPfPiS1_jEEvDpT3_: ; @_Z6kernelI27subtract_right_partial_tileLj256ELj1ELb0EJPfPiS1_jEEvDpT3_
; %bb.0:
	s_load_b128 s[8:11], s[0:1], 0x0
	s_bfe_u32 s2, ttmp6, 0x4000c
	s_and_b32 s3, ttmp6, 15
	s_add_co_i32 s2, s2, 1
	s_getreg_b32 s4, hwreg(HW_REG_IB_STS2, 6, 4)
	s_mul_i32 s2, ttmp9, s2
	v_add_nc_u32_e32 v3, 1, v0
	s_add_co_i32 s3, s3, s2
	s_cmp_eq_u32 s4, 0
	s_cselect_b32 s12, ttmp9, s3
	s_mov_b32 s3, 0
	s_lshl_b32 s2, s12, 8
	s_delay_alu instid0(SALU_CYCLE_1)
	s_lshl_b64 s[4:5], s[2:3], 2
	s_wait_xcnt 0x0
	s_load_b96 s[0:2], s[0:1], 0x10
	s_wait_kmcnt 0x0
	s_add_nc_u64 s[6:7], s[8:9], s[4:5]
	global_load_b32 v1, v0, s[6:7] scale_offset
	s_cvt_f32_u32 s3, s2
	s_wait_xcnt 0x0
	s_sub_co_i32 s6, 0, s2
	s_delay_alu instid0(SALU_CYCLE_1) | instskip(SKIP_1) | instid1(TRANS32_DEP_1)
	v_rcp_iflag_f32_e32 v2, s3
	v_nop
	v_readfirstlane_b32 s3, v2
	v_lshlrev_b32_e32 v2, 2, v0
	s_mul_f32 s3, s3, 0x4f7ffffe
	s_delay_alu instid0(SALU_CYCLE_3) | instskip(NEXT) | instid1(SALU_CYCLE_3)
	s_cvt_u32_f32 s3, s3
	s_mul_i32 s6, s6, s3
	s_delay_alu instid0(SALU_CYCLE_1) | instskip(NEXT) | instid1(SALU_CYCLE_1)
	s_mul_hi_u32 s6, s3, s6
	s_add_co_i32 s6, s3, s6
	s_load_b32 s3, s[10:11], s12 offset:0x0 scale_offset
	s_lshr_b32 s6, s6, 24
	s_delay_alu instid0(SALU_CYCLE_1) | instskip(SKIP_2) | instid1(SALU_CYCLE_1)
	s_mul_i32 s7, s6, s2
	s_add_co_i32 s8, s6, 1
	s_sub_co_i32 s7, 0x100, s7
	s_sub_co_i32 s9, s7, s2
	s_cmp_ge_u32 s7, s2
	s_cselect_b32 s6, s8, s6
	s_cselect_b32 s7, s9, s7
	s_add_co_i32 s8, s6, 1
	s_cmp_ge_u32 s7, s2
	s_cselect_b32 s6, s8, s6
	s_delay_alu instid0(SALU_CYCLE_1)
	s_add_co_i32 s6, s6, 1
	s_branch .LBB186_2
.LBB186_1:                              ;   in Loop: Header=BB186_2 Depth=1
	s_or_b32 exec_lo, exec_lo, s7
	s_add_co_i32 s3, s6, s3
	s_delay_alu instid0(VALU_DEP_1)
	v_add_f32_e32 v1, v1, v4
	s_add_co_i32 s2, s2, -1
	s_and_b32 s3, s3, 0xff
	s_cmp_lg_u32 s2, 0
	s_barrier_signal -1
	s_barrier_wait -1
	s_cbranch_scc0 .LBB186_4
.LBB186_2:                              ; =>This Inner Loop Header: Depth=1
	s_wait_loadcnt 0x0
	v_mov_b32_e32 v4, v1
	s_mov_b32 s7, exec_lo
	ds_store_b32 v2, v1 offset:1024
	s_wait_dscnt 0x0
	s_barrier_signal -1
	s_barrier_wait -1
	s_wait_kmcnt 0x0
	v_cmpx_gt_u32_e64 s3, v3
	s_cbranch_execz .LBB186_1
; %bb.3:                                ;   in Loop: Header=BB186_2 Depth=1
	ds_load_b32 v4, v2 offset:1028
	s_wait_dscnt 0x0
	v_sub_f32_e32 v4, v1, v4
	s_branch .LBB186_1
.LBB186_4:
	s_add_nc_u64 s[0:1], s[0:1], s[4:5]
	global_store_b32 v0, v1, s[0:1] scale_offset
	s_endpgm
	.section	.rodata,"a",@progbits
	.p2align	6, 0x0
	.amdhsa_kernel _Z6kernelI27subtract_right_partial_tileLj256ELj1ELb0EJPfPiS1_jEEvDpT3_
		.amdhsa_group_segment_fixed_size 2048
		.amdhsa_private_segment_fixed_size 0
		.amdhsa_kernarg_size 28
		.amdhsa_user_sgpr_count 2
		.amdhsa_user_sgpr_dispatch_ptr 0
		.amdhsa_user_sgpr_queue_ptr 0
		.amdhsa_user_sgpr_kernarg_segment_ptr 1
		.amdhsa_user_sgpr_dispatch_id 0
		.amdhsa_user_sgpr_kernarg_preload_length 0
		.amdhsa_user_sgpr_kernarg_preload_offset 0
		.amdhsa_user_sgpr_private_segment_size 0
		.amdhsa_wavefront_size32 1
		.amdhsa_uses_dynamic_stack 0
		.amdhsa_enable_private_segment 0
		.amdhsa_system_sgpr_workgroup_id_x 1
		.amdhsa_system_sgpr_workgroup_id_y 0
		.amdhsa_system_sgpr_workgroup_id_z 0
		.amdhsa_system_sgpr_workgroup_info 0
		.amdhsa_system_vgpr_workitem_id 0
		.amdhsa_next_free_vgpr 5
		.amdhsa_next_free_sgpr 13
		.amdhsa_named_barrier_count 0
		.amdhsa_reserve_vcc 0
		.amdhsa_float_round_mode_32 0
		.amdhsa_float_round_mode_16_64 0
		.amdhsa_float_denorm_mode_32 3
		.amdhsa_float_denorm_mode_16_64 3
		.amdhsa_fp16_overflow 0
		.amdhsa_memory_ordered 1
		.amdhsa_forward_progress 1
		.amdhsa_inst_pref_size 3
		.amdhsa_round_robin_scheduling 0
		.amdhsa_exception_fp_ieee_invalid_op 0
		.amdhsa_exception_fp_denorm_src 0
		.amdhsa_exception_fp_ieee_div_zero 0
		.amdhsa_exception_fp_ieee_overflow 0
		.amdhsa_exception_fp_ieee_underflow 0
		.amdhsa_exception_fp_ieee_inexact 0
		.amdhsa_exception_int_div_zero 0
	.end_amdhsa_kernel
	.section	.text._Z6kernelI27subtract_right_partial_tileLj256ELj1ELb0EJPfPiS1_jEEvDpT3_,"axG",@progbits,_Z6kernelI27subtract_right_partial_tileLj256ELj1ELb0EJPfPiS1_jEEvDpT3_,comdat
.Lfunc_end186:
	.size	_Z6kernelI27subtract_right_partial_tileLj256ELj1ELb0EJPfPiS1_jEEvDpT3_, .Lfunc_end186-_Z6kernelI27subtract_right_partial_tileLj256ELj1ELb0EJPfPiS1_jEEvDpT3_
                                        ; -- End function
	.set _Z6kernelI27subtract_right_partial_tileLj256ELj1ELb0EJPfPiS1_jEEvDpT3_.num_vgpr, 5
	.set _Z6kernelI27subtract_right_partial_tileLj256ELj1ELb0EJPfPiS1_jEEvDpT3_.num_agpr, 0
	.set _Z6kernelI27subtract_right_partial_tileLj256ELj1ELb0EJPfPiS1_jEEvDpT3_.numbered_sgpr, 13
	.set _Z6kernelI27subtract_right_partial_tileLj256ELj1ELb0EJPfPiS1_jEEvDpT3_.num_named_barrier, 0
	.set _Z6kernelI27subtract_right_partial_tileLj256ELj1ELb0EJPfPiS1_jEEvDpT3_.private_seg_size, 0
	.set _Z6kernelI27subtract_right_partial_tileLj256ELj1ELb0EJPfPiS1_jEEvDpT3_.uses_vcc, 0
	.set _Z6kernelI27subtract_right_partial_tileLj256ELj1ELb0EJPfPiS1_jEEvDpT3_.uses_flat_scratch, 0
	.set _Z6kernelI27subtract_right_partial_tileLj256ELj1ELb0EJPfPiS1_jEEvDpT3_.has_dyn_sized_stack, 0
	.set _Z6kernelI27subtract_right_partial_tileLj256ELj1ELb0EJPfPiS1_jEEvDpT3_.has_recursion, 0
	.set _Z6kernelI27subtract_right_partial_tileLj256ELj1ELb0EJPfPiS1_jEEvDpT3_.has_indirect_call, 0
	.section	.AMDGPU.csdata,"",@progbits
; Kernel info:
; codeLenInByte = 364
; TotalNumSgprs: 13
; NumVgprs: 5
; ScratchSize: 0
; MemoryBound: 0
; FloatMode: 240
; IeeeMode: 1
; LDSByteSize: 2048 bytes/workgroup (compile time only)
; SGPRBlocks: 0
; VGPRBlocks: 0
; NumSGPRsForWavesPerEU: 13
; NumVGPRsForWavesPerEU: 5
; NamedBarCnt: 0
; Occupancy: 16
; WaveLimiterHint : 0
; COMPUTE_PGM_RSRC2:SCRATCH_EN: 0
; COMPUTE_PGM_RSRC2:USER_SGPR: 2
; COMPUTE_PGM_RSRC2:TRAP_HANDLER: 0
; COMPUTE_PGM_RSRC2:TGID_X_EN: 1
; COMPUTE_PGM_RSRC2:TGID_Y_EN: 0
; COMPUTE_PGM_RSRC2:TGID_Z_EN: 0
; COMPUTE_PGM_RSRC2:TIDIG_COMP_CNT: 0
	.section	.text._Z6kernelI27subtract_right_partial_tileLj256ELj3ELb0EJPfPiS1_jEEvDpT3_,"axG",@progbits,_Z6kernelI27subtract_right_partial_tileLj256ELj3ELb0EJPfPiS1_jEEvDpT3_,comdat
	.protected	_Z6kernelI27subtract_right_partial_tileLj256ELj3ELb0EJPfPiS1_jEEvDpT3_ ; -- Begin function _Z6kernelI27subtract_right_partial_tileLj256ELj3ELb0EJPfPiS1_jEEvDpT3_
	.globl	_Z6kernelI27subtract_right_partial_tileLj256ELj3ELb0EJPfPiS1_jEEvDpT3_
	.p2align	8
	.type	_Z6kernelI27subtract_right_partial_tileLj256ELj3ELb0EJPfPiS1_jEEvDpT3_,@function
_Z6kernelI27subtract_right_partial_tileLj256ELj3ELb0EJPfPiS1_jEEvDpT3_: ; @_Z6kernelI27subtract_right_partial_tileLj256ELj3ELb0EJPfPiS1_jEEvDpT3_
; %bb.0:
	s_load_b128 s[8:11], s[0:1], 0x0
	s_bfe_u32 s2, ttmp6, 0x4000c
	s_and_b32 s3, ttmp6, 15
	s_add_co_i32 s2, s2, 1
	s_getreg_b32 s4, hwreg(HW_REG_IB_STS2, 6, 4)
	s_mul_i32 s2, ttmp9, s2
	v_mad_u32_u24 v5, v0, 3, 1
	s_add_co_i32 s3, s3, s2
	s_cmp_eq_u32 s4, 0
	v_mad_u32_u24 v6, v0, 3, 2
	s_cselect_b32 s12, ttmp9, s3
	s_mov_b32 s3, 0
	s_mul_i32 s2, s12, 0x300
	v_mad_u32_u24 v7, v0, 3, 3
	s_lshl_b64 s[4:5], s[2:3], 2
	s_wait_xcnt 0x0
	s_load_b96 s[0:2], s[0:1], 0x10
	s_wait_kmcnt 0x0
	s_add_nc_u64 s[6:7], s[8:9], s[4:5]
	s_clause 0x2
	global_load_b32 v1, v0, s[6:7] scale_offset
	global_load_b32 v2, v0, s[6:7] offset:1024 scale_offset
	global_load_b32 v3, v0, s[6:7] offset:2048 scale_offset
	s_cvt_f32_u32 s3, s2
	s_wait_xcnt 0x0
	s_sub_co_i32 s6, 0, s2
	s_delay_alu instid0(SALU_CYCLE_1) | instskip(SKIP_1) | instid1(TRANS32_DEP_1)
	v_rcp_iflag_f32_e32 v4, s3
	v_nop
	v_readfirstlane_b32 s3, v4
	v_lshlrev_b32_e32 v4, 2, v0
	s_mul_f32 s3, s3, 0x4f7ffffe
	s_delay_alu instid0(SALU_CYCLE_3) | instskip(NEXT) | instid1(SALU_CYCLE_3)
	s_cvt_u32_f32 s3, s3
	s_mul_i32 s6, s6, s3
	s_delay_alu instid0(SALU_CYCLE_1) | instskip(NEXT) | instid1(SALU_CYCLE_1)
	s_mul_hi_u32 s6, s3, s6
	s_add_co_i32 s3, s3, s6
	s_delay_alu instid0(SALU_CYCLE_1)
	s_mul_hi_u32 s7, s3, 0x300
	s_load_b32 s3, s[10:11], s12 offset:0x0 scale_offset
	s_mul_i32 s6, s7, s2
	s_add_co_i32 s9, s7, 1
	s_sub_co_i32 s8, 0x300, s6
	s_mov_b32 s6, s0
	s_wait_xcnt 0x0
	s_sub_co_i32 s10, s8, s2
	s_cmp_ge_u32 s8, s2
	s_cselect_b32 s0, s9, s7
	s_cselect_b32 s7, s10, s8
	s_add_co_i32 s8, s0, 1
	s_cmp_ge_u32 s7, s2
	s_mov_b32 s7, s1
	s_cselect_b32 s0, s8, s0
	s_delay_alu instid0(SALU_CYCLE_1)
	s_add_co_i32 s1, s0, 1
	s_branch .LBB187_2
.LBB187_1:                              ;   in Loop: Header=BB187_2 Depth=1
	s_or_b32 exec_lo, exec_lo, s8
	s_add_co_i32 s0, s1, s3
	v_dual_add_f32 v2, v2, v9 :: v_dual_add_f32 v1, v1, v8
	s_mul_hi_u32 s3, s0, 0xaaaaaaab
	v_add_f32_e32 v3, v3, v10
	s_lshr_b32 s3, s3, 9
	s_add_co_i32 s2, s2, -1
	s_mulk_i32 s3, 0x300
	s_delay_alu instid0(SALU_CYCLE_1)
	s_sub_co_i32 s3, s0, s3
	s_cmp_lg_u32 s2, 0
	s_barrier_signal -1
	s_barrier_wait -1
	s_cbranch_scc0 .LBB187_4
.LBB187_2:                              ; =>This Inner Loop Header: Depth=1
	s_wait_loadcnt 0x0
	v_dual_sub_f32 v8, v1, v2 :: v_dual_sub_f32 v9, v2, v3
	s_wait_kmcnt 0x0
	v_cmp_gt_u32_e32 vcc_lo, s3, v5
	s_mov_b32 s8, exec_lo
	ds_store_b32 v4, v1 offset:1024
	s_wait_dscnt 0x0
	s_barrier_signal -1
	v_cndmask_b32_e32 v8, v1, v8, vcc_lo
	v_cmp_gt_u32_e32 vcc_lo, s3, v6
	s_barrier_wait -1
	v_mov_b32_e32 v10, v3
	s_delay_alu instid0(VALU_DEP_3)
	v_dual_cndmask_b32 v9, v2, v9 :: v_dual_cndmask_b32 v8, v8, v8
	v_cmpx_gt_u32_e64 s3, v7
	s_cbranch_execz .LBB187_1
; %bb.3:                                ;   in Loop: Header=BB187_2 Depth=1
	ds_load_b32 v10, v4 offset:1028
	s_wait_dscnt 0x0
	v_sub_f32_e32 v10, v3, v10
	s_branch .LBB187_1
.LBB187_4:
	s_add_nc_u64 s[0:1], s[6:7], s[4:5]
	s_clause 0x2
	global_store_b32 v0, v1, s[0:1] scale_offset
	global_store_b32 v0, v2, s[0:1] offset:1024 scale_offset
	global_store_b32 v0, v3, s[0:1] offset:2048 scale_offset
	s_endpgm
	.section	.rodata,"a",@progbits
	.p2align	6, 0x0
	.amdhsa_kernel _Z6kernelI27subtract_right_partial_tileLj256ELj3ELb0EJPfPiS1_jEEvDpT3_
		.amdhsa_group_segment_fixed_size 2048
		.amdhsa_private_segment_fixed_size 0
		.amdhsa_kernarg_size 28
		.amdhsa_user_sgpr_count 2
		.amdhsa_user_sgpr_dispatch_ptr 0
		.amdhsa_user_sgpr_queue_ptr 0
		.amdhsa_user_sgpr_kernarg_segment_ptr 1
		.amdhsa_user_sgpr_dispatch_id 0
		.amdhsa_user_sgpr_kernarg_preload_length 0
		.amdhsa_user_sgpr_kernarg_preload_offset 0
		.amdhsa_user_sgpr_private_segment_size 0
		.amdhsa_wavefront_size32 1
		.amdhsa_uses_dynamic_stack 0
		.amdhsa_enable_private_segment 0
		.amdhsa_system_sgpr_workgroup_id_x 1
		.amdhsa_system_sgpr_workgroup_id_y 0
		.amdhsa_system_sgpr_workgroup_id_z 0
		.amdhsa_system_sgpr_workgroup_info 0
		.amdhsa_system_vgpr_workitem_id 0
		.amdhsa_next_free_vgpr 11
		.amdhsa_next_free_sgpr 13
		.amdhsa_named_barrier_count 0
		.amdhsa_reserve_vcc 1
		.amdhsa_float_round_mode_32 0
		.amdhsa_float_round_mode_16_64 0
		.amdhsa_float_denorm_mode_32 3
		.amdhsa_float_denorm_mode_16_64 3
		.amdhsa_fp16_overflow 0
		.amdhsa_memory_ordered 1
		.amdhsa_forward_progress 1
		.amdhsa_inst_pref_size 4
		.amdhsa_round_robin_scheduling 0
		.amdhsa_exception_fp_ieee_invalid_op 0
		.amdhsa_exception_fp_denorm_src 0
		.amdhsa_exception_fp_ieee_div_zero 0
		.amdhsa_exception_fp_ieee_overflow 0
		.amdhsa_exception_fp_ieee_underflow 0
		.amdhsa_exception_fp_ieee_inexact 0
		.amdhsa_exception_int_div_zero 0
	.end_amdhsa_kernel
	.section	.text._Z6kernelI27subtract_right_partial_tileLj256ELj3ELb0EJPfPiS1_jEEvDpT3_,"axG",@progbits,_Z6kernelI27subtract_right_partial_tileLj256ELj3ELb0EJPfPiS1_jEEvDpT3_,comdat
.Lfunc_end187:
	.size	_Z6kernelI27subtract_right_partial_tileLj256ELj3ELb0EJPfPiS1_jEEvDpT3_, .Lfunc_end187-_Z6kernelI27subtract_right_partial_tileLj256ELj3ELb0EJPfPiS1_jEEvDpT3_
                                        ; -- End function
	.set _Z6kernelI27subtract_right_partial_tileLj256ELj3ELb0EJPfPiS1_jEEvDpT3_.num_vgpr, 11
	.set _Z6kernelI27subtract_right_partial_tileLj256ELj3ELb0EJPfPiS1_jEEvDpT3_.num_agpr, 0
	.set _Z6kernelI27subtract_right_partial_tileLj256ELj3ELb0EJPfPiS1_jEEvDpT3_.numbered_sgpr, 13
	.set _Z6kernelI27subtract_right_partial_tileLj256ELj3ELb0EJPfPiS1_jEEvDpT3_.num_named_barrier, 0
	.set _Z6kernelI27subtract_right_partial_tileLj256ELj3ELb0EJPfPiS1_jEEvDpT3_.private_seg_size, 0
	.set _Z6kernelI27subtract_right_partial_tileLj256ELj3ELb0EJPfPiS1_jEEvDpT3_.uses_vcc, 1
	.set _Z6kernelI27subtract_right_partial_tileLj256ELj3ELb0EJPfPiS1_jEEvDpT3_.uses_flat_scratch, 0
	.set _Z6kernelI27subtract_right_partial_tileLj256ELj3ELb0EJPfPiS1_jEEvDpT3_.has_dyn_sized_stack, 0
	.set _Z6kernelI27subtract_right_partial_tileLj256ELj3ELb0EJPfPiS1_jEEvDpT3_.has_recursion, 0
	.set _Z6kernelI27subtract_right_partial_tileLj256ELj3ELb0EJPfPiS1_jEEvDpT3_.has_indirect_call, 0
	.section	.AMDGPU.csdata,"",@progbits
; Kernel info:
; codeLenInByte = 508
; TotalNumSgprs: 15
; NumVgprs: 11
; ScratchSize: 0
; MemoryBound: 0
; FloatMode: 240
; IeeeMode: 1
; LDSByteSize: 2048 bytes/workgroup (compile time only)
; SGPRBlocks: 0
; VGPRBlocks: 0
; NumSGPRsForWavesPerEU: 15
; NumVGPRsForWavesPerEU: 11
; NamedBarCnt: 0
; Occupancy: 16
; WaveLimiterHint : 1
; COMPUTE_PGM_RSRC2:SCRATCH_EN: 0
; COMPUTE_PGM_RSRC2:USER_SGPR: 2
; COMPUTE_PGM_RSRC2:TRAP_HANDLER: 0
; COMPUTE_PGM_RSRC2:TGID_X_EN: 1
; COMPUTE_PGM_RSRC2:TGID_Y_EN: 0
; COMPUTE_PGM_RSRC2:TGID_Z_EN: 0
; COMPUTE_PGM_RSRC2:TIDIG_COMP_CNT: 0
	.section	.text._Z6kernelI27subtract_right_partial_tileLj256ELj4ELb0EJPfPiS1_jEEvDpT3_,"axG",@progbits,_Z6kernelI27subtract_right_partial_tileLj256ELj4ELb0EJPfPiS1_jEEvDpT3_,comdat
	.protected	_Z6kernelI27subtract_right_partial_tileLj256ELj4ELb0EJPfPiS1_jEEvDpT3_ ; -- Begin function _Z6kernelI27subtract_right_partial_tileLj256ELj4ELb0EJPfPiS1_jEEvDpT3_
	.globl	_Z6kernelI27subtract_right_partial_tileLj256ELj4ELb0EJPfPiS1_jEEvDpT3_
	.p2align	8
	.type	_Z6kernelI27subtract_right_partial_tileLj256ELj4ELb0EJPfPiS1_jEEvDpT3_,@function
_Z6kernelI27subtract_right_partial_tileLj256ELj4ELb0EJPfPiS1_jEEvDpT3_: ; @_Z6kernelI27subtract_right_partial_tileLj256ELj4ELb0EJPfPiS1_jEEvDpT3_
; %bb.0:
	s_load_b128 s[8:11], s[0:1], 0x0
	s_bfe_u32 s2, ttmp6, 0x4000c
	s_and_b32 s3, ttmp6, 15
	s_add_co_i32 s2, s2, 1
	s_getreg_b32 s4, hwreg(HW_REG_IB_STS2, 6, 4)
	s_mul_i32 s2, ttmp9, s2
	s_delay_alu instid0(SALU_CYCLE_1) | instskip(SKIP_4) | instid1(SALU_CYCLE_1)
	s_add_co_i32 s3, s3, s2
	s_cmp_eq_u32 s4, 0
	s_cselect_b32 s12, ttmp9, s3
	s_mov_b32 s3, 0
	s_lshl_b32 s2, s12, 10
	s_lshl_b64 s[4:5], s[2:3], 2
	s_wait_xcnt 0x0
	s_load_b96 s[0:2], s[0:1], 0x10
	s_wait_kmcnt 0x0
	s_add_nc_u64 s[6:7], s[8:9], s[4:5]
	s_clause 0x3
	global_load_b32 v4, v0, s[6:7] scale_offset
	global_load_b32 v5, v0, s[6:7] offset:1024 scale_offset
	global_load_b32 v2, v0, s[6:7] offset:2048 scale_offset
	global_load_b32 v3, v0, s[6:7] offset:3072 scale_offset
	s_cvt_f32_u32 s3, s2
	s_wait_xcnt 0x0
	s_sub_co_i32 s6, 0, s2
	s_delay_alu instid0(SALU_CYCLE_1) | instskip(SKIP_1) | instid1(TRANS32_DEP_1)
	v_rcp_iflag_f32_e32 v1, s3
	v_nop
	v_readfirstlane_b32 s3, v1
	v_lshlrev_b32_e32 v1, 2, v0
	s_mul_f32 s3, s3, 0x4f7ffffe
	s_delay_alu instid0(VALU_DEP_1) | instskip(SKIP_1) | instid1(SALU_CYCLE_1)
	v_dual_add_nc_u32 v13, 4, v1 :: v_dual_bitop2_b32 v10, 1, v1 bitop3:0x54
	v_or_b32_e32 v11, 2, v1
	s_cvt_u32_f32 s3, s3
	v_or_b32_e32 v12, 3, v1
	s_delay_alu instid0(SALU_CYCLE_2) | instskip(NEXT) | instid1(SALU_CYCLE_1)
	s_mul_i32 s6, s6, s3
	s_mul_hi_u32 s6, s3, s6
	s_delay_alu instid0(SALU_CYCLE_1) | instskip(SKIP_4) | instid1(SALU_CYCLE_1)
	s_add_co_i32 s3, s3, s6
	s_mov_b32 s6, s0
	s_lshr_b32 s7, s3, 22
	s_load_b32 s3, s[10:11], s12 offset:0x0 scale_offset
	s_mul_i32 s8, s7, s2
	s_sub_co_i32 s0, 0x400, s8
	s_add_co_i32 s8, s7, 1
	s_sub_co_i32 s9, s0, s2
	s_cmp_ge_u32 s0, s2
	s_cselect_b32 s7, s8, s7
	s_cselect_b32 s0, s9, s0
	s_add_co_i32 s8, s7, 1
	s_cmp_ge_u32 s0, s2
	s_cselect_b32 s0, s8, s7
	s_mov_b32 s7, s1
	s_add_co_i32 s1, s0, 1
	s_branch .LBB188_2
.LBB188_1:                              ;   in Loop: Header=BB188_2 Depth=1
	s_or_b32 exec_lo, exec_lo, s0
	s_delay_alu instid0(VALU_DEP_1)
	v_pk_add_f32 v[2:3], v[2:3], v[8:9]
	s_add_co_i32 s0, s1, s3
	v_pk_add_f32 v[4:5], v[4:5], v[6:7]
	s_add_co_i32 s2, s2, -1
	s_and_b32 s3, s0, 0x3ff
	s_cmp_lg_u32 s2, 0
	s_barrier_signal -1
	s_barrier_wait -1
	s_cbranch_scc0 .LBB188_4
.LBB188_2:                              ; =>This Inner Loop Header: Depth=1
	s_wait_loadcnt 0x1
	v_dual_sub_f32 v6, v5, v2 :: v_dual_sub_f32 v8, v4, v5
	s_wait_kmcnt 0x0
	v_cmp_gt_u32_e64 s0, s3, v11
	s_wait_loadcnt 0x0
	v_sub_f32_e32 v9, v2, v3
	v_cmp_gt_u32_e32 vcc_lo, s3, v12
	ds_store_b32 v1, v4 offset:1024
	s_wait_dscnt 0x0
	v_cndmask_b32_e64 v7, v5, v6, s0
	v_cmp_gt_u32_e64 s0, s3, v10
	s_barrier_signal -1
	s_barrier_wait -1
	s_delay_alu instid0(VALU_DEP_1) | instskip(SKIP_3) | instid1(VALU_DEP_3)
	v_dual_cndmask_b32 v6, v4, v8, s0 :: v_dual_cndmask_b32 v8, v2, v9, vcc_lo
	v_cndmask_b32_e32 v7, v7, v7, vcc_lo
	v_mov_b32_e32 v9, v3
	s_mov_b32 s0, exec_lo
	v_cndmask_b32_e32 v6, v6, v6, vcc_lo
	v_cmpx_gt_u32_e64 s3, v13
	s_cbranch_execz .LBB188_1
; %bb.3:                                ;   in Loop: Header=BB188_2 Depth=1
	ds_load_b32 v9, v1 offset:1028
	s_wait_dscnt 0x0
	v_sub_f32_e32 v9, v3, v9
	s_branch .LBB188_1
.LBB188_4:
	s_add_nc_u64 s[0:1], s[6:7], s[4:5]
	s_clause 0x3
	global_store_b32 v0, v4, s[0:1] scale_offset
	global_store_b32 v0, v5, s[0:1] offset:1024 scale_offset
	global_store_b32 v0, v2, s[0:1] offset:2048 scale_offset
	;; [unrolled: 1-line block ×3, first 2 shown]
	s_endpgm
	.section	.rodata,"a",@progbits
	.p2align	6, 0x0
	.amdhsa_kernel _Z6kernelI27subtract_right_partial_tileLj256ELj4ELb0EJPfPiS1_jEEvDpT3_
		.amdhsa_group_segment_fixed_size 2048
		.amdhsa_private_segment_fixed_size 0
		.amdhsa_kernarg_size 28
		.amdhsa_user_sgpr_count 2
		.amdhsa_user_sgpr_dispatch_ptr 0
		.amdhsa_user_sgpr_queue_ptr 0
		.amdhsa_user_sgpr_kernarg_segment_ptr 1
		.amdhsa_user_sgpr_dispatch_id 0
		.amdhsa_user_sgpr_kernarg_preload_length 0
		.amdhsa_user_sgpr_kernarg_preload_offset 0
		.amdhsa_user_sgpr_private_segment_size 0
		.amdhsa_wavefront_size32 1
		.amdhsa_uses_dynamic_stack 0
		.amdhsa_enable_private_segment 0
		.amdhsa_system_sgpr_workgroup_id_x 1
		.amdhsa_system_sgpr_workgroup_id_y 0
		.amdhsa_system_sgpr_workgroup_id_z 0
		.amdhsa_system_sgpr_workgroup_info 0
		.amdhsa_system_vgpr_workitem_id 0
		.amdhsa_next_free_vgpr 14
		.amdhsa_next_free_sgpr 13
		.amdhsa_named_barrier_count 0
		.amdhsa_reserve_vcc 1
		.amdhsa_float_round_mode_32 0
		.amdhsa_float_round_mode_16_64 0
		.amdhsa_float_denorm_mode_32 3
		.amdhsa_float_denorm_mode_16_64 3
		.amdhsa_fp16_overflow 0
		.amdhsa_memory_ordered 1
		.amdhsa_forward_progress 1
		.amdhsa_inst_pref_size 5
		.amdhsa_round_robin_scheduling 0
		.amdhsa_exception_fp_ieee_invalid_op 0
		.amdhsa_exception_fp_denorm_src 0
		.amdhsa_exception_fp_ieee_div_zero 0
		.amdhsa_exception_fp_ieee_overflow 0
		.amdhsa_exception_fp_ieee_underflow 0
		.amdhsa_exception_fp_ieee_inexact 0
		.amdhsa_exception_int_div_zero 0
	.end_amdhsa_kernel
	.section	.text._Z6kernelI27subtract_right_partial_tileLj256ELj4ELb0EJPfPiS1_jEEvDpT3_,"axG",@progbits,_Z6kernelI27subtract_right_partial_tileLj256ELj4ELb0EJPfPiS1_jEEvDpT3_,comdat
.Lfunc_end188:
	.size	_Z6kernelI27subtract_right_partial_tileLj256ELj4ELb0EJPfPiS1_jEEvDpT3_, .Lfunc_end188-_Z6kernelI27subtract_right_partial_tileLj256ELj4ELb0EJPfPiS1_jEEvDpT3_
                                        ; -- End function
	.set _Z6kernelI27subtract_right_partial_tileLj256ELj4ELb0EJPfPiS1_jEEvDpT3_.num_vgpr, 14
	.set _Z6kernelI27subtract_right_partial_tileLj256ELj4ELb0EJPfPiS1_jEEvDpT3_.num_agpr, 0
	.set _Z6kernelI27subtract_right_partial_tileLj256ELj4ELb0EJPfPiS1_jEEvDpT3_.numbered_sgpr, 13
	.set _Z6kernelI27subtract_right_partial_tileLj256ELj4ELb0EJPfPiS1_jEEvDpT3_.num_named_barrier, 0
	.set _Z6kernelI27subtract_right_partial_tileLj256ELj4ELb0EJPfPiS1_jEEvDpT3_.private_seg_size, 0
	.set _Z6kernelI27subtract_right_partial_tileLj256ELj4ELb0EJPfPiS1_jEEvDpT3_.uses_vcc, 1
	.set _Z6kernelI27subtract_right_partial_tileLj256ELj4ELb0EJPfPiS1_jEEvDpT3_.uses_flat_scratch, 0
	.set _Z6kernelI27subtract_right_partial_tileLj256ELj4ELb0EJPfPiS1_jEEvDpT3_.has_dyn_sized_stack, 0
	.set _Z6kernelI27subtract_right_partial_tileLj256ELj4ELb0EJPfPiS1_jEEvDpT3_.has_recursion, 0
	.set _Z6kernelI27subtract_right_partial_tileLj256ELj4ELb0EJPfPiS1_jEEvDpT3_.has_indirect_call, 0
	.section	.AMDGPU.csdata,"",@progbits
; Kernel info:
; codeLenInByte = 548
; TotalNumSgprs: 15
; NumVgprs: 14
; ScratchSize: 0
; MemoryBound: 0
; FloatMode: 240
; IeeeMode: 1
; LDSByteSize: 2048 bytes/workgroup (compile time only)
; SGPRBlocks: 0
; VGPRBlocks: 0
; NumSGPRsForWavesPerEU: 15
; NumVGPRsForWavesPerEU: 14
; NamedBarCnt: 0
; Occupancy: 16
; WaveLimiterHint : 1
; COMPUTE_PGM_RSRC2:SCRATCH_EN: 0
; COMPUTE_PGM_RSRC2:USER_SGPR: 2
; COMPUTE_PGM_RSRC2:TRAP_HANDLER: 0
; COMPUTE_PGM_RSRC2:TGID_X_EN: 1
; COMPUTE_PGM_RSRC2:TGID_Y_EN: 0
; COMPUTE_PGM_RSRC2:TGID_Z_EN: 0
; COMPUTE_PGM_RSRC2:TIDIG_COMP_CNT: 0
	.section	.text._Z6kernelI27subtract_right_partial_tileLj256ELj8ELb0EJPfPiS1_jEEvDpT3_,"axG",@progbits,_Z6kernelI27subtract_right_partial_tileLj256ELj8ELb0EJPfPiS1_jEEvDpT3_,comdat
	.protected	_Z6kernelI27subtract_right_partial_tileLj256ELj8ELb0EJPfPiS1_jEEvDpT3_ ; -- Begin function _Z6kernelI27subtract_right_partial_tileLj256ELj8ELb0EJPfPiS1_jEEvDpT3_
	.globl	_Z6kernelI27subtract_right_partial_tileLj256ELj8ELb0EJPfPiS1_jEEvDpT3_
	.p2align	8
	.type	_Z6kernelI27subtract_right_partial_tileLj256ELj8ELb0EJPfPiS1_jEEvDpT3_,@function
_Z6kernelI27subtract_right_partial_tileLj256ELj8ELb0EJPfPiS1_jEEvDpT3_: ; @_Z6kernelI27subtract_right_partial_tileLj256ELj8ELb0EJPfPiS1_jEEvDpT3_
; %bb.0:
	s_load_b128 s[4:7], s[0:1], 0x0
	s_bfe_u32 s2, ttmp6, 0x4000c
	s_and_b32 s3, ttmp6, 15
	s_add_co_i32 s2, s2, 1
	s_getreg_b32 s8, hwreg(HW_REG_IB_STS2, 6, 4)
	s_mul_i32 s2, ttmp9, s2
	v_dual_lshlrev_b32 v4, 3, v0 :: v_dual_lshlrev_b32 v21, 2, v0
	s_add_co_i32 s3, s3, s2
	s_cmp_eq_u32 s8, 0
	s_cselect_b32 s10, ttmp9, s3
	s_mov_b32 s3, 0
	s_lshl_b32 s2, s10, 11
	v_or_b32_e32 v12, 1, v4
	s_lshl_b64 s[8:9], s[2:3], 2
	s_wait_xcnt 0x0
	s_load_b96 s[0:2], s[0:1], 0x10
	v_or_b32_e32 v13, 4, v4
	v_or_b32_e32 v16, 3, v4
	;; [unrolled: 1-line block ×3, first 2 shown]
	s_wait_kmcnt 0x0
	s_add_nc_u64 s[4:5], s[4:5], s[8:9]
	v_or_b32_e32 v20, 5, v4
	s_clause 0x7
	global_load_b32 v2, v0, s[4:5] scale_offset
	global_load_b32 v3, v0, s[4:5] offset:1024 scale_offset
	global_load_b32 v19, v0, s[4:5] offset:2048 scale_offset
	;; [unrolled: 1-line block ×7, first 2 shown]
	v_dual_add_nc_u32 v25, 8, v4 :: v_dual_bitop2_b32 v24, 7, v4 bitop3:0x54
	s_cvt_f32_u32 s3, s2
	s_wait_xcnt 0x0
	s_sub_co_i32 s4, 0, s2
	s_delay_alu instid0(SALU_CYCLE_1) | instskip(SKIP_1) | instid1(TRANS32_DEP_1)
	v_rcp_iflag_f32_e32 v1, s3
	v_nop
	v_readfirstlane_b32 s3, v1
	v_or_b32_e32 v1, 2, v4
	s_mul_f32 s3, s3, 0x4f7ffffe
	s_delay_alu instid0(SALU_CYCLE_3) | instskip(NEXT) | instid1(SALU_CYCLE_3)
	s_cvt_u32_f32 s3, s3
	s_mul_i32 s4, s4, s3
	s_delay_alu instid0(SALU_CYCLE_1) | instskip(NEXT) | instid1(SALU_CYCLE_1)
	s_mul_hi_u32 s4, s3, s4
	s_add_co_i32 s3, s3, s4
	s_delay_alu instid0(SALU_CYCLE_1)
	s_lshr_b32 s4, s3, 21
	s_load_b32 s3, s[6:7], s10 offset:0x0 scale_offset
	s_mul_i32 s5, s4, s2
	s_wait_xcnt 0x0
	s_add_co_i32 s6, s4, 1
	s_sub_co_i32 s5, 0x800, s5
	s_delay_alu instid0(SALU_CYCLE_1)
	s_sub_co_i32 s7, s5, s2
	s_cmp_ge_u32 s5, s2
	s_cselect_b32 s4, s6, s4
	s_cselect_b32 s5, s7, s5
	s_add_co_i32 s6, s4, 1
	s_cmp_ge_u32 s5, s2
	s_cselect_b32 s4, s6, s4
	s_delay_alu instid0(SALU_CYCLE_1)
	s_add_co_i32 s4, s4, 1
	s_branch .LBB189_2
.LBB189_1:                              ;   in Loop: Header=BB189_2 Depth=1
	s_or_b32 exec_lo, exec_lo, s5
	v_dual_mov_b32 v18, v3 :: v_dual_mov_b32 v8, v19
	v_dual_mov_b32 v14, v9 :: v_dual_mov_b32 v6, v15
	v_cmp_gt_u32_e32 vcc_lo, s3, v1
	s_delay_alu instid0(VALU_DEP_3) | instskip(SKIP_1) | instid1(VALU_DEP_3)
	v_pk_add_f32 v[26:27], v[2:3], v[18:19] neg_lo:[0,1] neg_hi:[0,1]
	s_add_co_i32 s2, s2, -1
	v_pk_add_f32 v[28:29], v[8:9], v[14:15] neg_lo:[0,1] neg_hi:[0,1]
	s_barrier_signal -1
	s_delay_alu instid0(VALU_DEP_2)
	v_cndmask_b32_e32 v27, v3, v27, vcc_lo
	v_cmp_gt_u32_e32 vcc_lo, s3, v12
	v_mov_b32_e32 v10, v7
	s_barrier_wait -1
	v_cndmask_b32_e32 v26, v2, v26, vcc_lo
	v_cmp_gt_u32_e32 vcc_lo, s3, v13
	s_delay_alu instid0(VALU_DEP_3)
	v_pk_add_f32 v[30:31], v[6:7], v[10:11] neg_lo:[0,1] neg_hi:[0,1]
	v_cndmask_b32_e32 v29, v9, v29, vcc_lo
	v_cmp_gt_u32_e32 vcc_lo, s3, v16
	v_pk_add_f32 v[2:3], v[2:3], v[26:27]
	v_cndmask_b32_e32 v28, v19, v28, vcc_lo
	v_cmp_gt_u32_e32 vcc_lo, s3, v17
	s_delay_alu instid0(VALU_DEP_2)
	v_pk_add_f32 v[8:9], v[8:9], v[28:29]
	v_cndmask_b32_e32 v19, v7, v31, vcc_lo
	v_cmp_gt_u32_e32 vcc_lo, s3, v20
	v_cndmask_b32_e32 v18, v15, v30, vcc_lo
	v_cmp_gt_u32_e32 vcc_lo, s3, v24
	s_add_co_i32 s3, s4, s3
	s_delay_alu instid0(SALU_CYCLE_1) | instskip(NEXT) | instid1(VALU_DEP_2)
	s_and_b32 s3, s3, 0x7ff
	v_pk_add_f32 v[6:7], v[6:7], v[18:19]
	v_dual_sub_f32 v4, v11, v5 :: v_dual_mov_b32 v19, v8
	s_cmp_lg_u32 s2, 0
	s_delay_alu instid0(VALU_DEP_1) | instskip(SKIP_1) | instid1(VALU_DEP_1)
	v_dual_mov_b32 v15, v6 :: v_dual_cndmask_b32 v22, v11, v4
	v_mov_b32_e32 v4, v11
	v_pk_add_f32 v[4:5], v[4:5], v[22:23]
	s_delay_alu instid0(VALU_DEP_1)
	v_mov_b32_e32 v11, v4
	s_cbranch_scc0 .LBB189_4
.LBB189_2:                              ; =>This Inner Loop Header: Depth=1
	s_wait_loadcnt 0x0
	s_delay_alu instid0(VALU_DEP_2)
	v_mov_b32_e32 v23, v5
	s_mov_b32 s5, exec_lo
	ds_store_b32 v21, v2 offset:1024
	s_wait_dscnt 0x0
	s_barrier_signal -1
	s_barrier_wait -1
	s_wait_kmcnt 0x0
	v_cmpx_gt_u32_e64 s3, v25
	s_cbranch_execz .LBB189_1
; %bb.3:                                ;   in Loop: Header=BB189_2 Depth=1
	ds_load_b32 v4, v21 offset:1028
	s_wait_dscnt 0x0
	v_sub_f32_e32 v23, v5, v4
	s_branch .LBB189_1
.LBB189_4:
	s_add_nc_u64 s[0:1], s[0:1], s[8:9]
	s_clause 0x7
	global_store_b32 v0, v2, s[0:1] scale_offset
	global_store_b32 v0, v3, s[0:1] offset:1024 scale_offset
	global_store_b32 v0, v8, s[0:1] offset:2048 scale_offset
	;; [unrolled: 1-line block ×7, first 2 shown]
	s_endpgm
	.section	.rodata,"a",@progbits
	.p2align	6, 0x0
	.amdhsa_kernel _Z6kernelI27subtract_right_partial_tileLj256ELj8ELb0EJPfPiS1_jEEvDpT3_
		.amdhsa_group_segment_fixed_size 2048
		.amdhsa_private_segment_fixed_size 0
		.amdhsa_kernarg_size 28
		.amdhsa_user_sgpr_count 2
		.amdhsa_user_sgpr_dispatch_ptr 0
		.amdhsa_user_sgpr_queue_ptr 0
		.amdhsa_user_sgpr_kernarg_segment_ptr 1
		.amdhsa_user_sgpr_dispatch_id 0
		.amdhsa_user_sgpr_kernarg_preload_length 0
		.amdhsa_user_sgpr_kernarg_preload_offset 0
		.amdhsa_user_sgpr_private_segment_size 0
		.amdhsa_wavefront_size32 1
		.amdhsa_uses_dynamic_stack 0
		.amdhsa_enable_private_segment 0
		.amdhsa_system_sgpr_workgroup_id_x 1
		.amdhsa_system_sgpr_workgroup_id_y 0
		.amdhsa_system_sgpr_workgroup_id_z 0
		.amdhsa_system_sgpr_workgroup_info 0
		.amdhsa_system_vgpr_workitem_id 0
		.amdhsa_next_free_vgpr 32
		.amdhsa_next_free_sgpr 11
		.amdhsa_named_barrier_count 0
		.amdhsa_reserve_vcc 1
		.amdhsa_float_round_mode_32 0
		.amdhsa_float_round_mode_16_64 0
		.amdhsa_float_denorm_mode_32 3
		.amdhsa_float_denorm_mode_16_64 3
		.amdhsa_fp16_overflow 0
		.amdhsa_memory_ordered 1
		.amdhsa_forward_progress 1
		.amdhsa_inst_pref_size 6
		.amdhsa_round_robin_scheduling 0
		.amdhsa_exception_fp_ieee_invalid_op 0
		.amdhsa_exception_fp_denorm_src 0
		.amdhsa_exception_fp_ieee_div_zero 0
		.amdhsa_exception_fp_ieee_overflow 0
		.amdhsa_exception_fp_ieee_underflow 0
		.amdhsa_exception_fp_ieee_inexact 0
		.amdhsa_exception_int_div_zero 0
	.end_amdhsa_kernel
	.section	.text._Z6kernelI27subtract_right_partial_tileLj256ELj8ELb0EJPfPiS1_jEEvDpT3_,"axG",@progbits,_Z6kernelI27subtract_right_partial_tileLj256ELj8ELb0EJPfPiS1_jEEvDpT3_,comdat
.Lfunc_end189:
	.size	_Z6kernelI27subtract_right_partial_tileLj256ELj8ELb0EJPfPiS1_jEEvDpT3_, .Lfunc_end189-_Z6kernelI27subtract_right_partial_tileLj256ELj8ELb0EJPfPiS1_jEEvDpT3_
                                        ; -- End function
	.set _Z6kernelI27subtract_right_partial_tileLj256ELj8ELb0EJPfPiS1_jEEvDpT3_.num_vgpr, 32
	.set _Z6kernelI27subtract_right_partial_tileLj256ELj8ELb0EJPfPiS1_jEEvDpT3_.num_agpr, 0
	.set _Z6kernelI27subtract_right_partial_tileLj256ELj8ELb0EJPfPiS1_jEEvDpT3_.numbered_sgpr, 11
	.set _Z6kernelI27subtract_right_partial_tileLj256ELj8ELb0EJPfPiS1_jEEvDpT3_.num_named_barrier, 0
	.set _Z6kernelI27subtract_right_partial_tileLj256ELj8ELb0EJPfPiS1_jEEvDpT3_.private_seg_size, 0
	.set _Z6kernelI27subtract_right_partial_tileLj256ELj8ELb0EJPfPiS1_jEEvDpT3_.uses_vcc, 1
	.set _Z6kernelI27subtract_right_partial_tileLj256ELj8ELb0EJPfPiS1_jEEvDpT3_.uses_flat_scratch, 0
	.set _Z6kernelI27subtract_right_partial_tileLj256ELj8ELb0EJPfPiS1_jEEvDpT3_.has_dyn_sized_stack, 0
	.set _Z6kernelI27subtract_right_partial_tileLj256ELj8ELb0EJPfPiS1_jEEvDpT3_.has_recursion, 0
	.set _Z6kernelI27subtract_right_partial_tileLj256ELj8ELb0EJPfPiS1_jEEvDpT3_.has_indirect_call, 0
	.section	.AMDGPU.csdata,"",@progbits
; Kernel info:
; codeLenInByte = 768
; TotalNumSgprs: 13
; NumVgprs: 32
; ScratchSize: 0
; MemoryBound: 0
; FloatMode: 240
; IeeeMode: 1
; LDSByteSize: 2048 bytes/workgroup (compile time only)
; SGPRBlocks: 0
; VGPRBlocks: 1
; NumSGPRsForWavesPerEU: 13
; NumVGPRsForWavesPerEU: 32
; NamedBarCnt: 0
; Occupancy: 16
; WaveLimiterHint : 1
; COMPUTE_PGM_RSRC2:SCRATCH_EN: 0
; COMPUTE_PGM_RSRC2:USER_SGPR: 2
; COMPUTE_PGM_RSRC2:TRAP_HANDLER: 0
; COMPUTE_PGM_RSRC2:TGID_X_EN: 1
; COMPUTE_PGM_RSRC2:TGID_Y_EN: 0
; COMPUTE_PGM_RSRC2:TGID_Z_EN: 0
; COMPUTE_PGM_RSRC2:TIDIG_COMP_CNT: 0
	.section	.text._Z6kernelI27subtract_right_partial_tileLj256ELj16ELb0EJPfPiS1_jEEvDpT3_,"axG",@progbits,_Z6kernelI27subtract_right_partial_tileLj256ELj16ELb0EJPfPiS1_jEEvDpT3_,comdat
	.protected	_Z6kernelI27subtract_right_partial_tileLj256ELj16ELb0EJPfPiS1_jEEvDpT3_ ; -- Begin function _Z6kernelI27subtract_right_partial_tileLj256ELj16ELb0EJPfPiS1_jEEvDpT3_
	.globl	_Z6kernelI27subtract_right_partial_tileLj256ELj16ELb0EJPfPiS1_jEEvDpT3_
	.p2align	8
	.type	_Z6kernelI27subtract_right_partial_tileLj256ELj16ELb0EJPfPiS1_jEEvDpT3_,@function
_Z6kernelI27subtract_right_partial_tileLj256ELj16ELb0EJPfPiS1_jEEvDpT3_: ; @_Z6kernelI27subtract_right_partial_tileLj256ELj16ELb0EJPfPiS1_jEEvDpT3_
; %bb.0:
	s_load_b128 s[4:7], s[0:1], 0x0
	s_bfe_u32 s2, ttmp6, 0x4000c
	s_and_b32 s3, ttmp6, 15
	s_add_co_i32 s2, s2, 1
	s_getreg_b32 s8, hwreg(HW_REG_IB_STS2, 6, 4)
	s_mul_i32 s2, ttmp9, s2
	v_dual_lshlrev_b32 v32, 4, v0 :: v_dual_lshlrev_b32 v31, 2, v0
	s_add_co_i32 s3, s3, s2
	s_cmp_eq_u32 s8, 0
	s_cselect_b32 s10, ttmp9, s3
	s_mov_b32 s3, 0
	s_lshl_b32 s2, s10, 12
	v_or_b32_e32 v18, 2, v32
	s_lshl_b64 s[8:9], s[2:3], 2
	s_wait_xcnt 0x0
	s_load_b96 s[0:2], s[0:1], 0x10
	v_or_b32_e32 v19, 3, v32
	v_or_b32_e32 v20, 4, v32
	;; [unrolled: 1-line block ×3, first 2 shown]
	s_wait_kmcnt 0x0
	s_add_nc_u64 s[4:5], s[4:5], s[8:9]
	v_or_b32_e32 v22, 6, v32
	s_clause 0xf
	global_load_b32 v17, v0, s[4:5] scale_offset
	global_load_b32 v16, v0, s[4:5] offset:1024 scale_offset
	global_load_b32 v15, v0, s[4:5] offset:2048 scale_offset
	;; [unrolled: 1-line block ×15, first 2 shown]
	v_or_b32_e32 v23, 7, v32
	v_or_b32_e32 v24, 8, v32
	;; [unrolled: 1-line block ×8, first 2 shown]
	v_dual_add_nc_u32 v35, 16, v32 :: v_dual_bitop2_b32 v34, 15, v32 bitop3:0x54
	s_cvt_f32_u32 s3, s2
	s_wait_xcnt 0x0
	s_sub_co_i32 s4, 0, s2
	s_delay_alu instid0(SALU_CYCLE_1) | instskip(SKIP_1) | instid1(TRANS32_DEP_1)
	v_rcp_iflag_f32_e32 v1, s3
	v_nop
	v_readfirstlane_b32 s3, v1
	v_or_b32_e32 v1, 1, v32
	s_mul_f32 s3, s3, 0x4f7ffffe
	s_delay_alu instid0(SALU_CYCLE_3) | instskip(NEXT) | instid1(SALU_CYCLE_3)
	s_cvt_u32_f32 s3, s3
	s_mul_i32 s4, s4, s3
	s_delay_alu instid0(SALU_CYCLE_1) | instskip(NEXT) | instid1(SALU_CYCLE_1)
	s_mul_hi_u32 s4, s3, s4
	s_add_co_i32 s3, s3, s4
	s_mov_b32 s4, s0
	s_lshr_b32 s5, s3, 20
	s_delay_alu instid0(SALU_CYCLE_1)
	s_mul_i32 s3, s5, s2
	s_add_co_i32 s11, s5, 1
	s_sub_co_i32 s0, 0x1000, s3
	s_load_b32 s3, s[6:7], s10 offset:0x0 scale_offset
	s_sub_co_i32 s12, s0, s2
	s_cmp_ge_u32 s0, s2
	s_cselect_b32 s5, s11, s5
	s_cselect_b32 s0, s12, s0
	s_wait_xcnt 0x0
	s_add_co_i32 s6, s5, 1
	s_cmp_ge_u32 s0, s2
	s_cselect_b32 s0, s6, s5
	s_mov_b32 s5, s1
	s_add_co_i32 s1, s0, 1
	s_branch .LBB190_2
.LBB190_1:                              ;   in Loop: Header=BB190_2 Depth=1
	s_or_b32 exec_lo, exec_lo, s0
	v_dual_mov_b32 v36, v15 :: v_dual_mov_b32 v37, v16
	v_cmp_gt_u32_e32 vcc_lo, s3, v1
	v_dual_mov_b32 v38, v13 :: v_dual_mov_b32 v39, v14
	v_dual_mov_b32 v42, v9 :: v_dual_mov_b32 v43, v10
	s_delay_alu instid0(VALU_DEP_4) | instskip(SKIP_1) | instid1(VALU_DEP_4)
	v_pk_add_f32 v[36:37], v[16:17], v[36:37] neg_lo:[0,1] neg_hi:[0,1]
	v_mov_b32_e32 v40, v11
	v_pk_add_f32 v[38:39], v[14:15], v[38:39] neg_lo:[0,1] neg_hi:[0,1]
	v_dual_mov_b32 v44, v7 :: v_dual_mov_b32 v45, v8
	s_delay_alu instid0(VALU_DEP_4)
	v_cndmask_b32_e32 v37, v17, v37, vcc_lo
	v_cmp_gt_u32_e32 vcc_lo, s3, v18
	v_pk_add_f32 v[42:43], v[10:11], v[42:43] neg_lo:[0,1] neg_hi:[0,1]
	v_dual_mov_b32 v46, v5 :: v_dual_mov_b32 v47, v6
	v_pk_add_f32 v[44:45], v[8:9], v[44:45] neg_lo:[0,1] neg_hi:[0,1]
	v_cndmask_b32_e32 v36, v16, v36, vcc_lo
	v_cmp_gt_u32_e32 vcc_lo, s3, v19
	v_cmp_gt_u32_e64 s0, s3, v27
	v_pk_add_f32 v[46:47], v[6:7], v[46:47] neg_lo:[0,1] neg_hi:[0,1]
	v_dual_mov_b32 v48, v3 :: v_dual_mov_b32 v49, v4
	v_cndmask_b32_e32 v39, v15, v39, vcc_lo
	v_cmp_gt_u32_e32 vcc_lo, s3, v20
	v_dual_mov_b32 v41, v12 :: v_dual_sub_f32 v33, v3, v2
	s_delay_alu instid0(VALU_DEP_4) | instskip(SKIP_2) | instid1(VALU_DEP_4)
	v_pk_add_f32 v[48:49], v[4:5], v[48:49] neg_lo:[0,1] neg_hi:[0,1]
	v_pk_add_f32 v[16:17], v[16:17], v[36:37]
	v_cndmask_b32_e32 v38, v14, v38, vcc_lo
	v_pk_add_f32 v[40:41], v[12:13], v[40:41] neg_lo:[0,1] neg_hi:[0,1]
	v_cmp_gt_u32_e32 vcc_lo, s3, v21
	s_add_co_i32 s2, s2, -1
	s_delay_alu instid0(VALU_DEP_3)
	v_pk_add_f32 v[14:15], v[14:15], v[38:39]
	s_barrier_signal -1
	v_cndmask_b32_e32 v41, v13, v41, vcc_lo
	v_cmp_gt_u32_e32 vcc_lo, s3, v22
	s_barrier_wait -1
	v_cndmask_b32_e32 v40, v12, v40, vcc_lo
	v_cmp_gt_u32_e32 vcc_lo, s3, v23
	s_delay_alu instid0(VALU_DEP_2) | instskip(SKIP_4) | instid1(VALU_DEP_2)
	v_pk_add_f32 v[12:13], v[12:13], v[40:41]
	v_cndmask_b32_e32 v43, v11, v43, vcc_lo
	v_cmp_gt_u32_e32 vcc_lo, s3, v24
	v_cndmask_b32_e32 v42, v10, v42, vcc_lo
	v_cmp_gt_u32_e32 vcc_lo, s3, v25
	v_pk_add_f32 v[10:11], v[10:11], v[42:43]
	v_cndmask_b32_e32 v45, v9, v45, vcc_lo
	v_cmp_gt_u32_e32 vcc_lo, s3, v26
	v_cndmask_b32_e32 v44, v8, v44, vcc_lo
	v_cmp_gt_u32_e32 vcc_lo, s3, v28
	v_cndmask_b32_e64 v47, v7, v47, s0
	v_cmp_gt_u32_e64 s0, s3, v29
	s_delay_alu instid0(VALU_DEP_4) | instskip(SKIP_2) | instid1(VALU_DEP_4)
	v_pk_add_f32 v[8:9], v[8:9], v[44:45]
	v_cndmask_b32_e32 v46, v6, v46, vcc_lo
	v_cmp_gt_u32_e32 vcc_lo, s3, v30
	v_cndmask_b32_e64 v49, v5, v49, s0
	s_add_co_i32 s0, s1, s3
	s_delay_alu instid0(VALU_DEP_3) | instskip(SKIP_4) | instid1(VALU_DEP_2)
	v_pk_add_f32 v[6:7], v[6:7], v[46:47]
	v_cndmask_b32_e32 v48, v4, v48, vcc_lo
	v_cmp_gt_u32_e32 vcc_lo, s3, v34
	s_and_b32 s3, s0, 0xfff
	s_cmp_lg_u32 s2, 0
	v_pk_add_f32 v[4:5], v[4:5], v[48:49]
	v_cndmask_b32_e32 v33, v3, v33, vcc_lo
	s_delay_alu instid0(VALU_DEP_1)
	v_pk_add_f32 v[2:3], v[2:3], v[32:33]
	s_cbranch_scc0 .LBB190_4
.LBB190_2:                              ; =>This Inner Loop Header: Depth=1
	s_wait_loadcnt 0x0
	s_delay_alu instid0(VALU_DEP_1)
	v_mov_b64_e32 v[32:33], v[2:3]
	s_mov_b32 s0, exec_lo
	ds_store_b32 v31, v17 offset:1024
	s_wait_dscnt 0x0
	s_barrier_signal -1
	s_barrier_wait -1
	s_wait_kmcnt 0x0
	v_cmpx_gt_u32_e64 s3, v35
	s_cbranch_execz .LBB190_1
; %bb.3:                                ;   in Loop: Header=BB190_2 Depth=1
	ds_load_b32 v32, v31 offset:1028
	s_wait_dscnt 0x0
	v_sub_f32_e32 v32, v2, v32
	s_branch .LBB190_1
.LBB190_4:
	s_add_nc_u64 s[0:1], s[4:5], s[8:9]
	s_clause 0xf
	global_store_b32 v0, v17, s[0:1] scale_offset
	global_store_b32 v0, v16, s[0:1] offset:1024 scale_offset
	global_store_b32 v0, v15, s[0:1] offset:2048 scale_offset
	;; [unrolled: 1-line block ×15, first 2 shown]
	s_endpgm
	.section	.rodata,"a",@progbits
	.p2align	6, 0x0
	.amdhsa_kernel _Z6kernelI27subtract_right_partial_tileLj256ELj16ELb0EJPfPiS1_jEEvDpT3_
		.amdhsa_group_segment_fixed_size 2048
		.amdhsa_private_segment_fixed_size 0
		.amdhsa_kernarg_size 28
		.amdhsa_user_sgpr_count 2
		.amdhsa_user_sgpr_dispatch_ptr 0
		.amdhsa_user_sgpr_queue_ptr 0
		.amdhsa_user_sgpr_kernarg_segment_ptr 1
		.amdhsa_user_sgpr_dispatch_id 0
		.amdhsa_user_sgpr_kernarg_preload_length 0
		.amdhsa_user_sgpr_kernarg_preload_offset 0
		.amdhsa_user_sgpr_private_segment_size 0
		.amdhsa_wavefront_size32 1
		.amdhsa_uses_dynamic_stack 0
		.amdhsa_enable_private_segment 0
		.amdhsa_system_sgpr_workgroup_id_x 1
		.amdhsa_system_sgpr_workgroup_id_y 0
		.amdhsa_system_sgpr_workgroup_id_z 0
		.amdhsa_system_sgpr_workgroup_info 0
		.amdhsa_system_vgpr_workitem_id 0
		.amdhsa_next_free_vgpr 50
		.amdhsa_next_free_sgpr 13
		.amdhsa_named_barrier_count 0
		.amdhsa_reserve_vcc 1
		.amdhsa_float_round_mode_32 0
		.amdhsa_float_round_mode_16_64 0
		.amdhsa_float_denorm_mode_32 3
		.amdhsa_float_denorm_mode_16_64 3
		.amdhsa_fp16_overflow 0
		.amdhsa_memory_ordered 1
		.amdhsa_forward_progress 1
		.amdhsa_inst_pref_size 10
		.amdhsa_round_robin_scheduling 0
		.amdhsa_exception_fp_ieee_invalid_op 0
		.amdhsa_exception_fp_denorm_src 0
		.amdhsa_exception_fp_ieee_div_zero 0
		.amdhsa_exception_fp_ieee_overflow 0
		.amdhsa_exception_fp_ieee_underflow 0
		.amdhsa_exception_fp_ieee_inexact 0
		.amdhsa_exception_int_div_zero 0
	.end_amdhsa_kernel
	.section	.text._Z6kernelI27subtract_right_partial_tileLj256ELj16ELb0EJPfPiS1_jEEvDpT3_,"axG",@progbits,_Z6kernelI27subtract_right_partial_tileLj256ELj16ELb0EJPfPiS1_jEEvDpT3_,comdat
.Lfunc_end190:
	.size	_Z6kernelI27subtract_right_partial_tileLj256ELj16ELb0EJPfPiS1_jEEvDpT3_, .Lfunc_end190-_Z6kernelI27subtract_right_partial_tileLj256ELj16ELb0EJPfPiS1_jEEvDpT3_
                                        ; -- End function
	.set _Z6kernelI27subtract_right_partial_tileLj256ELj16ELb0EJPfPiS1_jEEvDpT3_.num_vgpr, 50
	.set _Z6kernelI27subtract_right_partial_tileLj256ELj16ELb0EJPfPiS1_jEEvDpT3_.num_agpr, 0
	.set _Z6kernelI27subtract_right_partial_tileLj256ELj16ELb0EJPfPiS1_jEEvDpT3_.numbered_sgpr, 13
	.set _Z6kernelI27subtract_right_partial_tileLj256ELj16ELb0EJPfPiS1_jEEvDpT3_.num_named_barrier, 0
	.set _Z6kernelI27subtract_right_partial_tileLj256ELj16ELb0EJPfPiS1_jEEvDpT3_.private_seg_size, 0
	.set _Z6kernelI27subtract_right_partial_tileLj256ELj16ELb0EJPfPiS1_jEEvDpT3_.uses_vcc, 1
	.set _Z6kernelI27subtract_right_partial_tileLj256ELj16ELb0EJPfPiS1_jEEvDpT3_.uses_flat_scratch, 0
	.set _Z6kernelI27subtract_right_partial_tileLj256ELj16ELb0EJPfPiS1_jEEvDpT3_.has_dyn_sized_stack, 0
	.set _Z6kernelI27subtract_right_partial_tileLj256ELj16ELb0EJPfPiS1_jEEvDpT3_.has_recursion, 0
	.set _Z6kernelI27subtract_right_partial_tileLj256ELj16ELb0EJPfPiS1_jEEvDpT3_.has_indirect_call, 0
	.section	.AMDGPU.csdata,"",@progbits
; Kernel info:
; codeLenInByte = 1156
; TotalNumSgprs: 15
; NumVgprs: 50
; ScratchSize: 0
; MemoryBound: 0
; FloatMode: 240
; IeeeMode: 1
; LDSByteSize: 2048 bytes/workgroup (compile time only)
; SGPRBlocks: 0
; VGPRBlocks: 3
; NumSGPRsForWavesPerEU: 15
; NumVGPRsForWavesPerEU: 50
; NamedBarCnt: 0
; Occupancy: 16
; WaveLimiterHint : 1
; COMPUTE_PGM_RSRC2:SCRATCH_EN: 0
; COMPUTE_PGM_RSRC2:USER_SGPR: 2
; COMPUTE_PGM_RSRC2:TRAP_HANDLER: 0
; COMPUTE_PGM_RSRC2:TGID_X_EN: 1
; COMPUTE_PGM_RSRC2:TGID_Y_EN: 0
; COMPUTE_PGM_RSRC2:TGID_Z_EN: 0
; COMPUTE_PGM_RSRC2:TIDIG_COMP_CNT: 0
	.section	.text._Z6kernelI27subtract_right_partial_tileLj256ELj32ELb0EJPfPiS1_jEEvDpT3_,"axG",@progbits,_Z6kernelI27subtract_right_partial_tileLj256ELj32ELb0EJPfPiS1_jEEvDpT3_,comdat
	.protected	_Z6kernelI27subtract_right_partial_tileLj256ELj32ELb0EJPfPiS1_jEEvDpT3_ ; -- Begin function _Z6kernelI27subtract_right_partial_tileLj256ELj32ELb0EJPfPiS1_jEEvDpT3_
	.globl	_Z6kernelI27subtract_right_partial_tileLj256ELj32ELb0EJPfPiS1_jEEvDpT3_
	.p2align	8
	.type	_Z6kernelI27subtract_right_partial_tileLj256ELj32ELb0EJPfPiS1_jEEvDpT3_,@function
_Z6kernelI27subtract_right_partial_tileLj256ELj32ELb0EJPfPiS1_jEEvDpT3_: ; @_Z6kernelI27subtract_right_partial_tileLj256ELj32ELb0EJPfPiS1_jEEvDpT3_
; %bb.0:
	s_load_b128 s[4:7], s[0:1], 0x0
	s_bfe_u32 s2, ttmp6, 0x4000c
	s_and_b32 s3, ttmp6, 15
	s_add_co_i32 s2, s2, 1
	s_getreg_b32 s8, hwreg(HW_REG_IB_STS2, 6, 4)
	s_mul_i32 s2, ttmp9, s2
	v_dual_lshlrev_b32 v62, 5, v0 :: v_dual_lshlrev_b32 v63, 2, v0
	s_add_co_i32 s3, s3, s2
	s_cmp_eq_u32 s8, 0
	s_cselect_b32 s10, ttmp9, s3
	s_mov_b32 s3, 0
	s_lshl_b32 s2, s10, 13
	v_or_b32_e32 v34, 2, v62
	s_lshl_b64 s[8:9], s[2:3], 2
	s_wait_xcnt 0x0
	s_load_b96 s[0:2], s[0:1], 0x10
	v_or_b32_e32 v35, 3, v62
	v_or_b32_e32 v36, 4, v62
	;; [unrolled: 1-line block ×3, first 2 shown]
	s_wait_kmcnt 0x0
	s_add_nc_u64 s[4:5], s[4:5], s[8:9]
	v_or_b32_e32 v38, 6, v62
	s_clause 0x1f
	global_load_b32 v33, v0, s[4:5] scale_offset
	global_load_b32 v32, v0, s[4:5] offset:1024 scale_offset
	global_load_b32 v31, v0, s[4:5] offset:2048 scale_offset
	;; [unrolled: 1-line block ×31, first 2 shown]
	v_or_b32_e32 v39, 7, v62
	v_or_b32_e32 v40, 8, v62
	v_or_b32_e32 v41, 9, v62
	v_or_b32_e32 v42, 10, v62
	v_or_b32_e32 v43, 11, v62
	v_or_b32_e32 v66, 31, v62
	v_or_b32_e32 v44, 12, v62
	v_or_b32_e32 v45, 13, v62
	v_or_b32_e32 v46, 14, v62
	v_or_b32_e32 v47, 15, v62
	v_or_b32_e32 v48, 16, v62
	v_or_b32_e32 v49, 17, v62
	v_or_b32_e32 v50, 18, v62
	s_cvt_f32_u32 s3, s2
	s_wait_xcnt 0x0
	s_sub_co_i32 s4, 0, s2
	v_or_b32_e32 v51, 19, v62
	v_or_b32_e32 v52, 20, v62
	v_rcp_iflag_f32_e32 v1, s3
	v_or_b32_e32 v53, 21, v62
	v_or_b32_e32 v54, 22, v62
	v_dual_add_nc_u32 v67, 32, v62 :: v_dual_bitop2_b32 v55, 23, v62 bitop3:0x54
	v_or_b32_e32 v56, 24, v62
	v_or_b32_e32 v57, 25, v62
	s_delay_alu instid0(TRANS32_DEP_1)
	v_readfirstlane_b32 s3, v1
	v_or_b32_e32 v1, 1, v62
	v_or_b32_e32 v58, 26, v62
	v_or_b32_e32 v59, 27, v62
	v_or_b32_e32 v60, 28, v62
	s_mul_f32 s3, s3, 0x4f7ffffe
	v_or_b32_e32 v61, 29, v62
	v_or_b32_e32 v62, 30, v62
	s_delay_alu instid0(SALU_CYCLE_1) | instskip(NEXT) | instid1(SALU_CYCLE_3)
	s_cvt_u32_f32 s3, s3
	s_mul_i32 s4, s4, s3
	s_delay_alu instid0(SALU_CYCLE_1) | instskip(NEXT) | instid1(SALU_CYCLE_1)
	s_mul_hi_u32 s4, s3, s4
	s_add_co_i32 s3, s3, s4
	s_delay_alu instid0(SALU_CYCLE_1) | instskip(NEXT) | instid1(SALU_CYCLE_1)
	s_lshr_b32 s3, s3, 19
	s_mul_i32 s4, s3, s2
	s_add_co_i32 s11, s3, 1
	s_sub_co_i32 s5, 0x2000, s4
	s_mov_b32 s4, s0
	s_sub_co_i32 s12, s5, s2
	s_cmp_ge_u32 s5, s2
	s_cselect_b32 s0, s11, s3
	s_cselect_b32 s3, s12, s5
	s_add_co_i32 s5, s0, 1
	s_cmp_ge_u32 s3, s2
	s_load_b32 s3, s[6:7], s10 offset:0x0 scale_offset
	s_cselect_b32 s0, s5, s0
	s_mov_b32 s5, s1
	s_add_co_i32 s1, s0, 1
	s_branch .LBB191_2
.LBB191_1:                              ;   in Loop: Header=BB191_2 Depth=1
	s_or_b32 exec_lo, exec_lo, s0
	v_dual_mov_b32 v68, v31 :: v_dual_mov_b32 v69, v32
	v_cmp_gt_u32_e32 vcc_lo, s3, v1
	v_dual_mov_b32 v70, v29 :: v_dual_mov_b32 v71, v30
	v_dual_mov_b32 v74, v25 :: v_dual_mov_b32 v75, v26
	s_delay_alu instid0(VALU_DEP_4) | instskip(SKIP_1) | instid1(VALU_DEP_4)
	v_pk_add_f32 v[68:69], v[32:33], v[68:69] neg_lo:[0,1] neg_hi:[0,1]
	v_mov_b32_e32 v72, v27
	v_pk_add_f32 v[70:71], v[30:31], v[70:71] neg_lo:[0,1] neg_hi:[0,1]
	v_dual_mov_b32 v76, v23 :: v_dual_mov_b32 v77, v24
	s_delay_alu instid0(VALU_DEP_4)
	v_cndmask_b32_e32 v69, v33, v69, vcc_lo
	v_cmp_gt_u32_e32 vcc_lo, s3, v34
	v_pk_add_f32 v[74:75], v[26:27], v[74:75] neg_lo:[0,1] neg_hi:[0,1]
	v_dual_mov_b32 v78, v21 :: v_dual_mov_b32 v79, v22
	v_pk_add_f32 v[76:77], v[24:25], v[76:77] neg_lo:[0,1] neg_hi:[0,1]
	v_cndmask_b32_e32 v68, v32, v68, vcc_lo
	v_cmp_gt_u32_e32 vcc_lo, s3, v35
	v_cmp_gt_u32_e64 s0, s3, v43
	v_pk_add_f32 v[78:79], v[22:23], v[78:79] neg_lo:[0,1] neg_hi:[0,1]
	v_dual_mov_b32 v80, v19 :: v_dual_mov_b32 v81, v20
	v_cndmask_b32_e32 v71, v31, v71, vcc_lo
	v_cmp_gt_u32_e32 vcc_lo, s3, v36
	v_dual_mov_b32 v73, v28 :: v_dual_mov_b32 v82, v17
	v_mov_b32_e32 v83, v18
	v_pk_add_f32 v[80:81], v[20:21], v[80:81] neg_lo:[0,1] neg_hi:[0,1]
	v_cndmask_b32_e32 v70, v30, v70, vcc_lo
	s_delay_alu instid0(VALU_DEP_4)
	v_pk_add_f32 v[72:73], v[28:29], v[72:73] neg_lo:[0,1] neg_hi:[0,1]
	v_cmp_gt_u32_e32 vcc_lo, s3, v37
	v_pk_add_f32 v[82:83], v[18:19], v[82:83] neg_lo:[0,1] neg_hi:[0,1]
	v_dual_mov_b32 v84, v15 :: v_dual_mov_b32 v85, v16
	v_dual_mov_b32 v86, v13 :: v_dual_mov_b32 v87, v14
	v_cndmask_b32_e32 v73, v29, v73, vcc_lo
	v_cmp_gt_u32_e32 vcc_lo, s3, v38
	s_delay_alu instid0(VALU_DEP_4)
	v_pk_add_f32 v[84:85], v[16:17], v[84:85] neg_lo:[0,1] neg_hi:[0,1]
	v_dual_mov_b32 v88, v11 :: v_dual_mov_b32 v89, v12
	v_pk_add_f32 v[86:87], v[14:15], v[86:87] neg_lo:[0,1] neg_hi:[0,1]
	v_cndmask_b32_e32 v72, v28, v72, vcc_lo
	v_cmp_gt_u32_e32 vcc_lo, s3, v39
	v_dual_mov_b32 v90, v9 :: v_dual_mov_b32 v91, v10
	v_pk_add_f32 v[88:89], v[12:13], v[88:89] neg_lo:[0,1] neg_hi:[0,1]
	v_dual_mov_b32 v92, v7 :: v_dual_mov_b32 v93, v8
	v_cndmask_b32_e32 v75, v27, v75, vcc_lo
	v_cmp_gt_u32_e32 vcc_lo, s3, v40
	v_pk_add_f32 v[90:91], v[10:11], v[90:91] neg_lo:[0,1] neg_hi:[0,1]
	v_dual_mov_b32 v94, v5 :: v_dual_mov_b32 v95, v6
	v_pk_add_f32 v[92:93], v[8:9], v[92:93] neg_lo:[0,1] neg_hi:[0,1]
	v_cndmask_b32_e32 v74, v26, v74, vcc_lo
	v_cmp_gt_u32_e32 vcc_lo, s3, v41
	v_dual_mov_b32 v96, v3 :: v_dual_mov_b32 v97, v4
	v_pk_add_f32 v[94:95], v[6:7], v[94:95] neg_lo:[0,1] neg_hi:[0,1]
	v_dual_sub_f32 v65, v3, v2 :: v_dual_cndmask_b32 v77, v25, v77, vcc_lo
	v_cmp_gt_u32_e32 vcc_lo, s3, v42
	s_delay_alu instid0(VALU_DEP_4)
	v_pk_add_f32 v[96:97], v[4:5], v[96:97] neg_lo:[0,1] neg_hi:[0,1]
	v_pk_add_f32 v[32:33], v[32:33], v[68:69]
	v_pk_add_f32 v[30:31], v[30:31], v[70:71]
	;; [unrolled: 1-line block ×3, first 2 shown]
	v_cndmask_b32_e32 v76, v24, v76, vcc_lo
	v_cmp_gt_u32_e32 vcc_lo, s3, v44
	v_cndmask_b32_e64 v79, v23, v79, s0
	v_cmp_gt_u32_e64 s0, s3, v45
	v_pk_add_f32 v[26:27], v[26:27], v[74:75]
	v_pk_add_f32 v[24:25], v[24:25], v[76:77]
	v_cndmask_b32_e32 v78, v22, v78, vcc_lo
	v_cmp_gt_u32_e32 vcc_lo, s3, v46
	v_cndmask_b32_e64 v81, v21, v81, s0
	v_cmp_gt_u32_e64 s0, s3, v47
	s_add_co_i32 s2, s2, -1
	v_pk_add_f32 v[22:23], v[22:23], v[78:79]
	v_cndmask_b32_e32 v80, v20, v80, vcc_lo
	v_cmp_gt_u32_e32 vcc_lo, s3, v48
	v_cndmask_b32_e64 v83, v19, v83, s0
	v_cmp_gt_u32_e64 s0, s3, v49
	s_delay_alu instid0(VALU_DEP_4) | instskip(SKIP_2) | instid1(VALU_DEP_4)
	v_pk_add_f32 v[20:21], v[20:21], v[80:81]
	v_cndmask_b32_e32 v82, v18, v82, vcc_lo
	v_cmp_gt_u32_e32 vcc_lo, s3, v50
	v_cndmask_b32_e64 v85, v17, v85, s0
	v_cmp_gt_u32_e64 s0, s3, v51
	s_barrier_signal -1
	v_pk_add_f32 v[18:19], v[18:19], v[82:83]
	v_cndmask_b32_e32 v84, v16, v84, vcc_lo
	v_cmp_gt_u32_e32 vcc_lo, s3, v52
	v_cndmask_b32_e64 v87, v15, v87, s0
	v_cmp_gt_u32_e64 s0, s3, v53
	s_barrier_wait -1
	v_pk_add_f32 v[16:17], v[16:17], v[84:85]
	v_cndmask_b32_e32 v86, v14, v86, vcc_lo
	v_cmp_gt_u32_e32 vcc_lo, s3, v54
	v_cndmask_b32_e64 v89, v13, v89, s0
	v_cmp_gt_u32_e64 s0, s3, v55
	s_delay_alu instid0(VALU_DEP_4) | instskip(SKIP_2) | instid1(VALU_DEP_4)
	v_pk_add_f32 v[14:15], v[14:15], v[86:87]
	v_cndmask_b32_e32 v88, v12, v88, vcc_lo
	v_cmp_gt_u32_e32 vcc_lo, s3, v56
	v_cndmask_b32_e64 v91, v11, v91, s0
	v_cmp_gt_u32_e64 s0, s3, v57
	s_delay_alu instid0(VALU_DEP_4) | instskip(SKIP_2) | instid1(VALU_DEP_4)
	;; [unrolled: 6-line block ×4, first 2 shown]
	v_pk_add_f32 v[8:9], v[8:9], v[92:93]
	v_cndmask_b32_e32 v94, v6, v94, vcc_lo
	v_cmp_gt_u32_e32 vcc_lo, s3, v62
	v_cndmask_b32_e64 v97, v5, v97, s0
	s_add_co_i32 s0, s1, s3
	s_delay_alu instid0(VALU_DEP_3) | instskip(SKIP_4) | instid1(VALU_DEP_2)
	v_pk_add_f32 v[6:7], v[6:7], v[94:95]
	v_cndmask_b32_e32 v96, v4, v96, vcc_lo
	v_cmp_gt_u32_e32 vcc_lo, s3, v66
	s_and_b32 s3, s0, 0x1fff
	s_cmp_lg_u32 s2, 0
	v_pk_add_f32 v[4:5], v[4:5], v[96:97]
	v_cndmask_b32_e32 v65, v3, v65, vcc_lo
	s_delay_alu instid0(VALU_DEP_1)
	v_pk_add_f32 v[2:3], v[2:3], v[64:65]
	s_cbranch_scc0 .LBB191_4
.LBB191_2:                              ; =>This Inner Loop Header: Depth=1
	s_wait_loadcnt 0x0
	s_delay_alu instid0(VALU_DEP_1)
	v_mov_b64_e32 v[64:65], v[2:3]
	s_mov_b32 s0, exec_lo
	ds_store_b32 v63, v33 offset:1024
	s_wait_dscnt 0x0
	s_barrier_signal -1
	s_barrier_wait -1
	s_wait_kmcnt 0x0
	v_cmpx_gt_u32_e64 s3, v67
	s_cbranch_execz .LBB191_1
; %bb.3:                                ;   in Loop: Header=BB191_2 Depth=1
	ds_load_b32 v64, v63 offset:1028
	s_wait_dscnt 0x0
	v_sub_f32_e32 v64, v2, v64
	s_branch .LBB191_1
.LBB191_4:
	s_add_nc_u64 s[0:1], s[4:5], s[8:9]
	s_clause 0x1f
	global_store_b32 v0, v33, s[0:1] scale_offset
	global_store_b32 v0, v32, s[0:1] offset:1024 scale_offset
	global_store_b32 v0, v31, s[0:1] offset:2048 scale_offset
	;; [unrolled: 1-line block ×31, first 2 shown]
	s_sendmsg sendmsg(MSG_DEALLOC_VGPRS)
	s_endpgm
	.section	.rodata,"a",@progbits
	.p2align	6, 0x0
	.amdhsa_kernel _Z6kernelI27subtract_right_partial_tileLj256ELj32ELb0EJPfPiS1_jEEvDpT3_
		.amdhsa_group_segment_fixed_size 2048
		.amdhsa_private_segment_fixed_size 0
		.amdhsa_kernarg_size 28
		.amdhsa_user_sgpr_count 2
		.amdhsa_user_sgpr_dispatch_ptr 0
		.amdhsa_user_sgpr_queue_ptr 0
		.amdhsa_user_sgpr_kernarg_segment_ptr 1
		.amdhsa_user_sgpr_dispatch_id 0
		.amdhsa_user_sgpr_kernarg_preload_length 0
		.amdhsa_user_sgpr_kernarg_preload_offset 0
		.amdhsa_user_sgpr_private_segment_size 0
		.amdhsa_wavefront_size32 1
		.amdhsa_uses_dynamic_stack 0
		.amdhsa_enable_private_segment 0
		.amdhsa_system_sgpr_workgroup_id_x 1
		.amdhsa_system_sgpr_workgroup_id_y 0
		.amdhsa_system_sgpr_workgroup_id_z 0
		.amdhsa_system_sgpr_workgroup_info 0
		.amdhsa_system_vgpr_workitem_id 0
		.amdhsa_next_free_vgpr 98
		.amdhsa_next_free_sgpr 13
		.amdhsa_named_barrier_count 0
		.amdhsa_reserve_vcc 1
		.amdhsa_float_round_mode_32 0
		.amdhsa_float_round_mode_16_64 0
		.amdhsa_float_denorm_mode_32 3
		.amdhsa_float_denorm_mode_16_64 3
		.amdhsa_fp16_overflow 0
		.amdhsa_memory_ordered 1
		.amdhsa_forward_progress 1
		.amdhsa_inst_pref_size 16
		.amdhsa_round_robin_scheduling 0
		.amdhsa_exception_fp_ieee_invalid_op 0
		.amdhsa_exception_fp_denorm_src 0
		.amdhsa_exception_fp_ieee_div_zero 0
		.amdhsa_exception_fp_ieee_overflow 0
		.amdhsa_exception_fp_ieee_underflow 0
		.amdhsa_exception_fp_ieee_inexact 0
		.amdhsa_exception_int_div_zero 0
	.end_amdhsa_kernel
	.section	.text._Z6kernelI27subtract_right_partial_tileLj256ELj32ELb0EJPfPiS1_jEEvDpT3_,"axG",@progbits,_Z6kernelI27subtract_right_partial_tileLj256ELj32ELb0EJPfPiS1_jEEvDpT3_,comdat
.Lfunc_end191:
	.size	_Z6kernelI27subtract_right_partial_tileLj256ELj32ELb0EJPfPiS1_jEEvDpT3_, .Lfunc_end191-_Z6kernelI27subtract_right_partial_tileLj256ELj32ELb0EJPfPiS1_jEEvDpT3_
                                        ; -- End function
	.set _Z6kernelI27subtract_right_partial_tileLj256ELj32ELb0EJPfPiS1_jEEvDpT3_.num_vgpr, 98
	.set _Z6kernelI27subtract_right_partial_tileLj256ELj32ELb0EJPfPiS1_jEEvDpT3_.num_agpr, 0
	.set _Z6kernelI27subtract_right_partial_tileLj256ELj32ELb0EJPfPiS1_jEEvDpT3_.numbered_sgpr, 13
	.set _Z6kernelI27subtract_right_partial_tileLj256ELj32ELb0EJPfPiS1_jEEvDpT3_.num_named_barrier, 0
	.set _Z6kernelI27subtract_right_partial_tileLj256ELj32ELb0EJPfPiS1_jEEvDpT3_.private_seg_size, 0
	.set _Z6kernelI27subtract_right_partial_tileLj256ELj32ELb0EJPfPiS1_jEEvDpT3_.uses_vcc, 1
	.set _Z6kernelI27subtract_right_partial_tileLj256ELj32ELb0EJPfPiS1_jEEvDpT3_.uses_flat_scratch, 0
	.set _Z6kernelI27subtract_right_partial_tileLj256ELj32ELb0EJPfPiS1_jEEvDpT3_.has_dyn_sized_stack, 0
	.set _Z6kernelI27subtract_right_partial_tileLj256ELj32ELb0EJPfPiS1_jEEvDpT3_.has_recursion, 0
	.set _Z6kernelI27subtract_right_partial_tileLj256ELj32ELb0EJPfPiS1_jEEvDpT3_.has_indirect_call, 0
	.section	.AMDGPU.csdata,"",@progbits
; Kernel info:
; codeLenInByte = 2000
; TotalNumSgprs: 15
; NumVgprs: 98
; ScratchSize: 0
; MemoryBound: 0
; FloatMode: 240
; IeeeMode: 1
; LDSByteSize: 2048 bytes/workgroup (compile time only)
; SGPRBlocks: 0
; VGPRBlocks: 6
; NumSGPRsForWavesPerEU: 15
; NumVGPRsForWavesPerEU: 98
; NamedBarCnt: 0
; Occupancy: 9
; WaveLimiterHint : 1
; COMPUTE_PGM_RSRC2:SCRATCH_EN: 0
; COMPUTE_PGM_RSRC2:USER_SGPR: 2
; COMPUTE_PGM_RSRC2:TRAP_HANDLER: 0
; COMPUTE_PGM_RSRC2:TGID_X_EN: 1
; COMPUTE_PGM_RSRC2:TGID_Y_EN: 0
; COMPUTE_PGM_RSRC2:TGID_Z_EN: 0
; COMPUTE_PGM_RSRC2:TIDIG_COMP_CNT: 0
	.section	.text._Z6kernelI27subtract_right_partial_tileLj256ELj1ELb0EJPaPiS1_jEEvDpT3_,"axG",@progbits,_Z6kernelI27subtract_right_partial_tileLj256ELj1ELb0EJPaPiS1_jEEvDpT3_,comdat
	.protected	_Z6kernelI27subtract_right_partial_tileLj256ELj1ELb0EJPaPiS1_jEEvDpT3_ ; -- Begin function _Z6kernelI27subtract_right_partial_tileLj256ELj1ELb0EJPaPiS1_jEEvDpT3_
	.globl	_Z6kernelI27subtract_right_partial_tileLj256ELj1ELb0EJPaPiS1_jEEvDpT3_
	.p2align	8
	.type	_Z6kernelI27subtract_right_partial_tileLj256ELj1ELb0EJPaPiS1_jEEvDpT3_,@function
_Z6kernelI27subtract_right_partial_tileLj256ELj1ELb0EJPaPiS1_jEEvDpT3_: ; @_Z6kernelI27subtract_right_partial_tileLj256ELj1ELb0EJPaPiS1_jEEvDpT3_
; %bb.0:
	s_load_b128 s[8:11], s[0:1], 0x0
	s_bfe_u32 s2, ttmp6, 0x4000c
	s_and_b32 s3, ttmp6, 15
	s_add_co_i32 s2, s2, 1
	s_getreg_b32 s4, hwreg(HW_REG_IB_STS2, 6, 4)
	s_mul_i32 s2, ttmp9, s2
	s_mov_b32 s5, 0
	s_add_co_i32 s3, s3, s2
	s_cmp_eq_u32 s4, 0
	s_wait_xcnt 0x0
	s_load_b96 s[0:2], s[0:1], 0x10
	s_cselect_b32 s3, ttmp9, s3
	v_add_nc_u32_e32 v3, 1, v0
	s_lshl_b32 s4, s3, 8
	s_wait_kmcnt 0x0
	s_add_nc_u64 s[6:7], s[8:9], s[4:5]
	s_load_b32 s3, s[10:11], s3 offset:0x0 scale_offset
	global_load_u8 v2, v0, s[6:7]
	s_wait_xcnt 0x0
	s_cvt_f32_u32 s6, s2
	s_sub_co_i32 s7, 0, s2
	s_delay_alu instid0(SALU_CYCLE_2) | instskip(SKIP_1) | instid1(TRANS32_DEP_1)
	v_rcp_iflag_f32_e32 v1, s6
	v_nop
	v_readfirstlane_b32 s6, v1
	v_mov_b32_e32 v1, 0
	s_mul_f32 s6, s6, 0x4f7ffffe
	s_delay_alu instid0(SALU_CYCLE_3) | instskip(NEXT) | instid1(SALU_CYCLE_3)
	s_cvt_u32_f32 s6, s6
	s_mul_i32 s7, s7, s6
	s_delay_alu instid0(SALU_CYCLE_1) | instskip(NEXT) | instid1(SALU_CYCLE_1)
	s_mul_hi_u32 s7, s6, s7
	s_add_co_i32 s6, s6, s7
	s_delay_alu instid0(SALU_CYCLE_1) | instskip(NEXT) | instid1(SALU_CYCLE_1)
	s_lshr_b32 s6, s6, 24
	s_mul_i32 s7, s6, s2
	s_add_co_i32 s8, s6, 1
	s_sub_co_i32 s7, 0x100, s7
	s_delay_alu instid0(SALU_CYCLE_1)
	s_sub_co_i32 s9, s7, s2
	s_cmp_ge_u32 s7, s2
	s_cselect_b32 s6, s8, s6
	s_cselect_b32 s7, s9, s7
	s_add_co_i32 s8, s6, 1
	s_cmp_ge_u32 s7, s2
	s_cselect_b32 s6, s8, s6
	s_delay_alu instid0(SALU_CYCLE_1)
	s_add_co_i32 s6, s6, 1
	s_branch .LBB192_2
.LBB192_1:                              ;   in Loop: Header=BB192_2 Depth=1
	s_or_b32 exec_lo, exec_lo, s7
	s_add_co_i32 s3, s6, s3
	s_delay_alu instid0(VALU_DEP_1)
	v_add_nc_u16 v2, v4, v2
	s_add_co_i32 s2, s2, -1
	s_and_b32 s3, s3, 0xff
	s_cmp_lg_u32 s2, 0
	s_barrier_signal -1
	s_barrier_wait -1
	s_cbranch_scc0 .LBB192_4
.LBB192_2:                              ; =>This Inner Loop Header: Depth=1
	s_wait_loadcnt 0x0
	v_mov_b32_e32 v4, v2
	s_mov_b32 s7, exec_lo
	ds_store_b8 v0, v2 offset:256
	s_wait_dscnt 0x0
	s_barrier_signal -1
	s_barrier_wait -1
	s_wait_kmcnt 0x0
	v_cmpx_gt_u32_e64 s3, v3
	s_cbranch_execz .LBB192_1
; %bb.3:                                ;   in Loop: Header=BB192_2 Depth=1
	ds_load_u8 v4, v0 offset:257
	s_wait_dscnt 0x0
	v_sub_nc_u16 v4, v2, v4
	s_branch .LBB192_1
.LBB192_4:
	s_add_nc_u64 s[0:1], s[0:1], s[4:5]
	s_delay_alu instid0(SALU_CYCLE_1)
	v_add_nc_u64_e32 v[0:1], s[0:1], v[0:1]
	global_store_b8 v[0:1], v2, off
	s_endpgm
	.section	.rodata,"a",@progbits
	.p2align	6, 0x0
	.amdhsa_kernel _Z6kernelI27subtract_right_partial_tileLj256ELj1ELb0EJPaPiS1_jEEvDpT3_
		.amdhsa_group_segment_fixed_size 512
		.amdhsa_private_segment_fixed_size 0
		.amdhsa_kernarg_size 28
		.amdhsa_user_sgpr_count 2
		.amdhsa_user_sgpr_dispatch_ptr 0
		.amdhsa_user_sgpr_queue_ptr 0
		.amdhsa_user_sgpr_kernarg_segment_ptr 1
		.amdhsa_user_sgpr_dispatch_id 0
		.amdhsa_user_sgpr_kernarg_preload_length 0
		.amdhsa_user_sgpr_kernarg_preload_offset 0
		.amdhsa_user_sgpr_private_segment_size 0
		.amdhsa_wavefront_size32 1
		.amdhsa_uses_dynamic_stack 0
		.amdhsa_enable_private_segment 0
		.amdhsa_system_sgpr_workgroup_id_x 1
		.amdhsa_system_sgpr_workgroup_id_y 0
		.amdhsa_system_sgpr_workgroup_id_z 0
		.amdhsa_system_sgpr_workgroup_info 0
		.amdhsa_system_vgpr_workitem_id 0
		.amdhsa_next_free_vgpr 5
		.amdhsa_next_free_sgpr 12
		.amdhsa_named_barrier_count 0
		.amdhsa_reserve_vcc 0
		.amdhsa_float_round_mode_32 0
		.amdhsa_float_round_mode_16_64 0
		.amdhsa_float_denorm_mode_32 3
		.amdhsa_float_denorm_mode_16_64 3
		.amdhsa_fp16_overflow 0
		.amdhsa_memory_ordered 1
		.amdhsa_forward_progress 1
		.amdhsa_inst_pref_size 3
		.amdhsa_round_robin_scheduling 0
		.amdhsa_exception_fp_ieee_invalid_op 0
		.amdhsa_exception_fp_denorm_src 0
		.amdhsa_exception_fp_ieee_div_zero 0
		.amdhsa_exception_fp_ieee_overflow 0
		.amdhsa_exception_fp_ieee_underflow 0
		.amdhsa_exception_fp_ieee_inexact 0
		.amdhsa_exception_int_div_zero 0
	.end_amdhsa_kernel
	.section	.text._Z6kernelI27subtract_right_partial_tileLj256ELj1ELb0EJPaPiS1_jEEvDpT3_,"axG",@progbits,_Z6kernelI27subtract_right_partial_tileLj256ELj1ELb0EJPaPiS1_jEEvDpT3_,comdat
.Lfunc_end192:
	.size	_Z6kernelI27subtract_right_partial_tileLj256ELj1ELb0EJPaPiS1_jEEvDpT3_, .Lfunc_end192-_Z6kernelI27subtract_right_partial_tileLj256ELj1ELb0EJPaPiS1_jEEvDpT3_
                                        ; -- End function
	.set _Z6kernelI27subtract_right_partial_tileLj256ELj1ELb0EJPaPiS1_jEEvDpT3_.num_vgpr, 5
	.set _Z6kernelI27subtract_right_partial_tileLj256ELj1ELb0EJPaPiS1_jEEvDpT3_.num_agpr, 0
	.set _Z6kernelI27subtract_right_partial_tileLj256ELj1ELb0EJPaPiS1_jEEvDpT3_.numbered_sgpr, 12
	.set _Z6kernelI27subtract_right_partial_tileLj256ELj1ELb0EJPaPiS1_jEEvDpT3_.num_named_barrier, 0
	.set _Z6kernelI27subtract_right_partial_tileLj256ELj1ELb0EJPaPiS1_jEEvDpT3_.private_seg_size, 0
	.set _Z6kernelI27subtract_right_partial_tileLj256ELj1ELb0EJPaPiS1_jEEvDpT3_.uses_vcc, 0
	.set _Z6kernelI27subtract_right_partial_tileLj256ELj1ELb0EJPaPiS1_jEEvDpT3_.uses_flat_scratch, 0
	.set _Z6kernelI27subtract_right_partial_tileLj256ELj1ELb0EJPaPiS1_jEEvDpT3_.has_dyn_sized_stack, 0
	.set _Z6kernelI27subtract_right_partial_tileLj256ELj1ELb0EJPaPiS1_jEEvDpT3_.has_recursion, 0
	.set _Z6kernelI27subtract_right_partial_tileLj256ELj1ELb0EJPaPiS1_jEEvDpT3_.has_indirect_call, 0
	.section	.AMDGPU.csdata,"",@progbits
; Kernel info:
; codeLenInByte = 376
; TotalNumSgprs: 12
; NumVgprs: 5
; ScratchSize: 0
; MemoryBound: 0
; FloatMode: 240
; IeeeMode: 1
; LDSByteSize: 512 bytes/workgroup (compile time only)
; SGPRBlocks: 0
; VGPRBlocks: 0
; NumSGPRsForWavesPerEU: 12
; NumVGPRsForWavesPerEU: 5
; NamedBarCnt: 0
; Occupancy: 16
; WaveLimiterHint : 0
; COMPUTE_PGM_RSRC2:SCRATCH_EN: 0
; COMPUTE_PGM_RSRC2:USER_SGPR: 2
; COMPUTE_PGM_RSRC2:TRAP_HANDLER: 0
; COMPUTE_PGM_RSRC2:TGID_X_EN: 1
; COMPUTE_PGM_RSRC2:TGID_Y_EN: 0
; COMPUTE_PGM_RSRC2:TGID_Z_EN: 0
; COMPUTE_PGM_RSRC2:TIDIG_COMP_CNT: 0
	.section	.text._Z6kernelI27subtract_right_partial_tileLj256ELj3ELb0EJPaPiS1_jEEvDpT3_,"axG",@progbits,_Z6kernelI27subtract_right_partial_tileLj256ELj3ELb0EJPaPiS1_jEEvDpT3_,comdat
	.protected	_Z6kernelI27subtract_right_partial_tileLj256ELj3ELb0EJPaPiS1_jEEvDpT3_ ; -- Begin function _Z6kernelI27subtract_right_partial_tileLj256ELj3ELb0EJPaPiS1_jEEvDpT3_
	.globl	_Z6kernelI27subtract_right_partial_tileLj256ELj3ELb0EJPaPiS1_jEEvDpT3_
	.p2align	8
	.type	_Z6kernelI27subtract_right_partial_tileLj256ELj3ELb0EJPaPiS1_jEEvDpT3_,@function
_Z6kernelI27subtract_right_partial_tileLj256ELj3ELb0EJPaPiS1_jEEvDpT3_: ; @_Z6kernelI27subtract_right_partial_tileLj256ELj3ELb0EJPaPiS1_jEEvDpT3_
; %bb.0:
	s_load_b128 s[4:7], s[0:1], 0x0
	s_bfe_u32 s2, ttmp6, 0x4000c
	s_and_b32 s3, ttmp6, 15
	s_add_co_i32 s2, s2, 1
	s_getreg_b32 s8, hwreg(HW_REG_IB_STS2, 6, 4)
	s_mul_i32 s2, ttmp9, s2
	s_mov_b32 s9, 0
	s_add_co_i32 s3, s3, s2
	s_cmp_eq_u32 s8, 0
	s_wait_xcnt 0x0
	s_load_b96 s[0:2], s[0:1], 0x10
	s_cselect_b32 s3, ttmp9, s3
	v_mad_u32_u24 v2, v0, 3, 1
	s_mul_i32 s8, s3, 0x300
	v_mad_u32_u24 v3, v0, 3, 2
	v_mad_u32_u24 v4, v0, 3, 3
	s_wait_kmcnt 0x0
	s_add_nc_u64 s[4:5], s[4:5], s[8:9]
	s_clause 0x2
	global_load_u8 v5, v0, s[4:5] offset:256
	global_load_u8 v7, v0, s[4:5] offset:512
	global_load_u8 v8, v0, s[4:5]
	s_load_b32 s3, s[6:7], s3 offset:0x0 scale_offset
	s_cvt_f32_u32 s4, s2
	s_sub_co_i32 s5, 0, s2
	s_delay_alu instid0(SALU_CYCLE_2) | instskip(SKIP_1) | instid1(TRANS32_DEP_1)
	v_rcp_iflag_f32_e32 v1, s4
	v_nop
	v_readfirstlane_b32 s4, v1
	v_mov_b32_e32 v1, 0
	s_mul_f32 s4, s4, 0x4f7ffffe
	s_delay_alu instid0(VALU_DEP_1) | instskip(NEXT) | instid1(SALU_CYCLE_2)
	v_mov_b32_e32 v6, v1
	s_cvt_u32_f32 s4, s4
	s_delay_alu instid0(SALU_CYCLE_3) | instskip(NEXT) | instid1(SALU_CYCLE_1)
	s_mul_i32 s5, s5, s4
	s_mul_hi_u32 s5, s4, s5
	s_delay_alu instid0(SALU_CYCLE_1) | instskip(NEXT) | instid1(SALU_CYCLE_1)
	s_add_co_i32 s4, s4, s5
	s_mul_hi_u32 s4, s4, 0x300
	s_delay_alu instid0(SALU_CYCLE_1) | instskip(SKIP_3) | instid1(SALU_CYCLE_1)
	s_mul_i32 s5, s4, s2
	s_wait_xcnt 0x0
	s_add_co_i32 s6, s4, 1
	s_sub_co_i32 s5, 0x300, s5
	s_sub_co_i32 s7, s5, s2
	s_cmp_ge_u32 s5, s2
	s_cselect_b32 s4, s6, s4
	s_cselect_b32 s5, s7, s5
	s_add_co_i32 s6, s4, 1
	s_cmp_ge_u32 s5, s2
	s_cselect_b32 s4, s6, s4
	s_delay_alu instid0(SALU_CYCLE_1) | instskip(SKIP_2) | instid1(VALU_DEP_1)
	s_add_co_i32 s4, s4, 1
	s_wait_loadcnt 0x0
	v_perm_b32 v5, v8, v5, 0xc0c0004
	v_lshl_or_b32 v5, v7, 16, v5
	v_mov_b32_e32 v7, v1
	s_branch .LBB193_2
.LBB193_1:                              ;   in Loop: Header=BB193_2 Depth=1
	s_or_b32 exec_lo, exec_lo, s5
	v_lshrrev_b16 v10, 8, v5
	s_delay_alu instid0(VALU_DEP_2)
	v_add_nc_u16 v8, v7, v8
	v_add_nc_u16 v5, v9, v5
	s_add_co_i32 s3, s4, s3
	s_add_co_i32 s2, s2, -1
	v_add_nc_u16 v10, v6, v10
	v_and_b32_e32 v9, 0xff, v8
	s_mul_hi_u32 s5, s3, 0xaaaaaaab
	s_delay_alu instid0(SALU_CYCLE_1) | instskip(NEXT) | instid1(VALU_DEP_2)
	s_lshr_b32 s5, s5, 9
	v_lshlrev_b16 v10, 8, v10
	s_delay_alu instid0(VALU_DEP_2)
	v_lshlrev_b32_e32 v9, 16, v9
	s_mulk_i32 s5, 0x300
	s_barrier_signal -1
	s_sub_co_i32 s3, s3, s5
	v_perm_b32 v5, v5, v10, 0xc0c0104
	s_cmp_lg_u32 s2, 0
	s_barrier_wait -1
	s_delay_alu instid0(VALU_DEP_1)
	v_or_b32_e32 v5, v5, v9
	s_cbranch_scc0 .LBB193_4
.LBB193_2:                              ; =>This Inner Loop Header: Depth=1
	s_delay_alu instid0(VALU_DEP_1) | instskip(NEXT) | instid1(VALU_DEP_2)
	v_dual_lshrrev_b32 v9, 8, v5 :: v_dual_lshrrev_b32 v8, 16, v5
	v_and_b32_e32 v7, 0xff, v7
	v_perm_b32 v11, v5, v6, 0xc0c0004
	s_wait_kmcnt 0x0
	v_cmp_gt_u32_e32 vcc_lo, s3, v2
	v_sub_nc_u16 v10, v5, v9
	v_sub_nc_u16 v9, v9, v8
	s_mov_b32 s5, exec_lo
	ds_store_b8 v0, v5 offset:256
	s_wait_dscnt 0x0
	v_perm_b32 v6, v10, v6, 0xc0c0004
	v_lshlrev_b32_e32 v7, 16, v7
	v_lshlrev_b16 v9, 8, v9
	s_barrier_signal -1
	s_barrier_wait -1
	v_cndmask_b32_e32 v6, v11, v6, vcc_lo
	v_cmp_gt_u32_e32 vcc_lo, s3, v3
	s_delay_alu instid0(VALU_DEP_2) | instskip(SKIP_1) | instid1(VALU_DEP_2)
	v_or_b32_e32 v7, v6, v7
	v_bitop3_b16 v6, v6, v9, 0xff bitop3:0xec
	v_perm_b32 v9, v7, v5, 0xc0c0104
	s_delay_alu instid0(VALU_DEP_2) | instskip(NEXT) | instid1(VALU_DEP_1)
	v_and_b32_e32 v6, 0xffff, v6
	v_cndmask_b32_e32 v9, v9, v6, vcc_lo
	s_delay_alu instid0(VALU_DEP_1) | instskip(NEXT) | instid1(VALU_DEP_1)
	v_and_or_b32 v6, 0xff0000, v7, v9
	v_dual_mov_b32 v7, v8 :: v_dual_lshrrev_b32 v6, 8, v6
	v_cmpx_gt_u32_e64 s3, v4
	s_cbranch_execz .LBB193_1
; %bb.3:                                ;   in Loop: Header=BB193_2 Depth=1
	ds_load_u8 v7, v0 offset:257
	s_wait_dscnt 0x0
	v_sub_nc_u16 v7, v8, v7
	s_branch .LBB193_1
.LBB193_4:
	s_add_nc_u64 s[0:1], s[0:1], s[8:9]
	s_delay_alu instid0(VALU_DEP_1)
	v_lshrrev_b32_e32 v2, 8, v5
	v_add_nc_u64_e32 v[0:1], s[0:1], v[0:1]
	s_clause 0x2
	global_store_b8 v[0:1], v5, off
	global_store_b8 v[0:1], v2, off offset:256
	global_store_b8 v[0:1], v8, off offset:512
	s_endpgm
	.section	.rodata,"a",@progbits
	.p2align	6, 0x0
	.amdhsa_kernel _Z6kernelI27subtract_right_partial_tileLj256ELj3ELb0EJPaPiS1_jEEvDpT3_
		.amdhsa_group_segment_fixed_size 512
		.amdhsa_private_segment_fixed_size 0
		.amdhsa_kernarg_size 28
		.amdhsa_user_sgpr_count 2
		.amdhsa_user_sgpr_dispatch_ptr 0
		.amdhsa_user_sgpr_queue_ptr 0
		.amdhsa_user_sgpr_kernarg_segment_ptr 1
		.amdhsa_user_sgpr_dispatch_id 0
		.amdhsa_user_sgpr_kernarg_preload_length 0
		.amdhsa_user_sgpr_kernarg_preload_offset 0
		.amdhsa_user_sgpr_private_segment_size 0
		.amdhsa_wavefront_size32 1
		.amdhsa_uses_dynamic_stack 0
		.amdhsa_enable_private_segment 0
		.amdhsa_system_sgpr_workgroup_id_x 1
		.amdhsa_system_sgpr_workgroup_id_y 0
		.amdhsa_system_sgpr_workgroup_id_z 0
		.amdhsa_system_sgpr_workgroup_info 0
		.amdhsa_system_vgpr_workitem_id 0
		.amdhsa_next_free_vgpr 12
		.amdhsa_next_free_sgpr 10
		.amdhsa_named_barrier_count 0
		.amdhsa_reserve_vcc 1
		.amdhsa_float_round_mode_32 0
		.amdhsa_float_round_mode_16_64 0
		.amdhsa_float_denorm_mode_32 3
		.amdhsa_float_denorm_mode_16_64 3
		.amdhsa_fp16_overflow 0
		.amdhsa_memory_ordered 1
		.amdhsa_forward_progress 1
		.amdhsa_inst_pref_size 6
		.amdhsa_round_robin_scheduling 0
		.amdhsa_exception_fp_ieee_invalid_op 0
		.amdhsa_exception_fp_denorm_src 0
		.amdhsa_exception_fp_ieee_div_zero 0
		.amdhsa_exception_fp_ieee_overflow 0
		.amdhsa_exception_fp_ieee_underflow 0
		.amdhsa_exception_fp_ieee_inexact 0
		.amdhsa_exception_int_div_zero 0
	.end_amdhsa_kernel
	.section	.text._Z6kernelI27subtract_right_partial_tileLj256ELj3ELb0EJPaPiS1_jEEvDpT3_,"axG",@progbits,_Z6kernelI27subtract_right_partial_tileLj256ELj3ELb0EJPaPiS1_jEEvDpT3_,comdat
.Lfunc_end193:
	.size	_Z6kernelI27subtract_right_partial_tileLj256ELj3ELb0EJPaPiS1_jEEvDpT3_, .Lfunc_end193-_Z6kernelI27subtract_right_partial_tileLj256ELj3ELb0EJPaPiS1_jEEvDpT3_
                                        ; -- End function
	.set _Z6kernelI27subtract_right_partial_tileLj256ELj3ELb0EJPaPiS1_jEEvDpT3_.num_vgpr, 12
	.set _Z6kernelI27subtract_right_partial_tileLj256ELj3ELb0EJPaPiS1_jEEvDpT3_.num_agpr, 0
	.set _Z6kernelI27subtract_right_partial_tileLj256ELj3ELb0EJPaPiS1_jEEvDpT3_.numbered_sgpr, 10
	.set _Z6kernelI27subtract_right_partial_tileLj256ELj3ELb0EJPaPiS1_jEEvDpT3_.num_named_barrier, 0
	.set _Z6kernelI27subtract_right_partial_tileLj256ELj3ELb0EJPaPiS1_jEEvDpT3_.private_seg_size, 0
	.set _Z6kernelI27subtract_right_partial_tileLj256ELj3ELb0EJPaPiS1_jEEvDpT3_.uses_vcc, 1
	.set _Z6kernelI27subtract_right_partial_tileLj256ELj3ELb0EJPaPiS1_jEEvDpT3_.uses_flat_scratch, 0
	.set _Z6kernelI27subtract_right_partial_tileLj256ELj3ELb0EJPaPiS1_jEEvDpT3_.has_dyn_sized_stack, 0
	.set _Z6kernelI27subtract_right_partial_tileLj256ELj3ELb0EJPaPiS1_jEEvDpT3_.has_recursion, 0
	.set _Z6kernelI27subtract_right_partial_tileLj256ELj3ELb0EJPaPiS1_jEEvDpT3_.has_indirect_call, 0
	.section	.AMDGPU.csdata,"",@progbits
; Kernel info:
; codeLenInByte = 732
; TotalNumSgprs: 12
; NumVgprs: 12
; ScratchSize: 0
; MemoryBound: 0
; FloatMode: 240
; IeeeMode: 1
; LDSByteSize: 512 bytes/workgroup (compile time only)
; SGPRBlocks: 0
; VGPRBlocks: 0
; NumSGPRsForWavesPerEU: 12
; NumVGPRsForWavesPerEU: 12
; NamedBarCnt: 0
; Occupancy: 16
; WaveLimiterHint : 1
; COMPUTE_PGM_RSRC2:SCRATCH_EN: 0
; COMPUTE_PGM_RSRC2:USER_SGPR: 2
; COMPUTE_PGM_RSRC2:TRAP_HANDLER: 0
; COMPUTE_PGM_RSRC2:TGID_X_EN: 1
; COMPUTE_PGM_RSRC2:TGID_Y_EN: 0
; COMPUTE_PGM_RSRC2:TGID_Z_EN: 0
; COMPUTE_PGM_RSRC2:TIDIG_COMP_CNT: 0
	.section	.text._Z6kernelI27subtract_right_partial_tileLj256ELj4ELb0EJPaPiS1_jEEvDpT3_,"axG",@progbits,_Z6kernelI27subtract_right_partial_tileLj256ELj4ELb0EJPaPiS1_jEEvDpT3_,comdat
	.protected	_Z6kernelI27subtract_right_partial_tileLj256ELj4ELb0EJPaPiS1_jEEvDpT3_ ; -- Begin function _Z6kernelI27subtract_right_partial_tileLj256ELj4ELb0EJPaPiS1_jEEvDpT3_
	.globl	_Z6kernelI27subtract_right_partial_tileLj256ELj4ELb0EJPaPiS1_jEEvDpT3_
	.p2align	8
	.type	_Z6kernelI27subtract_right_partial_tileLj256ELj4ELb0EJPaPiS1_jEEvDpT3_,@function
_Z6kernelI27subtract_right_partial_tileLj256ELj4ELb0EJPaPiS1_jEEvDpT3_: ; @_Z6kernelI27subtract_right_partial_tileLj256ELj4ELb0EJPaPiS1_jEEvDpT3_
; %bb.0:
	s_load_b128 s[4:7], s[0:1], 0x0
	s_bfe_u32 s2, ttmp6, 0x4000c
	s_and_b32 s3, ttmp6, 15
	s_add_co_i32 s2, s2, 1
	s_getreg_b32 s8, hwreg(HW_REG_IB_STS2, 6, 4)
	s_mul_i32 s2, ttmp9, s2
	s_mov_b32 s9, 0
	s_add_co_i32 s3, s3, s2
	s_cmp_eq_u32 s8, 0
	s_wait_xcnt 0x0
	s_load_b96 s[0:2], s[0:1], 0x10
	s_cselect_b32 s3, ttmp9, s3
	v_lshlrev_b32_e32 v5, 2, v0
	s_lshl_b32 s8, s3, 10
	s_delay_alu instid0(VALU_DEP_1)
	v_or_b32_e32 v2, 1, v5
	v_or_b32_e32 v4, 3, v5
	s_wait_kmcnt 0x0
	s_add_nc_u64 s[4:5], s[4:5], s[8:9]
	s_clause 0x3
	global_load_u8 v7, v0, s[4:5] offset:256
	global_load_u8 v9, v0, s[4:5] offset:512
	global_load_u8 v10, v0, s[4:5]
	global_load_u8 v11, v0, s[4:5] offset:768
	s_load_b32 s3, s[6:7], s3 offset:0x0 scale_offset
	s_cvt_f32_u32 s4, s2
	s_sub_co_i32 s5, 0, s2
	s_delay_alu instid0(SALU_CYCLE_2) | instskip(SKIP_1) | instid1(TRANS32_DEP_1)
	v_rcp_iflag_f32_e32 v1, s4
	v_nop
	v_readfirstlane_b32 s4, v1
	v_dual_mov_b32 v1, 0 :: v_dual_bitop2_b32 v3, 2, v5 bitop3:0x54
	v_add_nc_u32_e32 v5, 4, v5
	s_mul_f32 s4, s4, 0x4f7ffffe
	s_delay_alu instid0(VALU_DEP_2) | instskip(NEXT) | instid1(SALU_CYCLE_2)
	v_dual_mov_b32 v8, v1 :: v_dual_mov_b32 v6, v1
	s_cvt_u32_f32 s4, s4
	s_delay_alu instid0(SALU_CYCLE_3) | instskip(NEXT) | instid1(SALU_CYCLE_1)
	s_mul_i32 s5, s5, s4
	s_mul_hi_u32 s5, s4, s5
	s_delay_alu instid0(SALU_CYCLE_1) | instskip(NEXT) | instid1(SALU_CYCLE_1)
	s_add_co_i32 s4, s4, s5
	s_lshr_b32 s4, s4, 22
	s_delay_alu instid0(SALU_CYCLE_1) | instskip(SKIP_3) | instid1(SALU_CYCLE_1)
	s_mul_i32 s5, s4, s2
	s_wait_xcnt 0x0
	s_add_co_i32 s6, s4, 1
	s_sub_co_i32 s5, 0x400, s5
	s_sub_co_i32 s7, s5, s2
	s_cmp_ge_u32 s5, s2
	s_cselect_b32 s4, s6, s4
	s_cselect_b32 s5, s7, s5
	s_add_co_i32 s6, s4, 1
	s_cmp_ge_u32 s5, s2
	s_cselect_b32 s4, s6, s4
	s_delay_alu instid0(SALU_CYCLE_1) | instskip(SKIP_4) | instid1(VALU_DEP_1)
	s_add_co_i32 s4, s4, 1
	s_wait_loadcnt 0x1
	v_perm_b32 v7, v10, v7, 0xc0c0004
	s_wait_loadcnt 0x0
	v_perm_b32 v9, v9, v11, 0xc0c0004
	v_lshl_or_b32 v7, v9, 16, v7
	v_mov_b32_e32 v9, v1
	s_branch .LBB194_2
.LBB194_1:                              ;   in Loop: Header=BB194_2 Depth=1
	s_or_b32 exec_lo, exec_lo, s5
	v_lshrrev_b16 v13, 8, v7
	s_delay_alu instid0(VALU_DEP_2)
	v_add_nc_u16 v12, v9, v12
	v_add_nc_u16 v7, v11, v7
	;; [unrolled: 1-line block ×3, first 2 shown]
	s_add_co_i32 s3, s4, s3
	v_add_nc_u16 v13, v8, v13
	v_lshlrev_b16 v11, 8, v12
	s_add_co_i32 s2, s2, -1
	s_and_b32 s3, s3, 0x3ff
	s_cmp_lg_u32 s2, 0
	v_lshlrev_b16 v12, 8, v13
	v_bitop3_b16 v10, v10, v11, 0xff bitop3:0xec
	s_barrier_signal -1
	s_barrier_wait -1
	s_delay_alu instid0(VALU_DEP_2) | instskip(NEXT) | instid1(VALU_DEP_2)
	v_bitop3_b16 v7, v7, v12, 0xff bitop3:0xec
	v_lshlrev_b32_e32 v10, 16, v10
	s_delay_alu instid0(VALU_DEP_2) | instskip(NEXT) | instid1(VALU_DEP_1)
	v_and_b32_e32 v7, 0xffff, v7
	v_or_b32_e32 v7, v7, v10
	s_cbranch_scc0 .LBB194_4
.LBB194_2:                              ; =>This Inner Loop Header: Depth=1
	s_delay_alu instid0(VALU_DEP_1)
	v_dual_lshrrev_b32 v11, 8, v7 :: v_dual_lshrrev_b32 v10, 16, v7
	v_perm_b32 v13, v7, v8, 0xc0c0004
	s_wait_kmcnt 0x0
	v_cmp_gt_u32_e32 vcc_lo, s3, v2
	v_perm_b32 v6, v6, v9, 0xc0c0004
	v_sub_nc_u16 v12, v7, v11
	v_sub_nc_u16 v11, v11, v10
	s_mov_b32 s5, exec_lo
	ds_store_b8 v0, v7 offset:256
	s_wait_dscnt 0x0
	v_perm_b32 v8, v12, v8, 0xc0c0004
	v_lshlrev_b16 v9, 8, v11
	s_barrier_signal -1
	s_barrier_wait -1
	s_delay_alu instid0(VALU_DEP_2) | instskip(SKIP_1) | instid1(VALU_DEP_2)
	v_dual_cndmask_b32 v8, v13, v8, vcc_lo :: v_dual_lshrrev_b32 v12, 24, v7
	v_cmp_gt_u32_e32 vcc_lo, s3, v3
	v_lshl_or_b32 v6, v6, 16, v8
	v_bitop3_b16 v8, v8, v9, 0xff bitop3:0xec
	s_delay_alu instid0(VALU_DEP_2) | instskip(NEXT) | instid1(VALU_DEP_2)
	v_perm_b32 v9, v6, v7, 0xc0c0104
	v_and_b32_e32 v8, 0xffff, v8
	s_delay_alu instid0(VALU_DEP_1) | instskip(SKIP_1) | instid1(VALU_DEP_2)
	v_cndmask_b32_e32 v11, v9, v8, vcc_lo
	v_cmp_gt_u32_e32 vcc_lo, s3, v4
	v_and_or_b32 v8, 0xffff0000, v6, v11
	v_sub_nc_u16 v6, v10, v12
	s_delay_alu instid0(VALU_DEP_2) | instskip(NEXT) | instid1(VALU_DEP_2)
	v_perm_b32 v9, v7, v8, 0xc0c0306
	v_perm_b32 v6, v6, v8, 0xc0c0304
	s_delay_alu instid0(VALU_DEP_1) | instskip(NEXT) | instid1(VALU_DEP_1)
	v_dual_cndmask_b32 v6, v9, v6 :: v_dual_mov_b32 v9, v12
	v_perm_b32 v8, v6, v8, 0x504010c
	s_delay_alu instid0(VALU_DEP_1)
	v_lshrrev_b32_e32 v8, 8, v8
	v_cmpx_gt_u32_e64 s3, v5
	s_cbranch_execz .LBB194_1
; %bb.3:                                ;   in Loop: Header=BB194_2 Depth=1
	ds_load_u8 v9, v0 offset:257
	s_wait_dscnt 0x0
	v_sub_nc_u16 v9, v12, v9
	s_branch .LBB194_1
.LBB194_4:
	s_add_nc_u64 s[0:1], s[0:1], s[8:9]
	s_delay_alu instid0(VALU_DEP_1)
	v_dual_lshrrev_b32 v2, 8, v7 :: v_dual_lshrrev_b32 v3, 24, v7
	v_add_nc_u64_e32 v[0:1], s[0:1], v[0:1]
	s_clause 0x3
	global_store_b8 v[0:1], v7, off
	global_store_b8 v[0:1], v2, off offset:256
	global_store_d16_hi_b8 v[0:1], v7, off offset:512
	global_store_b8 v[0:1], v3, off offset:768
	s_endpgm
	.section	.rodata,"a",@progbits
	.p2align	6, 0x0
	.amdhsa_kernel _Z6kernelI27subtract_right_partial_tileLj256ELj4ELb0EJPaPiS1_jEEvDpT3_
		.amdhsa_group_segment_fixed_size 512
		.amdhsa_private_segment_fixed_size 0
		.amdhsa_kernarg_size 28
		.amdhsa_user_sgpr_count 2
		.amdhsa_user_sgpr_dispatch_ptr 0
		.amdhsa_user_sgpr_queue_ptr 0
		.amdhsa_user_sgpr_kernarg_segment_ptr 1
		.amdhsa_user_sgpr_dispatch_id 0
		.amdhsa_user_sgpr_kernarg_preload_length 0
		.amdhsa_user_sgpr_kernarg_preload_offset 0
		.amdhsa_user_sgpr_private_segment_size 0
		.amdhsa_wavefront_size32 1
		.amdhsa_uses_dynamic_stack 0
		.amdhsa_enable_private_segment 0
		.amdhsa_system_sgpr_workgroup_id_x 1
		.amdhsa_system_sgpr_workgroup_id_y 0
		.amdhsa_system_sgpr_workgroup_id_z 0
		.amdhsa_system_sgpr_workgroup_info 0
		.amdhsa_system_vgpr_workitem_id 0
		.amdhsa_next_free_vgpr 14
		.amdhsa_next_free_sgpr 10
		.amdhsa_named_barrier_count 0
		.amdhsa_reserve_vcc 1
		.amdhsa_float_round_mode_32 0
		.amdhsa_float_round_mode_16_64 0
		.amdhsa_float_denorm_mode_32 3
		.amdhsa_float_denorm_mode_16_64 3
		.amdhsa_fp16_overflow 0
		.amdhsa_memory_ordered 1
		.amdhsa_forward_progress 1
		.amdhsa_inst_pref_size 7
		.amdhsa_round_robin_scheduling 0
		.amdhsa_exception_fp_ieee_invalid_op 0
		.amdhsa_exception_fp_denorm_src 0
		.amdhsa_exception_fp_ieee_div_zero 0
		.amdhsa_exception_fp_ieee_overflow 0
		.amdhsa_exception_fp_ieee_underflow 0
		.amdhsa_exception_fp_ieee_inexact 0
		.amdhsa_exception_int_div_zero 0
	.end_amdhsa_kernel
	.section	.text._Z6kernelI27subtract_right_partial_tileLj256ELj4ELb0EJPaPiS1_jEEvDpT3_,"axG",@progbits,_Z6kernelI27subtract_right_partial_tileLj256ELj4ELb0EJPaPiS1_jEEvDpT3_,comdat
.Lfunc_end194:
	.size	_Z6kernelI27subtract_right_partial_tileLj256ELj4ELb0EJPaPiS1_jEEvDpT3_, .Lfunc_end194-_Z6kernelI27subtract_right_partial_tileLj256ELj4ELb0EJPaPiS1_jEEvDpT3_
                                        ; -- End function
	.set _Z6kernelI27subtract_right_partial_tileLj256ELj4ELb0EJPaPiS1_jEEvDpT3_.num_vgpr, 14
	.set _Z6kernelI27subtract_right_partial_tileLj256ELj4ELb0EJPaPiS1_jEEvDpT3_.num_agpr, 0
	.set _Z6kernelI27subtract_right_partial_tileLj256ELj4ELb0EJPaPiS1_jEEvDpT3_.numbered_sgpr, 10
	.set _Z6kernelI27subtract_right_partial_tileLj256ELj4ELb0EJPaPiS1_jEEvDpT3_.num_named_barrier, 0
	.set _Z6kernelI27subtract_right_partial_tileLj256ELj4ELb0EJPaPiS1_jEEvDpT3_.private_seg_size, 0
	.set _Z6kernelI27subtract_right_partial_tileLj256ELj4ELb0EJPaPiS1_jEEvDpT3_.uses_vcc, 1
	.set _Z6kernelI27subtract_right_partial_tileLj256ELj4ELb0EJPaPiS1_jEEvDpT3_.uses_flat_scratch, 0
	.set _Z6kernelI27subtract_right_partial_tileLj256ELj4ELb0EJPaPiS1_jEEvDpT3_.has_dyn_sized_stack, 0
	.set _Z6kernelI27subtract_right_partial_tileLj256ELj4ELb0EJPaPiS1_jEEvDpT3_.has_recursion, 0
	.set _Z6kernelI27subtract_right_partial_tileLj256ELj4ELb0EJPaPiS1_jEEvDpT3_.has_indirect_call, 0
	.section	.AMDGPU.csdata,"",@progbits
; Kernel info:
; codeLenInByte = 872
; TotalNumSgprs: 12
; NumVgprs: 14
; ScratchSize: 0
; MemoryBound: 0
; FloatMode: 240
; IeeeMode: 1
; LDSByteSize: 512 bytes/workgroup (compile time only)
; SGPRBlocks: 0
; VGPRBlocks: 0
; NumSGPRsForWavesPerEU: 12
; NumVGPRsForWavesPerEU: 14
; NamedBarCnt: 0
; Occupancy: 16
; WaveLimiterHint : 1
; COMPUTE_PGM_RSRC2:SCRATCH_EN: 0
; COMPUTE_PGM_RSRC2:USER_SGPR: 2
; COMPUTE_PGM_RSRC2:TRAP_HANDLER: 0
; COMPUTE_PGM_RSRC2:TGID_X_EN: 1
; COMPUTE_PGM_RSRC2:TGID_Y_EN: 0
; COMPUTE_PGM_RSRC2:TGID_Z_EN: 0
; COMPUTE_PGM_RSRC2:TIDIG_COMP_CNT: 0
	.section	.text._Z6kernelI27subtract_right_partial_tileLj256ELj8ELb0EJPaPiS1_jEEvDpT3_,"axG",@progbits,_Z6kernelI27subtract_right_partial_tileLj256ELj8ELb0EJPaPiS1_jEEvDpT3_,comdat
	.protected	_Z6kernelI27subtract_right_partial_tileLj256ELj8ELb0EJPaPiS1_jEEvDpT3_ ; -- Begin function _Z6kernelI27subtract_right_partial_tileLj256ELj8ELb0EJPaPiS1_jEEvDpT3_
	.globl	_Z6kernelI27subtract_right_partial_tileLj256ELj8ELb0EJPaPiS1_jEEvDpT3_
	.p2align	8
	.type	_Z6kernelI27subtract_right_partial_tileLj256ELj8ELb0EJPaPiS1_jEEvDpT3_,@function
_Z6kernelI27subtract_right_partial_tileLj256ELj8ELb0EJPaPiS1_jEEvDpT3_: ; @_Z6kernelI27subtract_right_partial_tileLj256ELj8ELb0EJPaPiS1_jEEvDpT3_
; %bb.0:
	s_load_b128 s[4:7], s[0:1], 0x0
	s_bfe_u32 s2, ttmp6, 0x4000c
	s_and_b32 s3, ttmp6, 15
	s_add_co_i32 s2, s2, 1
	s_getreg_b32 s8, hwreg(HW_REG_IB_STS2, 6, 4)
	s_mul_i32 s2, ttmp9, s2
	s_mov_b32 s9, 0
	s_add_co_i32 s3, s3, s2
	s_cmp_eq_u32 s8, 0
	s_wait_xcnt 0x0
	s_load_b96 s[0:2], s[0:1], 0x10
	s_cselect_b32 s3, ttmp9, s3
	v_lshlrev_b32_e32 v9, 3, v0
	s_lshl_b32 s8, s3, 11
	s_delay_alu instid0(VALU_DEP_1)
	v_or_b32_e32 v2, 1, v9
	v_or_b32_e32 v3, 2, v9
	;; [unrolled: 1-line block ×4, first 2 shown]
	s_wait_kmcnt 0x0
	s_add_nc_u64 s[4:5], s[4:5], s[8:9]
	s_clause 0x7
	global_load_u8 v11, v0, s[4:5] offset:256
	global_load_u8 v12, v0, s[4:5] offset:1536
	;; [unrolled: 1-line block ×4, first 2 shown]
	global_load_u8 v15, v0, s[4:5]
	global_load_u8 v16, v0, s[4:5] offset:768
	global_load_u8 v17, v0, s[4:5] offset:1280
	;; [unrolled: 1-line block ×3, first 2 shown]
	s_load_b32 s3, s[6:7], s3 offset:0x0 scale_offset
	v_or_b32_e32 v7, 6, v9
	v_or_b32_e32 v8, 7, v9
	s_cvt_f32_u32 s4, s2
	s_sub_co_i32 s5, 0, s2
	s_delay_alu instid0(SALU_CYCLE_2) | instskip(SKIP_1) | instid1(TRANS32_DEP_1)
	v_rcp_iflag_f32_e32 v1, s4
	v_nop
	v_readfirstlane_b32 s4, v1
	v_dual_mov_b32 v1, 0 :: v_dual_bitop2_b32 v4, 3, v9 bitop3:0x54
	v_add_nc_u32_e32 v9, 8, v9
	s_mul_f32 s4, s4, 0x4f7ffffe
	s_delay_alu instid0(VALU_DEP_2) | instskip(NEXT) | instid1(SALU_CYCLE_2)
	v_mov_b32_e32 v10, v1
	s_cvt_u32_f32 s4, s4
	s_delay_alu instid0(SALU_CYCLE_3) | instskip(NEXT) | instid1(SALU_CYCLE_1)
	s_mul_i32 s5, s5, s4
	s_mul_hi_u32 s5, s4, s5
	s_delay_alu instid0(SALU_CYCLE_1) | instskip(NEXT) | instid1(SALU_CYCLE_1)
	s_add_co_i32 s4, s4, s5
	s_lshr_b32 s4, s4, 21
	s_delay_alu instid0(SALU_CYCLE_1) | instskip(SKIP_3) | instid1(SALU_CYCLE_1)
	s_mul_i32 s5, s4, s2
	s_wait_xcnt 0x0
	s_add_co_i32 s6, s4, 1
	s_sub_co_i32 s5, 0x800, s5
	s_sub_co_i32 s7, s5, s2
	s_cmp_ge_u32 s5, s2
	s_cselect_b32 s4, s6, s4
	s_cselect_b32 s5, s7, s5
	s_add_co_i32 s6, s4, 1
	s_cmp_ge_u32 s5, s2
	s_cselect_b32 s4, s6, s4
	s_delay_alu instid0(SALU_CYCLE_1)
	s_add_co_i32 s4, s4, 1
	s_wait_loadcnt 0x3
	v_perm_b32 v11, v15, v11, 0xc0c0004
	s_wait_loadcnt 0x2
	v_perm_b32 v14, v14, v16, 0xc0c0004
	s_wait_loadcnt 0x1
	v_perm_b32 v13, v13, v17, 0xc0c0004
	s_wait_loadcnt 0x0
	v_perm_b32 v12, v12, v18, 0xc0c0004
	v_lshl_or_b32 v11, v14, 16, v11
	v_mov_b32_e32 v14, v1
	s_delay_alu instid0(VALU_DEP_3)
	v_lshl_or_b32 v12, v12, 16, v13
	s_branch .LBB195_2
.LBB195_1:                              ;   in Loop: Header=BB195_2 Depth=1
	s_or_b32 exec_lo, exec_lo, s5
	v_lshrrev_b16 v18, 8, v11
	v_lshrrev_b16 v19, 8, v12
	;; [unrolled: 1-line block ×4, first 2 shown]
	v_lshrrev_b32_e32 v22, 24, v14
	v_add_nc_u16 v11, v10, v11
	v_add_nc_u16 v12, v14, v12
	;; [unrolled: 1-line block ×4, first 2 shown]
	v_lshrrev_b32_e32 v20, 24, v10
	v_lshrrev_b32_e32 v21, 16, v14
	v_add_nc_u16 v17, v22, v17
	v_lshlrev_b16 v19, 8, v19
	v_lshlrev_b16 v18, 8, v18
	s_add_co_i32 s3, s4, s3
	v_add_nc_u16 v15, v21, v15
	s_add_co_i32 s2, s2, -1
	v_bitop3_b16 v12, v12, v19, 0xff bitop3:0xec
	v_bitop3_b16 v11, v11, v18, 0xff bitop3:0xec
	v_lshrrev_b32_e32 v18, 16, v10
	v_add_nc_u16 v16, v20, v16
	v_lshlrev_b16 v20, 8, v17
	s_and_b32 s3, s3, 0x7ff
	s_cmp_lg_u32 s2, 0
	v_add_nc_u16 v13, v18, v13
	v_lshlrev_b16 v19, 8, v16
	v_bitop3_b16 v17, v15, v20, 0xff bitop3:0xec
	v_and_b32_e32 v16, 0xffff, v11
	v_and_b32_e32 v15, 0xffff, v12
	s_delay_alu instid0(VALU_DEP_4) | instskip(SKIP_1) | instid1(VALU_DEP_3)
	v_dual_lshrrev_b32 v20, 8, v20 :: v_dual_lshrrev_b32 v18, 8, v19
	v_bitop3_b16 v13, v13, v19, 0xff bitop3:0xec
	v_dual_lshrrev_b32 v21, 8, v16 :: v_dual_lshrrev_b32 v22, 8, v15
	s_delay_alu instid0(VALU_DEP_3) | instskip(NEXT) | instid1(VALU_DEP_4)
	v_lshlrev_b16 v19, 8, v20
	v_lshlrev_b16 v18, 8, v18
	s_delay_alu instid0(VALU_DEP_3) | instskip(NEXT) | instid1(VALU_DEP_4)
	v_lshlrev_b16 v20, 8, v21
	v_lshlrev_b16 v21, 8, v22
	s_delay_alu instid0(VALU_DEP_4) | instskip(NEXT) | instid1(VALU_DEP_4)
	v_bitop3_b16 v19, v17, v19, 0xff bitop3:0xec
	v_bitop3_b16 v18, v13, v18, 0xff bitop3:0xec
	s_barrier_signal -1
	v_bitop3_b16 v11, v11, v20, 0xff bitop3:0xec
	v_bitop3_b16 v12, v12, v21, 0xff bitop3:0xec
	s_delay_alu instid0(VALU_DEP_3) | instskip(SKIP_1) | instid1(VALU_DEP_3)
	v_dual_lshlrev_b32 v19, 16, v19 :: v_dual_lshlrev_b32 v18, 16, v18
	s_barrier_wait -1
	v_and_b32_e32 v11, 0xffff, v11
	s_delay_alu instid0(VALU_DEP_3) | instskip(NEXT) | instid1(VALU_DEP_2)
	v_and_b32_e32 v12, 0xffff, v12
	v_or_b32_e32 v11, v11, v18
	s_delay_alu instid0(VALU_DEP_2)
	v_or_b32_e32 v12, v12, v19
	s_cbranch_scc0 .LBB195_4
.LBB195_2:                              ; =>This Inner Loop Header: Depth=1
	s_delay_alu instid0(VALU_DEP_1) | instskip(SKIP_2) | instid1(VALU_DEP_3)
	v_dual_lshrrev_b32 v16, 8, v12 :: v_dual_lshrrev_b32 v13, 16, v11
	v_dual_lshrrev_b32 v17, 8, v11 :: v_dual_lshrrev_b32 v15, 16, v12
	v_and_b32_e32 v19, 0xffffff00, v14
	v_sub_nc_u16 v20, v12, v16
	v_perm_b32 v18, v11, v10, 0xc0c0104
	s_delay_alu instid0(VALU_DEP_4)
	v_sub_nc_u16 v21, v11, v17
	v_sub_nc_u16 v17, v17, v13
	v_bitop3_b16 v22, v12, v19, 0xff bitop3:0xec
	v_bitop3_b16 v19, v20, v19, 0xff bitop3:0xec
	s_wait_kmcnt 0x0
	v_cmp_gt_u32_e32 vcc_lo, s3, v2
	v_perm_b32 v20, v21, v10, 0xc0c0104
	v_and_b32_e32 v14, 0xffff0000, v14
	v_sub_nc_u16 v16, v16, v15
	v_and_b32_e32 v21, 0xffff, v22
	v_and_b32_e32 v19, 0xffff, v19
	v_cndmask_b32_e32 v18, v18, v20, vcc_lo
	v_lshlrev_b16 v17, 8, v17
	v_cmp_gt_u32_e32 vcc_lo, s3, v6
	v_or_b32_e32 v20, v21, v14
	v_or_b32_e32 v14, v19, v14
	v_lshlrev_b16 v19, 8, v16
	v_and_or_b32 v10, 0xffff0000, v10, v18
	v_bitop3_b16 v16, v18, v17, 0xff bitop3:0xec
	v_and_b32_e32 v17, 0xffffff00, v12
	s_mov_b32 s5, exec_lo
	ds_store_b8 v0, v11 offset:256
	v_perm_b32 v18, v10, v11, 0xc0c0104
	v_cndmask_b32_e32 v14, v20, v14, vcc_lo
	v_and_b32_e32 v20, 0xffff, v16
	v_cmp_gt_u32_e32 vcc_lo, s3, v3
	v_lshrrev_b32_e32 v16, 24, v11
	s_wait_dscnt 0x0
	s_barrier_signal -1
	s_barrier_wait -1
	v_cndmask_b32_e32 v18, v18, v20, vcc_lo
	v_bitop3_b16 v19, v14, v19, 0xff bitop3:0xec
	v_bitop3_b16 v17, v14, v17, 0xff bitop3:0xec
	v_and_b32_e32 v14, 0xffff0000, v14
	v_cmp_gt_u32_e32 vcc_lo, s3, v7
	v_and_or_b32 v10, 0xffff0000, v10, v18
	v_and_b32_e32 v19, 0xffff, v19
	v_and_b32_e32 v17, 0xffff, v17
	v_sub_nc_u16 v18, v13, v16
	v_sub_nc_u16 v20, v16, v12
	s_delay_alu instid0(VALU_DEP_4) | instskip(NEXT) | instid1(VALU_DEP_4)
	v_or_b32_e32 v19, v19, v14
	v_or_b32_e32 v14, v17, v14
	v_perm_b32 v17, v11, v10, 0xc0c0306
	v_perm_b32 v18, v18, v10, 0xc0c0304
	v_lshlrev_b16 v20, 8, v20
	s_delay_alu instid0(VALU_DEP_4) | instskip(SKIP_1) | instid1(VALU_DEP_4)
	v_cndmask_b32_e32 v14, v14, v19, vcc_lo
	v_cmp_gt_u32_e32 vcc_lo, s3, v4
	v_cndmask_b32_e32 v18, v17, v18, vcc_lo
	s_delay_alu instid0(VALU_DEP_3) | instskip(SKIP_2) | instid1(VALU_DEP_4)
	v_dual_lshrrev_b32 v19, 16, v14 :: v_dual_lshrrev_b32 v17, 24, v12
	v_and_b32_e32 v14, 0xffff, v14
	v_cmp_gt_u32_e32 vcc_lo, s3, v5
	v_lshlrev_b32_e32 v21, 16, v18
	s_delay_alu instid0(VALU_DEP_4) | instskip(SKIP_2) | instid1(VALU_DEP_4)
	v_and_b32_e32 v19, 0xffffff00, v19
	v_sub_nc_u16 v22, v15, v17
	v_bitop3_b16 v18, v18, v20, 0xff bitop3:0xec
	v_and_or_b32 v10, 0xffff, v10, v21
	s_delay_alu instid0(VALU_DEP_4) | instskip(NEXT) | instid1(VALU_DEP_4)
	v_bitop3_b16 v21, v15, v19, 0xff bitop3:0xec
	v_bitop3_b16 v19, v22, v19, 0xff bitop3:0xec
	s_delay_alu instid0(VALU_DEP_3) | instskip(NEXT) | instid1(VALU_DEP_2)
	v_perm_b32 v20, v10, v11, 0xc0c0306
	v_dual_lshlrev_b32 v21, 16, v21 :: v_dual_lshlrev_b32 v19, 16, v19
	s_delay_alu instid0(VALU_DEP_1) | instskip(NEXT) | instid1(VALU_DEP_2)
	v_dual_cndmask_b32 v18, v20, v18, vcc_lo :: v_dual_bitop2_b32 v20, v14, v21 bitop3:0x54
	v_or_b32_e32 v14, v14, v19
	v_cmp_gt_u32_e32 vcc_lo, s3, v8
	s_delay_alu instid0(VALU_DEP_3) | instskip(NEXT) | instid1(VALU_DEP_3)
	v_lshlrev_b32_e32 v18, 16, v18
	v_cndmask_b32_e32 v14, v20, v14, vcc_lo
	s_delay_alu instid0(VALU_DEP_2) | instskip(NEXT) | instid1(VALU_DEP_2)
	v_and_or_b32 v10, 0xffff, v10, v18
	v_perm_b32 v14, v14, v12, 0x3060504
	v_cmpx_gt_u32_e64 s3, v9
	s_cbranch_execz .LBB195_1
; %bb.3:                                ;   in Loop: Header=BB195_2 Depth=1
	ds_load_u8 v18, v0 offset:257
	v_dual_lshrrev_b32 v19, 8, v14 :: v_dual_lshrrev_b32 v20, 16, v14
	v_perm_b32 v10, v10, v10, 0x3020104
	s_delay_alu instid0(VALU_DEP_2) | instskip(NEXT) | instid1(VALU_DEP_1)
	v_lshlrev_b16 v19, 8, v19
	v_bitop3_b16 v14, v14, v19, 0xff bitop3:0xec
	s_delay_alu instid0(VALU_DEP_1) | instskip(SKIP_2) | instid1(VALU_DEP_1)
	v_and_b32_e32 v14, 0xffff, v14
	s_wait_dscnt 0x0
	v_sub_nc_u16 v18, v17, v18
	v_lshlrev_b16 v18, 8, v18
	s_delay_alu instid0(VALU_DEP_1) | instskip(NEXT) | instid1(VALU_DEP_1)
	v_bitop3_b16 v18, v20, v18, 0xff bitop3:0xec
	v_lshlrev_b32_e32 v18, 16, v18
	s_delay_alu instid0(VALU_DEP_1)
	v_or_b32_e32 v14, v14, v18
	s_branch .LBB195_1
.LBB195_4:
	v_lshlrev_b32_e32 v3, 16, v17
	v_lshlrev_b32_e32 v2, 16, v13
	s_add_nc_u64 s[0:1], s[0:1], s[8:9]
	s_delay_alu instid0(SALU_CYCLE_1) | instskip(NEXT) | instid1(VALU_DEP_3)
	v_add_nc_u64_e32 v[0:1], s[0:1], v[0:1]
	v_or_b32_e32 v3, v15, v3
	s_delay_alu instid0(VALU_DEP_1) | instskip(NEXT) | instid1(VALU_DEP_1)
	v_dual_lshrrev_b32 v6, 8, v3 :: v_dual_bitop2_b32 v2, v16, v2 bitop3:0x54
	v_dual_lshrrev_b32 v7, 24, v3 :: v_dual_lshrrev_b32 v4, 8, v2
	v_lshrrev_b32_e32 v5, 24, v2
	s_clause 0x7
	global_store_b8 v[0:1], v2, off
	global_store_b8 v[0:1], v4, off offset:256
	global_store_d16_hi_b8 v[0:1], v2, off offset:512
	global_store_b8 v[0:1], v5, off offset:768
	global_store_b8 v[0:1], v3, off offset:1024
	;; [unrolled: 1-line block ×3, first 2 shown]
	global_store_d16_hi_b8 v[0:1], v3, off offset:1536
	global_store_b8 v[0:1], v7, off offset:1792
	s_endpgm
	.section	.rodata,"a",@progbits
	.p2align	6, 0x0
	.amdhsa_kernel _Z6kernelI27subtract_right_partial_tileLj256ELj8ELb0EJPaPiS1_jEEvDpT3_
		.amdhsa_group_segment_fixed_size 512
		.amdhsa_private_segment_fixed_size 0
		.amdhsa_kernarg_size 28
		.amdhsa_user_sgpr_count 2
		.amdhsa_user_sgpr_dispatch_ptr 0
		.amdhsa_user_sgpr_queue_ptr 0
		.amdhsa_user_sgpr_kernarg_segment_ptr 1
		.amdhsa_user_sgpr_dispatch_id 0
		.amdhsa_user_sgpr_kernarg_preload_length 0
		.amdhsa_user_sgpr_kernarg_preload_offset 0
		.amdhsa_user_sgpr_private_segment_size 0
		.amdhsa_wavefront_size32 1
		.amdhsa_uses_dynamic_stack 0
		.amdhsa_enable_private_segment 0
		.amdhsa_system_sgpr_workgroup_id_x 1
		.amdhsa_system_sgpr_workgroup_id_y 0
		.amdhsa_system_sgpr_workgroup_id_z 0
		.amdhsa_system_sgpr_workgroup_info 0
		.amdhsa_system_vgpr_workitem_id 0
		.amdhsa_next_free_vgpr 23
		.amdhsa_next_free_sgpr 10
		.amdhsa_named_barrier_count 0
		.amdhsa_reserve_vcc 1
		.amdhsa_float_round_mode_32 0
		.amdhsa_float_round_mode_16_64 0
		.amdhsa_float_denorm_mode_32 3
		.amdhsa_float_denorm_mode_16_64 3
		.amdhsa_fp16_overflow 0
		.amdhsa_memory_ordered 1
		.amdhsa_forward_progress 1
		.amdhsa_inst_pref_size 14
		.amdhsa_round_robin_scheduling 0
		.amdhsa_exception_fp_ieee_invalid_op 0
		.amdhsa_exception_fp_denorm_src 0
		.amdhsa_exception_fp_ieee_div_zero 0
		.amdhsa_exception_fp_ieee_overflow 0
		.amdhsa_exception_fp_ieee_underflow 0
		.amdhsa_exception_fp_ieee_inexact 0
		.amdhsa_exception_int_div_zero 0
	.end_amdhsa_kernel
	.section	.text._Z6kernelI27subtract_right_partial_tileLj256ELj8ELb0EJPaPiS1_jEEvDpT3_,"axG",@progbits,_Z6kernelI27subtract_right_partial_tileLj256ELj8ELb0EJPaPiS1_jEEvDpT3_,comdat
.Lfunc_end195:
	.size	_Z6kernelI27subtract_right_partial_tileLj256ELj8ELb0EJPaPiS1_jEEvDpT3_, .Lfunc_end195-_Z6kernelI27subtract_right_partial_tileLj256ELj8ELb0EJPaPiS1_jEEvDpT3_
                                        ; -- End function
	.set _Z6kernelI27subtract_right_partial_tileLj256ELj8ELb0EJPaPiS1_jEEvDpT3_.num_vgpr, 23
	.set _Z6kernelI27subtract_right_partial_tileLj256ELj8ELb0EJPaPiS1_jEEvDpT3_.num_agpr, 0
	.set _Z6kernelI27subtract_right_partial_tileLj256ELj8ELb0EJPaPiS1_jEEvDpT3_.numbered_sgpr, 10
	.set _Z6kernelI27subtract_right_partial_tileLj256ELj8ELb0EJPaPiS1_jEEvDpT3_.num_named_barrier, 0
	.set _Z6kernelI27subtract_right_partial_tileLj256ELj8ELb0EJPaPiS1_jEEvDpT3_.private_seg_size, 0
	.set _Z6kernelI27subtract_right_partial_tileLj256ELj8ELb0EJPaPiS1_jEEvDpT3_.uses_vcc, 1
	.set _Z6kernelI27subtract_right_partial_tileLj256ELj8ELb0EJPaPiS1_jEEvDpT3_.uses_flat_scratch, 0
	.set _Z6kernelI27subtract_right_partial_tileLj256ELj8ELb0EJPaPiS1_jEEvDpT3_.has_dyn_sized_stack, 0
	.set _Z6kernelI27subtract_right_partial_tileLj256ELj8ELb0EJPaPiS1_jEEvDpT3_.has_recursion, 0
	.set _Z6kernelI27subtract_right_partial_tileLj256ELj8ELb0EJPaPiS1_jEEvDpT3_.has_indirect_call, 0
	.section	.AMDGPU.csdata,"",@progbits
; Kernel info:
; codeLenInByte = 1764
; TotalNumSgprs: 12
; NumVgprs: 23
; ScratchSize: 0
; MemoryBound: 0
; FloatMode: 240
; IeeeMode: 1
; LDSByteSize: 512 bytes/workgroup (compile time only)
; SGPRBlocks: 0
; VGPRBlocks: 1
; NumSGPRsForWavesPerEU: 12
; NumVGPRsForWavesPerEU: 23
; NamedBarCnt: 0
; Occupancy: 16
; WaveLimiterHint : 1
; COMPUTE_PGM_RSRC2:SCRATCH_EN: 0
; COMPUTE_PGM_RSRC2:USER_SGPR: 2
; COMPUTE_PGM_RSRC2:TRAP_HANDLER: 0
; COMPUTE_PGM_RSRC2:TGID_X_EN: 1
; COMPUTE_PGM_RSRC2:TGID_Y_EN: 0
; COMPUTE_PGM_RSRC2:TGID_Z_EN: 0
; COMPUTE_PGM_RSRC2:TIDIG_COMP_CNT: 0
	.section	.text._Z6kernelI27subtract_right_partial_tileLj256ELj16ELb0EJPaPiS1_jEEvDpT3_,"axG",@progbits,_Z6kernelI27subtract_right_partial_tileLj256ELj16ELb0EJPaPiS1_jEEvDpT3_,comdat
	.protected	_Z6kernelI27subtract_right_partial_tileLj256ELj16ELb0EJPaPiS1_jEEvDpT3_ ; -- Begin function _Z6kernelI27subtract_right_partial_tileLj256ELj16ELb0EJPaPiS1_jEEvDpT3_
	.globl	_Z6kernelI27subtract_right_partial_tileLj256ELj16ELb0EJPaPiS1_jEEvDpT3_
	.p2align	8
	.type	_Z6kernelI27subtract_right_partial_tileLj256ELj16ELb0EJPaPiS1_jEEvDpT3_,@function
_Z6kernelI27subtract_right_partial_tileLj256ELj16ELb0EJPaPiS1_jEEvDpT3_: ; @_Z6kernelI27subtract_right_partial_tileLj256ELj16ELb0EJPaPiS1_jEEvDpT3_
; %bb.0:
	s_load_b128 s[4:7], s[0:1], 0x0
	s_bfe_u32 s2, ttmp6, 0x4000c
	s_and_b32 s3, ttmp6, 15
	s_add_co_i32 s2, s2, 1
	s_getreg_b32 s8, hwreg(HW_REG_IB_STS2, 6, 4)
	s_mul_i32 s2, ttmp9, s2
	s_mov_b32 s9, 0
	s_add_co_i32 s3, s3, s2
	s_cmp_eq_u32 s8, 0
	s_wait_xcnt 0x0
	s_load_b96 s[0:2], s[0:1], 0x10
	s_cselect_b32 s3, ttmp9, s3
	v_dual_mov_b32 v1, 0 :: v_dual_lshlrev_b32 v17, 4, v0
	s_lshl_b32 s8, s3, 12
	s_delay_alu instid0(VALU_DEP_1) | instskip(NEXT) | instid1(VALU_DEP_2)
	v_dual_mov_b32 v27, v1 :: v_dual_mov_b32 v25, v1
	v_dual_mov_b32 v18, v1 :: v_dual_bitop2_b32 v2, 1, v17 bitop3:0x54
	s_wait_kmcnt 0x0
	s_add_nc_u64 s[4:5], s[4:5], s[8:9]
	v_or_b32_e32 v3, 2, v17
	s_clause 0xf
	global_load_u8 v19, v0, s[4:5] offset:256
	global_load_u8 v20, v0, s[4:5] offset:768
	global_load_u8 v21, v0, s[4:5] offset:1280
	global_load_u8 v22, v0, s[4:5] offset:1792
	global_load_u8 v23, v0, s[4:5] offset:1536
	global_load_u8 v24, v0, s[4:5] offset:1024
	global_load_u8 v26, v0, s[4:5] offset:512
	global_load_u8 v28, v0, s[4:5]
	global_load_u8 v29, v0, s[4:5] offset:2304
	global_load_u8 v30, v0, s[4:5] offset:3584
	;; [unrolled: 1-line block ×8, first 2 shown]
	s_load_b32 s3, s[6:7], s3 offset:0x0 scale_offset
	v_or_b32_e32 v4, 3, v17
	v_or_b32_e32 v6, 5, v17
	;; [unrolled: 1-line block ×5, first 2 shown]
	s_cvt_f32_u32 s4, s2
	s_sub_co_i32 s5, 0, s2
	v_or_b32_e32 v10, 9, v17
	v_or_b32_e32 v11, 10, v17
	v_rcp_iflag_f32_e32 v5, s4
	v_or_b32_e32 v12, 11, v17
	v_or_b32_e32 v13, 12, v17
	;; [unrolled: 1-line block ×5, first 2 shown]
	s_delay_alu instid0(TRANS32_DEP_1) | instskip(SKIP_2) | instid1(SALU_CYCLE_3)
	v_readfirstlane_b32 s4, v5
	v_dual_add_nc_u32 v17, 16, v17 :: v_dual_bitop2_b32 v5, 4, v17 bitop3:0x54
	s_mul_f32 s4, s4, 0x4f7ffffe
	s_cvt_u32_f32 s4, s4
	s_delay_alu instid0(SALU_CYCLE_3) | instskip(NEXT) | instid1(SALU_CYCLE_1)
	s_mul_i32 s5, s5, s4
	s_mul_hi_u32 s5, s4, s5
	s_delay_alu instid0(SALU_CYCLE_1) | instskip(NEXT) | instid1(SALU_CYCLE_1)
	s_add_co_i32 s4, s4, s5
	s_lshr_b32 s4, s4, 20
	s_delay_alu instid0(SALU_CYCLE_1) | instskip(SKIP_2) | instid1(SALU_CYCLE_1)
	s_mul_i32 s5, s4, s2
	s_add_co_i32 s10, s4, 1
	s_sub_co_i32 s5, 0x1000, s5
	s_sub_co_i32 s11, s5, s2
	s_cmp_ge_u32 s5, s2
	s_cselect_b32 s4, s10, s4
	s_cselect_b32 s5, s11, s5
	s_wait_xcnt 0x0
	s_add_co_i32 s6, s4, 1
	s_cmp_ge_u32 s5, s2
	s_cselect_b32 s4, s6, s4
	s_delay_alu instid0(SALU_CYCLE_1)
	s_add_co_i32 s4, s4, 1
	s_wait_loadcnt 0xb
	v_perm_b32 v22, v23, v22, 0xc0c0004
	s_wait_loadcnt 0xa
	v_perm_b32 v21, v24, v21, 0xc0c0004
	;; [unrolled: 2-line block ×8, first 2 shown]
	v_lshl_or_b32 v19, v20, 16, v19
	v_lshl_or_b32 v20, v22, 16, v21
	;; [unrolled: 1-line block ×3, first 2 shown]
	v_mov_b32_e32 v21, v1
	v_lshl_or_b32 v23, v28, 16, v26
	s_branch .LBB196_2
.LBB196_1:                              ;   in Loop: Header=BB196_2 Depth=1
	s_or_b32 exec_lo, exec_lo, s5
	v_lshrrev_b16 v37, 8, v23
	s_delay_alu instid0(VALU_DEP_2)
	v_lshrrev_b16 v46, 8, v21
	v_lshrrev_b16 v36, 8, v22
	;; [unrolled: 1-line block ×5, first 2 shown]
	v_add_nc_u16 v37, v46, v37
	v_add_nc_u16 v23, v21, v23
	;; [unrolled: 1-line block ×3, first 2 shown]
	v_lshrrev_b16 v35, 8, v19
	v_lshrrev_b16 v38, 8, v27
	v_lshlrev_b16 v37, 8, v37
	v_dual_lshrrev_b32 v42, 24, v25 :: v_dual_lshrrev_b32 v43, 24, v18
	v_dual_lshrrev_b32 v44, 16, v25 :: v_dual_lshrrev_b32 v47, 16, v18
	v_lshlrev_b16 v36, 8, v36
	v_add_nc_u16 v22, v18, v22
	v_bitop3_b16 v23, v23, v37, 0xff bitop3:0xec
	v_add_nc_u16 v37, v41, v32
	v_add_nc_u16 v33, v43, v33
	v_dual_lshrrev_b32 v43, 24, v21 :: v_dual_lshrrev_b32 v48, 16, v21
	v_bitop3_b16 v22, v22, v36, 0xff bitop3:0xec
	s_delay_alu instid0(VALU_DEP_4)
	v_lshlrev_b16 v36, 8, v37
	v_add_nc_u16 v20, v25, v20
	v_add_nc_u16 v35, v38, v35
	;; [unrolled: 1-line block ×4, first 2 shown]
	v_dual_lshrrev_b32 v39, 24, v27 :: v_dual_lshrrev_b32 v40, 16, v27
	v_add_nc_u16 v34, v43, v34
	v_bitop3_b16 v20, v20, v36, 0xff bitop3:0xec
	v_lshlrev_b16 v29, 8, v35
	v_lshlrev_b16 v35, 8, v26
	v_add_nc_u16 v30, v47, v30
	v_lshlrev_b16 v33, 8, v33
	v_add_nc_u16 v31, v48, v31
	v_lshlrev_b16 v34, 8, v34
	v_add_nc_u16 v28, v39, v28
	v_and_b32_e32 v26, 0xffff, v20
	v_lshrrev_b32_e32 v38, 8, v35
	v_bitop3_b16 v32, v30, v33, 0xff bitop3:0xec
	v_bitop3_b16 v33, v31, v34, 0xff bitop3:0xec
	v_and_b32_e32 v30, 0xffff, v23
	v_and_b32_e32 v31, 0xffff, v22
	v_add_nc_u16 v19, v27, v19
	v_add_nc_u16 v24, v40, v24
	v_lshlrev_b16 v36, 8, v28
	v_lshrrev_b32_e32 v39, 8, v26
	v_bitop3_b16 v28, v37, v35, 0xff bitop3:0xec
	v_lshlrev_b16 v35, 8, v38
	v_bitop3_b16 v19, v19, v29, 0xff bitop3:0xec
	v_bitop3_b16 v29, v24, v36, 0xff bitop3:0xec
	v_lshlrev_b16 v37, 8, v39
	v_dual_lshrrev_b32 v38, 8, v30 :: v_dual_lshrrev_b32 v39, 8, v32
	v_dual_lshrrev_b32 v34, 8, v34 :: v_dual_lshrrev_b32 v35, 8, v35
	;; [unrolled: 1-line block ×3, first 2 shown]
	v_and_b32_e32 v24, 0xffff, v19
	v_lshrrev_b32_e32 v37, 8, v37
	s_delay_alu instid0(VALU_DEP_4)
	v_lshlrev_b16 v34, 8, v34
	v_lshlrev_b16 v38, 8, v38
	;; [unrolled: 1-line block ×4, first 2 shown]
	v_lshrrev_b32_e32 v40, 8, v24
	v_lshlrev_b16 v37, 8, v37
	v_lshlrev_b16 v39, 8, v39
	v_bitop3_b16 v36, v29, v36, 0xff bitop3:0xec
	v_lshrrev_b32_e32 v34, 8, v34
	v_bitop3_b16 v35, v28, v35, 0xff bitop3:0xec
	v_lshrrev_b32_e32 v38, 8, v38
	v_lshlrev_b16 v40, 8, v40
	v_bitop3_b16 v20, v20, v37, 0xff bitop3:0xec
	v_lshlrev_b32_e32 v36, 16, v36
	v_lshlrev_b16 v34, 8, v34
	v_lshlrev_b32_e32 v35, 16, v35
	v_lshlrev_b16 v37, 8, v38
	v_lshlrev_b16 v41, 8, v41
	v_bitop3_b16 v19, v19, v40, 0xff bitop3:0xec
	v_bitop3_b16 v34, v33, v34, 0xff bitop3:0xec
	v_and_b32_e32 v20, 0xffff, v20
	v_bitop3_b16 v23, v23, v37, 0xff bitop3:0xec
	v_perm_b32 v37, v32, v39, 0xc0c0104
	v_and_b32_e32 v19, 0xffff, v19
	v_perm_b32 v22, v22, v41, 0xc0c0104
	v_lshlrev_b32_e32 v34, 16, v34
	v_and_b32_e32 v23, 0xffff, v23
	s_add_co_i32 s3, s4, s3
	v_or_b32_e32 v19, v19, v36
	v_or_b32_e32 v20, v20, v35
	v_lshl_or_b32 v22, v37, 16, v22
	v_or_b32_e32 v23, v23, v34
	s_add_co_i32 s2, s2, -1
	s_and_b32 s3, s3, 0xfff
	s_cmp_lg_u32 s2, 0
	s_barrier_signal -1
	s_barrier_wait -1
	s_cbranch_scc0 .LBB196_4
.LBB196_2:                              ; =>This Inner Loop Header: Depth=1
	v_dual_lshrrev_b32 v26, 8, v19 :: v_dual_lshrrev_b32 v24, 16, v19
	v_perm_b32 v31, v19, v27, 0xc0c0104
	s_wait_kmcnt 0x0
	v_cmp_gt_u32_e32 vcc_lo, s3, v2
	v_and_b32_e32 v32, 0xffffff00, v25
	v_sub_nc_u16 v30, v19, v26
	v_sub_nc_u16 v26, v26, v24
	v_and_b32_e32 v25, 0xffff0000, v25
	v_and_b32_e32 v29, 0xffffff00, v20
	v_bitop3_b16 v34, v20, v32, 0xff bitop3:0xec
	v_perm_b32 v30, v30, v27, 0xc0c0104
	v_lshrrev_b32_e32 v28, 8, v20
	v_and_b32_e32 v38, 0xffffff00, v21
	v_and_b32_e32 v21, 0xffff0000, v21
	s_mov_b32 s5, exec_lo
	v_cndmask_b32_e32 v30, v31, v30, vcc_lo
	v_sub_nc_u16 v33, v20, v28
	v_lshlrev_b16 v31, 8, v26
	v_cmp_gt_u32_e32 vcc_lo, s3, v6
	ds_store_b8 v0, v19 offset:256
	v_and_or_b32 v27, 0xffff0000, v27, v30
	v_bitop3_b16 v32, v33, v32, 0xff bitop3:0xec
	v_and_b32_e32 v33, 0xffff, v34
	v_bitop3_b16 v30, v30, v31, 0xff bitop3:0xec
	v_lshrrev_b32_e32 v26, 16, v20
	v_and_b32_e32 v34, 0xffffff00, v23
	v_and_b32_e32 v32, 0xffff, v32
	v_or_b32_e32 v31, v33, v25
	v_and_b32_e32 v30, 0xffff, v30
	v_sub_nc_u16 v28, v28, v26
	s_wait_dscnt 0x0
	v_or_b32_e32 v25, v32, v25
	v_perm_b32 v32, v27, v19, 0xc0c0104
	s_barrier_signal -1
	v_lshlrev_b16 v33, 8, v28
	s_delay_alu instid0(VALU_DEP_3) | instskip(SKIP_3) | instid1(VALU_DEP_3)
	v_dual_cndmask_b32 v25, v31, v25 :: v_dual_lshrrev_b32 v28, 24, v19
	v_cmp_gt_u32_e32 vcc_lo, s3, v3
	s_barrier_wait -1
	v_lshrrev_b32_e32 v35, 8, v23
	v_bitop3_b16 v31, v25, v33, 0xff bitop3:0xec
	v_cndmask_b32_e32 v30, v32, v30, vcc_lo
	v_bitop3_b16 v29, v25, v29, 0xff bitop3:0xec
	v_and_b32_e32 v25, 0xffff0000, v25
	v_cmp_gt_u32_e32 vcc_lo, s3, v4
	v_and_b32_e32 v31, 0xffff, v31
	v_and_or_b32 v27, 0xffff0000, v27, v30
	v_sub_nc_u16 v30, v24, v28
	v_and_b32_e32 v32, 0xffff, v29
	s_delay_alu instid0(VALU_DEP_4) | instskip(NEXT) | instid1(VALU_DEP_4)
	v_dual_lshrrev_b32 v29, 24, v20 :: v_dual_bitop2_b32 v31, v31, v25 bitop3:0x54
	v_perm_b32 v33, v19, v27, 0xc0c0306
	s_delay_alu instid0(VALU_DEP_4) | instskip(NEXT) | instid1(VALU_DEP_4)
	v_perm_b32 v30, v30, v27, 0xc0c0304
	v_or_b32_e32 v25, v32, v25
	s_delay_alu instid0(VALU_DEP_4) | instskip(SKIP_4) | instid1(VALU_DEP_2)
	v_sub_nc_u16 v39, v26, v29
	v_lshrrev_b32_e32 v37, 8, v22
	v_sub_nc_u16 v41, v23, v35
	v_cndmask_b32_e32 v32, v33, v30, vcc_lo
	v_cmp_gt_u32_e32 vcc_lo, s3, v7
	v_dual_lshrrev_b32 v30, 16, v22 :: v_dual_lshlrev_b32 v33, 16, v32
	v_cndmask_b32_e32 v25, v25, v31, vcc_lo
	v_sub_nc_u16 v31, v28, v20
	v_cmp_gt_u32_e32 vcc_lo, s3, v5
	s_delay_alu instid0(VALU_DEP_4) | instskip(NEXT) | instid1(VALU_DEP_4)
	v_and_or_b32 v27, 0xffff, v27, v33
	v_lshrrev_b32_e32 v36, 16, v25
	s_delay_alu instid0(VALU_DEP_4) | instskip(SKIP_2) | instid1(VALU_DEP_4)
	v_lshlrev_b16 v31, 8, v31
	v_and_b32_e32 v25, 0xffff, v25
	v_perm_b32 v33, v22, v18, 0xc0c0104
	v_and_b32_e32 v36, 0xffffff00, v36
	s_delay_alu instid0(VALU_DEP_4) | instskip(SKIP_1) | instid1(VALU_DEP_3)
	v_bitop3_b16 v31, v32, v31, 0xff bitop3:0xec
	v_perm_b32 v32, v27, v19, 0xc0c0306
	v_bitop3_b16 v40, v26, v36, 0xff bitop3:0xec
	v_bitop3_b16 v36, v39, v36, 0xff bitop3:0xec
	s_delay_alu instid0(VALU_DEP_3)
	v_cndmask_b32_e32 v31, v32, v31, vcc_lo
	v_sub_nc_u16 v32, v22, v37
	v_sub_nc_u16 v37, v37, v30
	v_lshlrev_b32_e32 v40, 16, v40
	v_cmp_gt_u32_e32 vcc_lo, s3, v10
	v_lshlrev_b32_e32 v31, 16, v31
	v_perm_b32 v42, v32, v18, 0xc0c0104
	v_lshlrev_b16 v37, 8, v37
	v_or_b32_e32 v39, v25, v40
	v_lshlrev_b32_e32 v36, 16, v36
	v_and_or_b32 v32, 0xffff, v27, v31
	v_bitop3_b16 v27, v41, v38, 0xff bitop3:0xec
	v_bitop3_b16 v31, v23, v38, 0xff bitop3:0xec
	v_cndmask_b32_e32 v33, v33, v42, vcc_lo
	v_cmp_gt_u32_e32 vcc_lo, s3, v14
	v_or_b32_e32 v25, v25, v36
	v_and_b32_e32 v27, 0xffff, v27
	v_and_b32_e32 v38, 0xffff, v31
	v_lshrrev_b32_e32 v31, 16, v23
	v_and_or_b32 v18, 0xffff0000, v18, v33
	v_bitop3_b16 v33, v33, v37, 0xff bitop3:0xec
	v_or_b32_e32 v27, v27, v21
	v_or_b32_e32 v21, v38, v21
	v_sub_nc_u16 v35, v35, v31
	v_perm_b32 v37, v18, v22, 0xc0c0104
	v_and_b32_e32 v33, 0xffff, v33
	s_delay_alu instid0(VALU_DEP_4) | instskip(SKIP_2) | instid1(VALU_DEP_4)
	v_cndmask_b32_e32 v21, v21, v27, vcc_lo
	v_cmp_gt_u32_e32 vcc_lo, s3, v11
	v_lshlrev_b16 v27, 8, v35
	v_dual_cndmask_b32 v35, v37, v33, vcc_lo :: v_dual_lshrrev_b32 v33, 24, v22
	v_cmp_gt_u32_e32 vcc_lo, s3, v12
	s_delay_alu instid0(VALU_DEP_2) | instskip(NEXT) | instid1(VALU_DEP_3)
	v_and_or_b32 v18, 0xffff0000, v18, v35
	v_sub_nc_u16 v35, v30, v33
	s_delay_alu instid0(VALU_DEP_2) | instskip(NEXT) | instid1(VALU_DEP_2)
	v_perm_b32 v37, v22, v18, 0xc0c0306
	v_perm_b32 v35, v35, v18, 0xc0c0304
	s_delay_alu instid0(VALU_DEP_1) | instskip(SKIP_2) | instid1(VALU_DEP_3)
	v_cndmask_b32_e32 v35, v37, v35, vcc_lo
	v_cmp_gt_u32_e32 vcc_lo, s3, v8
	v_sub_nc_u16 v37, v33, v23
	v_dual_cndmask_b32 v25, v39, v25 :: v_dual_lshlrev_b32 v36, 16, v35
	v_bitop3_b16 v27, v21, v27, 0xff bitop3:0xec
	v_bitop3_b16 v34, v21, v34, 0xff bitop3:0xec
	v_and_b32_e32 v21, 0xffff0000, v21
	s_delay_alu instid0(VALU_DEP_4)
	v_and_or_b32 v18, 0xffff, v18, v36
	v_lshlrev_b16 v36, 8, v37
	v_and_b32_e32 v27, 0xffff, v27
	v_and_b32_e32 v34, 0xffff, v34
	v_cmp_gt_u32_e32 vcc_lo, s3, v15
	v_lshrrev_b32_e32 v38, 16, v25
	v_perm_b32 v41, v18, v22, 0xc0c0306
	v_or_b32_e32 v27, v27, v21
	v_bitop3_b16 v35, v35, v36, 0xff bitop3:0xec
	v_dual_lshrrev_b32 v34, 24, v23 :: v_dual_bitop2_b32 v21, v34, v21 bitop3:0x54
	v_sub_nc_u16 v37, v29, v22
	v_and_b32_e32 v25, 0xffff, v25
	s_delay_alu instid0(VALU_DEP_3) | instskip(NEXT) | instid1(VALU_DEP_4)
	v_cndmask_b32_e32 v21, v21, v27, vcc_lo
	v_sub_nc_u16 v40, v31, v34
	v_and_b32_e32 v27, 0xffffff00, v26
	v_lshlrev_b16 v36, 8, v37
	v_cmp_gt_u32_e32 vcc_lo, s3, v13
	v_lshrrev_b32_e32 v39, 16, v21
	s_delay_alu instid0(VALU_DEP_4) | instskip(NEXT) | instid1(VALU_DEP_4)
	v_bitop3_b16 v27, v38, v27, 0xff bitop3:0xec
	v_bitop3_b16 v36, v38, v36, 0xff bitop3:0xec
	v_cndmask_b32_e32 v35, v41, v35, vcc_lo
	s_delay_alu instid0(VALU_DEP_4) | instskip(SKIP_1) | instid1(VALU_DEP_3)
	v_and_b32_e32 v39, 0xffffff00, v39
	v_cmp_gt_u32_e32 vcc_lo, s3, v16
	v_dual_lshlrev_b32 v36, 16, v36 :: v_dual_lshlrev_b32 v35, 16, v35
	s_delay_alu instid0(VALU_DEP_3) | instskip(SKIP_1) | instid1(VALU_DEP_3)
	v_bitop3_b16 v37, v40, v39, 0xff bitop3:0xec
	v_bitop3_b16 v39, v31, v39, 0xff bitop3:0xec
	v_and_or_b32 v35, 0xffff, v18, v35
	s_delay_alu instid0(VALU_DEP_3) | instskip(SKIP_1) | instid1(VALU_DEP_4)
	v_lshlrev_b32_e32 v37, 16, v37
	v_and_b32_e32 v21, 0xffff, v21
	v_lshlrev_b32_e32 v38, 16, v39
	v_lshlrev_b32_e32 v27, 16, v27
	v_perm_b32 v18, v35, v35, 0x3020104
	s_delay_alu instid0(VALU_DEP_3) | instskip(SKIP_1) | instid1(VALU_DEP_4)
	v_or_b32_e32 v38, v21, v38
	v_or_b32_e32 v21, v21, v37
	;; [unrolled: 1-line block ×3, first 2 shown]
	s_delay_alu instid0(VALU_DEP_2) | instskip(SKIP_1) | instid1(VALU_DEP_2)
	v_dual_cndmask_b32 v21, v38, v21, vcc_lo :: v_dual_bitop2_b32 v25, v25, v36 bitop3:0x54
	v_cmp_gt_u32_e32 vcc_lo, s3, v9
	v_perm_b32 v21, v21, v23, 0x3060504
	s_delay_alu instid0(VALU_DEP_3)
	v_cndmask_b32_e32 v25, v27, v25, vcc_lo
	v_perm_b32 v27, v32, v32, 0x3020104
	v_cmpx_gt_u32_e64 s3, v17
	s_cbranch_execz .LBB196_1
; %bb.3:                                ;   in Loop: Header=BB196_2 Depth=1
	ds_load_u8 v18, v0 offset:257
	v_dual_lshrrev_b32 v27, 8, v21 :: v_dual_lshrrev_b32 v36, 16, v21
	s_delay_alu instid0(VALU_DEP_1) | instskip(NEXT) | instid1(VALU_DEP_1)
	v_lshlrev_b16 v27, 8, v27
	v_bitop3_b16 v21, v21, v27, 0xff bitop3:0xec
	v_mov_b32_e32 v27, v32
	s_delay_alu instid0(VALU_DEP_2) | instskip(SKIP_2) | instid1(VALU_DEP_1)
	v_and_b32_e32 v21, 0xffff, v21
	s_wait_dscnt 0x0
	v_sub_nc_u16 v18, v34, v18
	v_lshlrev_b16 v18, 8, v18
	s_delay_alu instid0(VALU_DEP_1) | instskip(NEXT) | instid1(VALU_DEP_1)
	v_bitop3_b16 v18, v36, v18, 0xff bitop3:0xec
	v_lshlrev_b32_e32 v18, 16, v18
	s_delay_alu instid0(VALU_DEP_1)
	v_dual_mov_b32 v18, v35 :: v_dual_bitop2_b32 v21, v21, v18 bitop3:0x54
	s_branch .LBB196_1
.LBB196_4:
	v_dual_lshlrev_b32 v2, 16, v29 :: v_dual_lshlrev_b32 v4, 16, v28
	v_dual_lshlrev_b32 v3, 16, v33 :: v_dual_lshlrev_b32 v5, 16, v32
	s_add_nc_u64 s[0:1], s[0:1], s[8:9]
	s_delay_alu instid0(VALU_DEP_2) | instskip(NEXT) | instid1(VALU_DEP_3)
	v_or_b32_e32 v4, v26, v4
	v_or_b32_e32 v2, v24, v2
	v_add_nc_u64_e32 v[0:1], s[0:1], v[0:1]
	s_delay_alu instid0(VALU_DEP_2)
	v_dual_lshrrev_b32 v8, 8, v4 :: v_dual_lshrrev_b32 v6, 8, v2
	v_dual_lshrrev_b32 v9, 24, v4 :: v_dual_bitop2_b32 v5, v31, v5 bitop3:0x54
	v_dual_lshrrev_b32 v7, 24, v2 :: v_dual_bitop2_b32 v3, v30, v3 bitop3:0x54
	s_clause 0x7
	global_store_b8 v[0:1], v2, off
	global_store_b8 v[0:1], v6, off offset:256
	global_store_d16_hi_b8 v[0:1], v2, off offset:512
	global_store_b8 v[0:1], v7, off offset:768
	global_store_b8 v[0:1], v4, off offset:1024
	;; [unrolled: 1-line block ×3, first 2 shown]
	global_store_d16_hi_b8 v[0:1], v4, off offset:1536
	global_store_b8 v[0:1], v9, off offset:1792
	s_wait_xcnt 0x1
	v_dual_lshrrev_b32 v2, 8, v5 :: v_dual_lshrrev_b32 v4, 24, v5
	v_dual_lshrrev_b32 v6, 8, v3 :: v_dual_lshrrev_b32 v7, 24, v3
	s_clause 0x7
	global_store_b8 v[0:1], v5, off offset:2048
	global_store_b8 v[0:1], v2, off offset:2304
	global_store_d16_hi_b8 v[0:1], v5, off offset:2560
	global_store_b8 v[0:1], v4, off offset:2816
	global_store_b8 v[0:1], v3, off offset:3072
	;; [unrolled: 1-line block ×3, first 2 shown]
	global_store_d16_hi_b8 v[0:1], v3, off offset:3584
	global_store_b8 v[0:1], v7, off offset:3840
	s_endpgm
	.section	.rodata,"a",@progbits
	.p2align	6, 0x0
	.amdhsa_kernel _Z6kernelI27subtract_right_partial_tileLj256ELj16ELb0EJPaPiS1_jEEvDpT3_
		.amdhsa_group_segment_fixed_size 512
		.amdhsa_private_segment_fixed_size 0
		.amdhsa_kernarg_size 28
		.amdhsa_user_sgpr_count 2
		.amdhsa_user_sgpr_dispatch_ptr 0
		.amdhsa_user_sgpr_queue_ptr 0
		.amdhsa_user_sgpr_kernarg_segment_ptr 1
		.amdhsa_user_sgpr_dispatch_id 0
		.amdhsa_user_sgpr_kernarg_preload_length 0
		.amdhsa_user_sgpr_kernarg_preload_offset 0
		.amdhsa_user_sgpr_private_segment_size 0
		.amdhsa_wavefront_size32 1
		.amdhsa_uses_dynamic_stack 0
		.amdhsa_enable_private_segment 0
		.amdhsa_system_sgpr_workgroup_id_x 1
		.amdhsa_system_sgpr_workgroup_id_y 0
		.amdhsa_system_sgpr_workgroup_id_z 0
		.amdhsa_system_sgpr_workgroup_info 0
		.amdhsa_system_vgpr_workitem_id 0
		.amdhsa_next_free_vgpr 49
		.amdhsa_next_free_sgpr 12
		.amdhsa_named_barrier_count 0
		.amdhsa_reserve_vcc 1
		.amdhsa_float_round_mode_32 0
		.amdhsa_float_round_mode_16_64 0
		.amdhsa_float_denorm_mode_32 3
		.amdhsa_float_denorm_mode_16_64 3
		.amdhsa_fp16_overflow 0
		.amdhsa_memory_ordered 1
		.amdhsa_forward_progress 1
		.amdhsa_inst_pref_size 25
		.amdhsa_round_robin_scheduling 0
		.amdhsa_exception_fp_ieee_invalid_op 0
		.amdhsa_exception_fp_denorm_src 0
		.amdhsa_exception_fp_ieee_div_zero 0
		.amdhsa_exception_fp_ieee_overflow 0
		.amdhsa_exception_fp_ieee_underflow 0
		.amdhsa_exception_fp_ieee_inexact 0
		.amdhsa_exception_int_div_zero 0
	.end_amdhsa_kernel
	.section	.text._Z6kernelI27subtract_right_partial_tileLj256ELj16ELb0EJPaPiS1_jEEvDpT3_,"axG",@progbits,_Z6kernelI27subtract_right_partial_tileLj256ELj16ELb0EJPaPiS1_jEEvDpT3_,comdat
.Lfunc_end196:
	.size	_Z6kernelI27subtract_right_partial_tileLj256ELj16ELb0EJPaPiS1_jEEvDpT3_, .Lfunc_end196-_Z6kernelI27subtract_right_partial_tileLj256ELj16ELb0EJPaPiS1_jEEvDpT3_
                                        ; -- End function
	.set _Z6kernelI27subtract_right_partial_tileLj256ELj16ELb0EJPaPiS1_jEEvDpT3_.num_vgpr, 49
	.set _Z6kernelI27subtract_right_partial_tileLj256ELj16ELb0EJPaPiS1_jEEvDpT3_.num_agpr, 0
	.set _Z6kernelI27subtract_right_partial_tileLj256ELj16ELb0EJPaPiS1_jEEvDpT3_.numbered_sgpr, 12
	.set _Z6kernelI27subtract_right_partial_tileLj256ELj16ELb0EJPaPiS1_jEEvDpT3_.num_named_barrier, 0
	.set _Z6kernelI27subtract_right_partial_tileLj256ELj16ELb0EJPaPiS1_jEEvDpT3_.private_seg_size, 0
	.set _Z6kernelI27subtract_right_partial_tileLj256ELj16ELb0EJPaPiS1_jEEvDpT3_.uses_vcc, 1
	.set _Z6kernelI27subtract_right_partial_tileLj256ELj16ELb0EJPaPiS1_jEEvDpT3_.uses_flat_scratch, 0
	.set _Z6kernelI27subtract_right_partial_tileLj256ELj16ELb0EJPaPiS1_jEEvDpT3_.has_dyn_sized_stack, 0
	.set _Z6kernelI27subtract_right_partial_tileLj256ELj16ELb0EJPaPiS1_jEEvDpT3_.has_recursion, 0
	.set _Z6kernelI27subtract_right_partial_tileLj256ELj16ELb0EJPaPiS1_jEEvDpT3_.has_indirect_call, 0
	.section	.AMDGPU.csdata,"",@progbits
; Kernel info:
; codeLenInByte = 3176
; TotalNumSgprs: 14
; NumVgprs: 49
; ScratchSize: 0
; MemoryBound: 0
; FloatMode: 240
; IeeeMode: 1
; LDSByteSize: 512 bytes/workgroup (compile time only)
; SGPRBlocks: 0
; VGPRBlocks: 3
; NumSGPRsForWavesPerEU: 14
; NumVGPRsForWavesPerEU: 49
; NamedBarCnt: 0
; Occupancy: 16
; WaveLimiterHint : 1
; COMPUTE_PGM_RSRC2:SCRATCH_EN: 0
; COMPUTE_PGM_RSRC2:USER_SGPR: 2
; COMPUTE_PGM_RSRC2:TRAP_HANDLER: 0
; COMPUTE_PGM_RSRC2:TGID_X_EN: 1
; COMPUTE_PGM_RSRC2:TGID_Y_EN: 0
; COMPUTE_PGM_RSRC2:TGID_Z_EN: 0
; COMPUTE_PGM_RSRC2:TIDIG_COMP_CNT: 0
	.section	.text._Z6kernelI27subtract_right_partial_tileLj256ELj32ELb0EJPaPiS1_jEEvDpT3_,"axG",@progbits,_Z6kernelI27subtract_right_partial_tileLj256ELj32ELb0EJPaPiS1_jEEvDpT3_,comdat
	.protected	_Z6kernelI27subtract_right_partial_tileLj256ELj32ELb0EJPaPiS1_jEEvDpT3_ ; -- Begin function _Z6kernelI27subtract_right_partial_tileLj256ELj32ELb0EJPaPiS1_jEEvDpT3_
	.globl	_Z6kernelI27subtract_right_partial_tileLj256ELj32ELb0EJPaPiS1_jEEvDpT3_
	.p2align	8
	.type	_Z6kernelI27subtract_right_partial_tileLj256ELj32ELb0EJPaPiS1_jEEvDpT3_,@function
_Z6kernelI27subtract_right_partial_tileLj256ELj32ELb0EJPaPiS1_jEEvDpT3_: ; @_Z6kernelI27subtract_right_partial_tileLj256ELj32ELb0EJPaPiS1_jEEvDpT3_
; %bb.0:
	s_load_b128 s[4:7], s[0:1], 0x0
	s_bfe_u32 s2, ttmp6, 0x4000c
	s_and_b32 s3, ttmp6, 15
	s_add_co_i32 s2, s2, 1
	s_getreg_b32 s8, hwreg(HW_REG_IB_STS2, 6, 4)
	s_mul_i32 s2, ttmp9, s2
	s_mov_b32 s9, 0
	s_add_co_i32 s3, s3, s2
	s_cmp_eq_u32 s8, 0
	s_wait_xcnt 0x0
	s_load_b96 s[0:2], s[0:1], 0x10
	s_cselect_b32 s3, ttmp9, s3
	v_dual_lshlrev_b32 v41, 5, v0 :: v_dual_mov_b32 v1, 0
	s_lshl_b32 s8, s3, 13
	s_delay_alu instid0(VALU_DEP_1)
	v_or_b32_e32 v10, 1, v41
	v_or_b32_e32 v11, 2, v41
	;; [unrolled: 1-line block ×4, first 2 shown]
	s_wait_kmcnt 0x0
	s_add_nc_u64 s[4:5], s[4:5], s[8:9]
	v_or_b32_e32 v14, 5, v41
	s_clause 0x1f
	global_load_u8 v2, v0, s[4:5] offset:256
	global_load_u8 v3, v0, s[4:5] offset:1536
	;; [unrolled: 1-line block ×7, first 2 shown]
	global_load_u8 v9, v0, s[4:5]
	global_load_u8 v42, v0, s[4:5] offset:2304
	global_load_u8 v43, v0, s[4:5] offset:3584
	;; [unrolled: 1-line block ×24, first 2 shown]
	s_load_b32 s3, s[6:7], s3 offset:0x0 scale_offset
	v_or_b32_e32 v15, 6, v41
	v_or_b32_e32 v16, 7, v41
	;; [unrolled: 1-line block ×5, first 2 shown]
	s_cvt_f32_u32 s4, s2
	s_sub_co_i32 s5, 0, s2
	v_or_b32_e32 v20, 11, v41
	v_or_b32_e32 v21, 12, v41
	v_rcp_iflag_f32_e32 v29, s4
	v_or_b32_e32 v22, 13, v41
	v_or_b32_e32 v23, 14, v41
	;; [unrolled: 1-line block ×6, first 2 shown]
	v_readfirstlane_b32 s4, v29
	v_or_b32_e32 v28, 19, v41
	v_or_b32_e32 v29, 20, v41
	;; [unrolled: 1-line block ×4, first 2 shown]
	s_mul_f32 s4, s4, 0x4f7ffffe
	v_or_b32_e32 v32, 23, v41
	v_or_b32_e32 v33, 24, v41
	;; [unrolled: 1-line block ×3, first 2 shown]
	s_cvt_u32_f32 s4, s4
	v_or_b32_e32 v35, 26, v41
	v_or_b32_e32 v36, 27, v41
	v_or_b32_e32 v37, 28, v41
	s_mul_i32 s5, s5, s4
	v_or_b32_e32 v38, 29, v41
	s_mul_hi_u32 s5, s4, s5
	v_or_b32_e32 v39, 30, v41
	s_add_co_i32 s4, s4, s5
	v_or_b32_e32 v40, 31, v41
	s_lshr_b32 s4, s4, 19
	v_add_nc_u32_e32 v41, 32, v41
	s_mul_i32 s5, s4, s2
	s_add_co_i32 s10, s4, 1
	s_sub_co_i32 s5, 0x2000, s5
	s_delay_alu instid0(SALU_CYCLE_1)
	s_sub_co_i32 s11, s5, s2
	s_cmp_ge_u32 s5, s2
	s_cselect_b32 s4, s10, s4
	s_cselect_b32 s5, s11, s5
	s_wait_xcnt 0x0
	s_add_co_i32 s6, s4, 1
	s_cmp_ge_u32 s5, s2
	s_cselect_b32 s4, s6, s4
	s_delay_alu instid0(SALU_CYCLE_1)
	s_add_co_i32 s4, s4, 1
	s_wait_loadcnt 0x1b
	v_perm_b32 v3, v3, v6, 0xc0c0004
	s_wait_loadcnt 0x1a
	v_perm_b32 v4, v4, v7, 0xc0c0004
	;; [unrolled: 2-line block ×4, first 2 shown]
	v_lshl_or_b32 v9, v3, 16, v4
	s_wait_loadcnt 0x13
	v_perm_b32 v43, v43, v46, 0xc0c0004
	s_delay_alu instid0(VALU_DEP_3)
	v_lshl_or_b32 v8, v5, 16, v2
	s_wait_loadcnt 0x11
	v_perm_b32 v7, v45, v48, 0xc0c0004
	s_wait_loadcnt 0x10
	v_perm_b32 v6, v49, v42, 0xc0c0004
	v_perm_b32 v42, v44, v47, 0xc0c0004
	s_wait_loadcnt 0xb
	v_perm_b32 v47, v54, v53, 0xc0c0004
	s_wait_loadcnt 0xa
	;; [unrolled: 2-line block ×4, first 2 shown]
	v_perm_b32 v44, v57, v50, 0xc0c0004
	v_lshl_or_b32 v4, v7, 16, v6
	v_lshl_or_b32 v5, v43, 16, v42
	v_lshl_or_b32 v7, v47, 16, v46
	s_wait_loadcnt 0x3
	v_perm_b32 v49, v59, v62, 0xc0c0004
	s_wait_loadcnt 0x2
	v_perm_b32 v48, v63, v58, 0xc0c0004
	;; [unrolled: 2-line block ×4, first 2 shown]
	v_lshl_or_b32 v6, v45, 16, v44
	v_lshl_or_b32 v2, v49, 16, v48
	s_delay_alu instid0(VALU_DEP_3)
	v_lshl_or_b32 v3, v51, 16, v50
	s_branch .LBB197_2
.LBB197_1:                              ;   in Loop: Header=BB197_2 Depth=1
	s_or_b32 exec_lo, exec_lo, s5
	v_cmp_gt_u32_e32 vcc_lo, s3, v13
	v_lshrrev_b64 v[44:45], 24, v[8:9]
	v_dual_lshrrev_b32 v50, 24, v9 :: v_dual_lshrrev_b32 v47, 8, v8
	v_dual_cndmask_b32 v45, 0, v9 :: v_dual_lshrrev_b32 v48, 16, v8
	v_cmp_gt_u32_e32 vcc_lo, s3, v10
	v_dual_lshrrev_b32 v49, 8, v9 :: v_dual_lshrrev_b32 v51, 16, v9
	v_lshrrev_b32_e32 v59, 16, v5
	s_delay_alu instid0(VALU_DEP_4)
	v_sub_nc_u16 v45, v44, v45
	v_cndmask_b32_e32 v46, 0, v47, vcc_lo
	v_cmp_gt_u32_e32 vcc_lo, s3, v11
	s_add_co_i32 s2, s2, -1
	s_barrier_signal -1
	s_barrier_wait -1
	v_cndmask_b32_e32 v52, 0, v48, vcc_lo
	v_cmp_gt_u32_e32 vcc_lo, s3, v14
	v_sub_nc_u16 v46, v8, v46
	v_lshrrev_b32_e32 v72, 8, v2
	s_delay_alu instid0(VALU_DEP_4) | instskip(SKIP_3) | instid1(VALU_DEP_4)
	v_sub_nc_u16 v52, v47, v52
	v_cndmask_b32_e32 v53, 0, v49, vcc_lo
	v_cmp_gt_u32_e32 vcc_lo, s3, v12
	v_add_nc_u16 v46, v46, v8
	v_add_nc_u16 v47, v52, v47
	v_cndmask_b32_e32 v54, 0, v44, vcc_lo
	v_cmp_gt_u32_e32 vcc_lo, s3, v15
	v_sub_nc_u16 v53, v9, v53
	v_add_nc_u16 v44, v45, v44
	v_cndmask_b32_e32 v55, 0, v51, vcc_lo
	v_cmp_gt_u32_e32 vcc_lo, s3, v17
	s_delay_alu instid0(VALU_DEP_4)
	v_add_nc_u16 v45, v53, v9
	v_sub_nc_u16 v53, v48, v54
	v_cndmask_b32_e32 v8, 0, v4, vcc_lo
	v_cmp_gt_u32_e32 vcc_lo, s3, v16
	v_sub_nc_u16 v54, v49, v55
	v_lshrrev_b32_e32 v55, 8, v5
	v_add_nc_u16 v48, v53, v48
	v_sub_nc_u16 v8, v50, v8
	v_cndmask_b32_e32 v9, 0, v50, vcc_lo
	v_add_nc_u16 v49, v54, v49
	v_lshrrev_b32_e32 v56, 8, v4
	v_cmp_gt_u32_e32 vcc_lo, s3, v18
	v_add_nc_u16 v50, v8, v50
	v_sub_nc_u16 v9, v51, v9
	v_lshlrev_b16 v52, 8, v49
	v_lshlrev_b16 v8, 8, v47
	s_delay_alu instid0(VALU_DEP_4) | instskip(NEXT) | instid1(VALU_DEP_4)
	v_lshlrev_b16 v53, 8, v50
	v_add_nc_u16 v51, v9, v51
	v_lshlrev_b16 v9, 8, v44
	v_bitop3_b16 v52, v45, v52, 0xff bitop3:0xec
	v_bitop3_b16 v8, v46, v8, 0xff bitop3:0xec
	s_delay_alu instid0(VALU_DEP_4) | instskip(NEXT) | instid1(VALU_DEP_4)
	v_bitop3_b16 v53, v51, v53, 0xff bitop3:0xec
	v_bitop3_b16 v9, v48, v9, 0xff bitop3:0xec
	v_cndmask_b32_e32 v54, 0, v56, vcc_lo
	v_cmp_gt_u32_e32 vcc_lo, s3, v22
	v_and_b32_e32 v62, 0xffff, v52
	v_and_b32_e32 v60, 0xffff, v8
	v_lshlrev_b32_e32 v61, 16, v9
	v_sub_nc_u16 v52, v4, v54
	v_cndmask_b32_e32 v57, 0, v55, vcc_lo
	v_cmp_gt_u32_e32 vcc_lo, s3, v21
	v_lshrrev_b64 v[8:9], 24, v[4:5]
	s_delay_alu instid0(VALU_DEP_3)
	v_sub_nc_u16 v54, v5, v57
	v_cndmask_b32_e32 v9, 0, v5, vcc_lo
	v_cmp_gt_u32_e32 vcc_lo, s3, v19
	v_lshlrev_b32_e32 v63, 16, v53
	v_add_nc_u16 v53, v52, v4
	v_lshrrev_b32_e32 v4, 16, v4
	v_sub_nc_u16 v9, v8, v9
	v_add_nc_u16 v52, v54, v5
	s_delay_alu instid0(VALU_DEP_3) | instskip(SKIP_1) | instid1(VALU_DEP_4)
	v_dual_lshrrev_b32 v5, 24, v5 :: v_dual_cndmask_b32 v57, 0, v4, vcc_lo
	v_cmp_gt_u32_e32 vcc_lo, s3, v20
	v_add_nc_u16 v54, v9, v8
	s_delay_alu instid0(VALU_DEP_3) | instskip(SKIP_4) | instid1(VALU_DEP_4)
	v_sub_nc_u16 v9, v56, v57
	v_cndmask_b32_e32 v8, 0, v8, vcc_lo
	v_cmp_gt_u32_e32 vcc_lo, s3, v23
	v_cndmask_b32_e32 v57, 0, v59, vcc_lo
	v_cmp_gt_u32_e32 vcc_lo, s3, v25
	v_sub_nc_u16 v8, v4, v8
	s_delay_alu instid0(VALU_DEP_3) | instskip(SKIP_3) | instid1(VALU_DEP_4)
	v_sub_nc_u16 v65, v55, v57
	v_cndmask_b32_e32 v58, 0, v6, vcc_lo
	v_cmp_gt_u32_e32 vcc_lo, s3, v24
	v_add_nc_u16 v57, v9, v56
	v_add_nc_u16 v56, v65, v55
	v_cndmask_b32_e32 v64, 0, v5, vcc_lo
	v_sub_nc_u16 v66, v5, v58
	v_add_nc_u16 v58, v8, v4
	v_lshlrev_b16 v8, 8, v54
	v_cmp_gt_u32_e32 vcc_lo, s3, v26
	v_sub_nc_u16 v4, v59, v64
	v_add_nc_u16 v55, v66, v5
	v_lshlrev_b16 v5, 8, v57
	v_bitop3_b16 v64, v58, v8, 0xff bitop3:0xec
	v_or_b32_e32 v8, v60, v61
	v_add_nc_u16 v59, v4, v59
	v_lshlrev_b16 v9, 8, v55
	v_lshlrev_b16 v4, 8, v56
	v_dual_lshlrev_b32 v60, 16, v64 :: v_dual_lshrrev_b32 v64, 8, v6
	v_lshrrev_b32_e32 v66, 8, v7
	s_delay_alu instid0(VALU_DEP_4)
	v_bitop3_b16 v9, v59, v9, 0xff bitop3:0xec
	v_bitop3_b16 v5, v53, v5, 0xff bitop3:0xec
	;; [unrolled: 1-line block ×3, first 2 shown]
	v_cndmask_b32_e32 v67, 0, v64, vcc_lo
	v_cmp_gt_u32_e32 vcc_lo, s3, v30
	v_lshlrev_b32_e32 v65, 16, v9
	v_and_b32_e32 v5, 0xffff, v5
	v_and_b32_e32 v61, 0xffff, v4
	v_dual_cndmask_b32 v68, 0, v66, vcc_lo :: v_dual_bitop2_b32 v9, v62, v63 bitop3:0x54
	v_cmp_gt_u32_e32 vcc_lo, s3, v29
	v_lshrrev_b64 v[62:63], 24, v[6:7]
	v_or_b32_e32 v4, v5, v60
	v_or_b32_e32 v5, v61, v65
	v_sub_nc_u16 v60, v6, v67
	v_sub_nc_u16 v65, v7, v68
	v_cndmask_b32_e32 v63, 0, v7, vcc_lo
	v_cmp_gt_u32_e32 vcc_lo, s3, v28
	v_lshrrev_b32_e32 v67, 16, v7
	v_add_nc_u16 v61, v60, v6
	v_add_nc_u16 v60, v65, v7
	v_lshrrev_b32_e32 v6, 16, v6
	v_dual_cndmask_b32 v65, 0, v62, vcc_lo :: v_dual_lshrrev_b32 v7, 24, v7
	v_cmp_gt_u32_e32 vcc_lo, s3, v27
	v_sub_nc_u16 v63, v62, v63
	s_delay_alu instid0(VALU_DEP_4) | instskip(SKIP_1) | instid1(VALU_DEP_3)
	v_cndmask_b32_e32 v68, 0, v6, vcc_lo
	v_cmp_gt_u32_e32 vcc_lo, s3, v31
	v_add_nc_u16 v62, v63, v62
	s_delay_alu instid0(VALU_DEP_3) | instskip(SKIP_3) | instid1(VALU_DEP_4)
	v_sub_nc_u16 v63, v64, v68
	v_cndmask_b32_e32 v69, 0, v67, vcc_lo
	v_cmp_gt_u32_e32 vcc_lo, s3, v32
	v_sub_nc_u16 v65, v6, v65
	v_add_nc_u16 v64, v63, v64
	s_delay_alu instid0(VALU_DEP_4) | instskip(SKIP_3) | instid1(VALU_DEP_4)
	v_sub_nc_u16 v68, v66, v69
	v_cndmask_b32_e32 v69, 0, v7, vcc_lo
	v_cmp_gt_u32_e32 vcc_lo, s3, v33
	v_add_nc_u16 v65, v65, v6
	v_add_nc_u16 v63, v68, v66
	s_delay_alu instid0(VALU_DEP_4)
	v_sub_nc_u16 v6, v67, v69
	v_cndmask_b32_e32 v70, 0, v2, vcc_lo
	v_cmp_gt_u32_e32 vcc_lo, s3, v34
	v_lshlrev_b16 v69, 8, v64
	v_lshrrev_b32_e32 v75, 8, v3
	v_add_nc_u16 v66, v6, v67
	v_sub_nc_u16 v68, v7, v70
	v_lshlrev_b16 v70, 8, v62
	v_lshlrev_b16 v6, 8, v63
	s_delay_alu instid0(VALU_DEP_3) | instskip(NEXT) | instid1(VALU_DEP_3)
	v_add_nc_u16 v67, v68, v7
	v_bitop3_b16 v71, v65, v70, 0xff bitop3:0xec
	v_cndmask_b32_e32 v70, 0, v72, vcc_lo
	v_cmp_gt_u32_e32 vcc_lo, s3, v38
	v_bitop3_b16 v68, v61, v69, 0xff bitop3:0xec
	v_lshlrev_b16 v69, 8, v67
	v_bitop3_b16 v74, v60, v6, 0xff bitop3:0xec
	v_sub_nc_u16 v70, v2, v70
	v_cndmask_b32_e32 v73, 0, v75, vcc_lo
	v_cmp_gt_u32_e32 vcc_lo, s3, v37
	v_lshrrev_b64 v[6:7], 24, v[2:3]
	v_bitop3_b16 v76, v66, v69, 0xff bitop3:0xec
	v_add_nc_u16 v69, v70, v2
	v_dual_cndmask_b32 v7, 0, v3 :: v_dual_lshrrev_b32 v2, 16, v2
	v_sub_nc_u16 v73, v3, v73
	v_and_b32_e32 v77, 0xffff, v68
	v_cmp_gt_u32_e32 vcc_lo, s3, v36
	v_lshlrev_b32_e32 v80, 16, v71
	v_and_b32_e32 v74, 0xffff, v74
	v_add_nc_u16 v68, v73, v3
	v_lshrrev_b32_e32 v3, 16, v3
	v_sub_nc_u16 v7, v6, v7
	s_delay_alu instid0(VALU_DEP_1) | instskip(SKIP_4) | instid1(VALU_DEP_2)
	v_add_nc_u16 v70, v7, v6
	v_cndmask_b32_e32 v6, 0, v6, vcc_lo
	v_cmp_gt_u32_e32 vcc_lo, s3, v35
	v_cndmask_b32_e32 v7, 0, v2, vcc_lo
	v_cmp_gt_u32_e32 vcc_lo, s3, v39
	v_sub_nc_u16 v7, v72, v7
	v_cndmask_b32_e32 v73, 0, v3, vcc_lo
	v_cmp_gt_u32_e32 vcc_lo, s3, v40
	v_sub_nc_u16 v6, v2, v6
	s_add_co_i32 s3, s4, s3
	v_add_nc_u16 v72, v7, v72
	v_sub_nc_u16 v79, v75, v73
	v_cndmask_b32_e32 v78, 0, v42, vcc_lo
	v_add_nc_u16 v42, v43, v42
	v_add_nc_u16 v73, v6, v2
	v_lshlrev_b16 v2, 8, v72
	v_add_nc_u16 v71, v79, v75
	v_lshlrev_b32_e32 v75, 16, v76
	v_sub_nc_u16 v78, v3, v78
	v_lshlrev_b16 v7, 8, v42
	v_bitop3_b16 v2, v69, v2, 0xff bitop3:0xec
	v_lshlrev_b16 v6, 8, v71
	s_and_b32 s3, s3, 0x1fff
	v_add_nc_u16 v43, v78, v3
	v_lshlrev_b16 v3, 8, v70
	v_and_b32_e32 v2, 0xffff, v2
	v_bitop3_b16 v6, v68, v6, 0xff bitop3:0xec
	s_cmp_lg_u32 s2, 0
	v_bitop3_b16 v7, v43, v7, 0xff bitop3:0xec
	v_bitop3_b16 v3, v73, v3, 0xff bitop3:0xec
	s_delay_alu instid0(VALU_DEP_3) | instskip(NEXT) | instid1(VALU_DEP_3)
	v_and_b32_e32 v76, 0xffff, v6
	v_dual_lshlrev_b32 v78, 16, v7 :: v_dual_bitop2_b32 v6, v77, v80 bitop3:0x54
	s_delay_alu instid0(VALU_DEP_3) | instskip(SKIP_1) | instid1(VALU_DEP_2)
	v_lshlrev_b32_e32 v3, 16, v3
	v_or_b32_e32 v7, v74, v75
	v_or_b32_e32 v2, v2, v3
	s_delay_alu instid0(VALU_DEP_4)
	v_or_b32_e32 v3, v76, v78
	s_cbranch_scc0 .LBB197_4
.LBB197_2:                              ; =>This Inner Loop Header: Depth=1
	s_delay_alu instid0(VALU_DEP_1)
	v_lshrrev_b32_e32 v42, 24, v3
	s_mov_b32 s5, exec_lo
	ds_store_b8 v0, v8 offset:256
	s_wait_dscnt 0x0
	s_barrier_signal -1
	v_mov_b32_e32 v43, v42
	s_barrier_wait -1
	s_wait_kmcnt 0x0
	v_cmpx_gt_u32_e64 s3, v41
	s_cbranch_execz .LBB197_1
; %bb.3:                                ;   in Loop: Header=BB197_2 Depth=1
	ds_load_u8 v43, v0 offset:257
	s_wait_dscnt 0x0
	v_sub_nc_u16 v43, v42, v43
	s_branch .LBB197_1
.LBB197_4:
	s_add_nc_u64 s[0:1], s[0:1], s[8:9]
	s_delay_alu instid0(SALU_CYCLE_1)
	v_add_nc_u64_e32 v[0:1], s[0:1], v[0:1]
	s_clause 0x1f
	global_store_b8 v[0:1], v46, off
	global_store_b8 v[0:1], v47, off offset:256
	global_store_b8 v[0:1], v48, off offset:512
	;; [unrolled: 1-line block ×31, first 2 shown]
	s_sendmsg sendmsg(MSG_DEALLOC_VGPRS)
	s_endpgm
	.section	.rodata,"a",@progbits
	.p2align	6, 0x0
	.amdhsa_kernel _Z6kernelI27subtract_right_partial_tileLj256ELj32ELb0EJPaPiS1_jEEvDpT3_
		.amdhsa_group_segment_fixed_size 512
		.amdhsa_private_segment_fixed_size 0
		.amdhsa_kernarg_size 28
		.amdhsa_user_sgpr_count 2
		.amdhsa_user_sgpr_dispatch_ptr 0
		.amdhsa_user_sgpr_queue_ptr 0
		.amdhsa_user_sgpr_kernarg_segment_ptr 1
		.amdhsa_user_sgpr_dispatch_id 0
		.amdhsa_user_sgpr_kernarg_preload_length 0
		.amdhsa_user_sgpr_kernarg_preload_offset 0
		.amdhsa_user_sgpr_private_segment_size 0
		.amdhsa_wavefront_size32 1
		.amdhsa_uses_dynamic_stack 0
		.amdhsa_enable_private_segment 0
		.amdhsa_system_sgpr_workgroup_id_x 1
		.amdhsa_system_sgpr_workgroup_id_y 0
		.amdhsa_system_sgpr_workgroup_id_z 0
		.amdhsa_system_sgpr_workgroup_info 0
		.amdhsa_system_vgpr_workitem_id 0
		.amdhsa_next_free_vgpr 81
		.amdhsa_next_free_sgpr 12
		.amdhsa_named_barrier_count 0
		.amdhsa_reserve_vcc 1
		.amdhsa_float_round_mode_32 0
		.amdhsa_float_round_mode_16_64 0
		.amdhsa_float_denorm_mode_32 3
		.amdhsa_float_denorm_mode_16_64 3
		.amdhsa_fp16_overflow 0
		.amdhsa_memory_ordered 1
		.amdhsa_forward_progress 1
		.amdhsa_inst_pref_size 24
		.amdhsa_round_robin_scheduling 0
		.amdhsa_exception_fp_ieee_invalid_op 0
		.amdhsa_exception_fp_denorm_src 0
		.amdhsa_exception_fp_ieee_div_zero 0
		.amdhsa_exception_fp_ieee_overflow 0
		.amdhsa_exception_fp_ieee_underflow 0
		.amdhsa_exception_fp_ieee_inexact 0
		.amdhsa_exception_int_div_zero 0
	.end_amdhsa_kernel
	.section	.text._Z6kernelI27subtract_right_partial_tileLj256ELj32ELb0EJPaPiS1_jEEvDpT3_,"axG",@progbits,_Z6kernelI27subtract_right_partial_tileLj256ELj32ELb0EJPaPiS1_jEEvDpT3_,comdat
.Lfunc_end197:
	.size	_Z6kernelI27subtract_right_partial_tileLj256ELj32ELb0EJPaPiS1_jEEvDpT3_, .Lfunc_end197-_Z6kernelI27subtract_right_partial_tileLj256ELj32ELb0EJPaPiS1_jEEvDpT3_
                                        ; -- End function
	.set _Z6kernelI27subtract_right_partial_tileLj256ELj32ELb0EJPaPiS1_jEEvDpT3_.num_vgpr, 81
	.set _Z6kernelI27subtract_right_partial_tileLj256ELj32ELb0EJPaPiS1_jEEvDpT3_.num_agpr, 0
	.set _Z6kernelI27subtract_right_partial_tileLj256ELj32ELb0EJPaPiS1_jEEvDpT3_.numbered_sgpr, 12
	.set _Z6kernelI27subtract_right_partial_tileLj256ELj32ELb0EJPaPiS1_jEEvDpT3_.num_named_barrier, 0
	.set _Z6kernelI27subtract_right_partial_tileLj256ELj32ELb0EJPaPiS1_jEEvDpT3_.private_seg_size, 0
	.set _Z6kernelI27subtract_right_partial_tileLj256ELj32ELb0EJPaPiS1_jEEvDpT3_.uses_vcc, 1
	.set _Z6kernelI27subtract_right_partial_tileLj256ELj32ELb0EJPaPiS1_jEEvDpT3_.uses_flat_scratch, 0
	.set _Z6kernelI27subtract_right_partial_tileLj256ELj32ELb0EJPaPiS1_jEEvDpT3_.has_dyn_sized_stack, 0
	.set _Z6kernelI27subtract_right_partial_tileLj256ELj32ELb0EJPaPiS1_jEEvDpT3_.has_recursion, 0
	.set _Z6kernelI27subtract_right_partial_tileLj256ELj32ELb0EJPaPiS1_jEEvDpT3_.has_indirect_call, 0
	.section	.AMDGPU.csdata,"",@progbits
; Kernel info:
; codeLenInByte = 2976
; TotalNumSgprs: 14
; NumVgprs: 81
; ScratchSize: 0
; MemoryBound: 0
; FloatMode: 240
; IeeeMode: 1
; LDSByteSize: 512 bytes/workgroup (compile time only)
; SGPRBlocks: 0
; VGPRBlocks: 5
; NumSGPRsForWavesPerEU: 14
; NumVGPRsForWavesPerEU: 81
; NamedBarCnt: 0
; Occupancy: 10
; WaveLimiterHint : 1
; COMPUTE_PGM_RSRC2:SCRATCH_EN: 0
; COMPUTE_PGM_RSRC2:USER_SGPR: 2
; COMPUTE_PGM_RSRC2:TRAP_HANDLER: 0
; COMPUTE_PGM_RSRC2:TGID_X_EN: 1
; COMPUTE_PGM_RSRC2:TGID_Y_EN: 0
; COMPUTE_PGM_RSRC2:TGID_Z_EN: 0
; COMPUTE_PGM_RSRC2:TIDIG_COMP_CNT: 0
	.section	.text._Z6kernelI27subtract_right_partial_tileLj256ELj1ELb0EJPxPiS1_jEEvDpT3_,"axG",@progbits,_Z6kernelI27subtract_right_partial_tileLj256ELj1ELb0EJPxPiS1_jEEvDpT3_,comdat
	.protected	_Z6kernelI27subtract_right_partial_tileLj256ELj1ELb0EJPxPiS1_jEEvDpT3_ ; -- Begin function _Z6kernelI27subtract_right_partial_tileLj256ELj1ELb0EJPxPiS1_jEEvDpT3_
	.globl	_Z6kernelI27subtract_right_partial_tileLj256ELj1ELb0EJPxPiS1_jEEvDpT3_
	.p2align	8
	.type	_Z6kernelI27subtract_right_partial_tileLj256ELj1ELb0EJPxPiS1_jEEvDpT3_,@function
_Z6kernelI27subtract_right_partial_tileLj256ELj1ELb0EJPxPiS1_jEEvDpT3_: ; @_Z6kernelI27subtract_right_partial_tileLj256ELj1ELb0EJPxPiS1_jEEvDpT3_
; %bb.0:
	s_load_b128 s[8:11], s[0:1], 0x0
	s_bfe_u32 s2, ttmp6, 0x4000c
	s_and_b32 s3, ttmp6, 15
	s_add_co_i32 s2, s2, 1
	s_getreg_b32 s4, hwreg(HW_REG_IB_STS2, 6, 4)
	s_mul_i32 s2, ttmp9, s2
	v_add_nc_u32_e32 v6, 1, v0
	s_add_co_i32 s3, s3, s2
	s_cmp_eq_u32 s4, 0
	s_cselect_b32 s12, ttmp9, s3
	s_mov_b32 s3, 0
	s_lshl_b32 s2, s12, 8
	s_delay_alu instid0(SALU_CYCLE_1)
	s_lshl_b64 s[4:5], s[2:3], 3
	s_wait_xcnt 0x0
	s_load_b96 s[0:2], s[0:1], 0x10
	s_wait_kmcnt 0x0
	s_add_nc_u64 s[6:7], s[8:9], s[4:5]
	global_load_b64 v[2:3], v0, s[6:7] scale_offset
	s_cvt_f32_u32 s3, s2
	s_wait_xcnt 0x0
	s_sub_co_i32 s6, 0, s2
	s_delay_alu instid0(SALU_CYCLE_1) | instskip(SKIP_1) | instid1(TRANS32_DEP_1)
	v_rcp_iflag_f32_e32 v1, s3
	v_nop
	v_readfirstlane_b32 s3, v1
	v_lshlrev_b32_e32 v1, 3, v0
	s_mul_f32 s3, s3, 0x4f7ffffe
	s_delay_alu instid0(SALU_CYCLE_3) | instskip(NEXT) | instid1(SALU_CYCLE_3)
	s_cvt_u32_f32 s3, s3
	s_mul_i32 s6, s6, s3
	s_delay_alu instid0(SALU_CYCLE_1) | instskip(NEXT) | instid1(SALU_CYCLE_1)
	s_mul_hi_u32 s6, s3, s6
	s_add_co_i32 s6, s3, s6
	s_load_b32 s3, s[10:11], s12 offset:0x0 scale_offset
	s_lshr_b32 s6, s6, 24
	s_delay_alu instid0(SALU_CYCLE_1) | instskip(SKIP_2) | instid1(SALU_CYCLE_1)
	s_mul_i32 s7, s6, s2
	s_add_co_i32 s8, s6, 1
	s_sub_co_i32 s7, 0x100, s7
	s_sub_co_i32 s9, s7, s2
	s_cmp_ge_u32 s7, s2
	s_cselect_b32 s6, s8, s6
	s_cselect_b32 s7, s9, s7
	s_add_co_i32 s8, s6, 1
	s_cmp_ge_u32 s7, s2
	s_cselect_b32 s6, s8, s6
	s_delay_alu instid0(SALU_CYCLE_1)
	s_add_co_i32 s6, s6, 1
	s_branch .LBB198_2
.LBB198_1:                              ;   in Loop: Header=BB198_2 Depth=1
	s_or_b32 exec_lo, exec_lo, s7
	s_delay_alu instid0(VALU_DEP_1)
	v_add_nc_u64_e32 v[2:3], v[4:5], v[2:3]
	s_add_co_i32 s3, s6, s3
	s_add_co_i32 s2, s2, -1
	s_and_b32 s3, s3, 0xff
	s_cmp_lg_u32 s2, 0
	s_barrier_signal -1
	s_barrier_wait -1
	s_cbranch_scc0 .LBB198_4
.LBB198_2:                              ; =>This Inner Loop Header: Depth=1
	s_wait_loadcnt 0x0
	v_mov_b64_e32 v[4:5], v[2:3]
	s_mov_b32 s7, exec_lo
	ds_store_b64 v1, v[2:3] offset:2048
	s_wait_dscnt 0x0
	s_barrier_signal -1
	s_barrier_wait -1
	s_wait_kmcnt 0x0
	v_cmpx_gt_u32_e64 s3, v6
	s_cbranch_execz .LBB198_1
; %bb.3:                                ;   in Loop: Header=BB198_2 Depth=1
	ds_load_b64 v[4:5], v1 offset:2056
	s_wait_dscnt 0x0
	v_sub_nc_u64_e32 v[4:5], v[2:3], v[4:5]
	s_branch .LBB198_1
.LBB198_4:
	s_add_nc_u64 s[0:1], s[0:1], s[4:5]
	global_store_b64 v0, v[2:3], s[0:1] scale_offset
	s_endpgm
	.section	.rodata,"a",@progbits
	.p2align	6, 0x0
	.amdhsa_kernel _Z6kernelI27subtract_right_partial_tileLj256ELj1ELb0EJPxPiS1_jEEvDpT3_
		.amdhsa_group_segment_fixed_size 4096
		.amdhsa_private_segment_fixed_size 0
		.amdhsa_kernarg_size 28
		.amdhsa_user_sgpr_count 2
		.amdhsa_user_sgpr_dispatch_ptr 0
		.amdhsa_user_sgpr_queue_ptr 0
		.amdhsa_user_sgpr_kernarg_segment_ptr 1
		.amdhsa_user_sgpr_dispatch_id 0
		.amdhsa_user_sgpr_kernarg_preload_length 0
		.amdhsa_user_sgpr_kernarg_preload_offset 0
		.amdhsa_user_sgpr_private_segment_size 0
		.amdhsa_wavefront_size32 1
		.amdhsa_uses_dynamic_stack 0
		.amdhsa_enable_private_segment 0
		.amdhsa_system_sgpr_workgroup_id_x 1
		.amdhsa_system_sgpr_workgroup_id_y 0
		.amdhsa_system_sgpr_workgroup_id_z 0
		.amdhsa_system_sgpr_workgroup_info 0
		.amdhsa_system_vgpr_workitem_id 0
		.amdhsa_next_free_vgpr 7
		.amdhsa_next_free_sgpr 13
		.amdhsa_named_barrier_count 0
		.amdhsa_reserve_vcc 0
		.amdhsa_float_round_mode_32 0
		.amdhsa_float_round_mode_16_64 0
		.amdhsa_float_denorm_mode_32 3
		.amdhsa_float_denorm_mode_16_64 3
		.amdhsa_fp16_overflow 0
		.amdhsa_memory_ordered 1
		.amdhsa_forward_progress 1
		.amdhsa_inst_pref_size 3
		.amdhsa_round_robin_scheduling 0
		.amdhsa_exception_fp_ieee_invalid_op 0
		.amdhsa_exception_fp_denorm_src 0
		.amdhsa_exception_fp_ieee_div_zero 0
		.amdhsa_exception_fp_ieee_overflow 0
		.amdhsa_exception_fp_ieee_underflow 0
		.amdhsa_exception_fp_ieee_inexact 0
		.amdhsa_exception_int_div_zero 0
	.end_amdhsa_kernel
	.section	.text._Z6kernelI27subtract_right_partial_tileLj256ELj1ELb0EJPxPiS1_jEEvDpT3_,"axG",@progbits,_Z6kernelI27subtract_right_partial_tileLj256ELj1ELb0EJPxPiS1_jEEvDpT3_,comdat
.Lfunc_end198:
	.size	_Z6kernelI27subtract_right_partial_tileLj256ELj1ELb0EJPxPiS1_jEEvDpT3_, .Lfunc_end198-_Z6kernelI27subtract_right_partial_tileLj256ELj1ELb0EJPxPiS1_jEEvDpT3_
                                        ; -- End function
	.set _Z6kernelI27subtract_right_partial_tileLj256ELj1ELb0EJPxPiS1_jEEvDpT3_.num_vgpr, 7
	.set _Z6kernelI27subtract_right_partial_tileLj256ELj1ELb0EJPxPiS1_jEEvDpT3_.num_agpr, 0
	.set _Z6kernelI27subtract_right_partial_tileLj256ELj1ELb0EJPxPiS1_jEEvDpT3_.numbered_sgpr, 13
	.set _Z6kernelI27subtract_right_partial_tileLj256ELj1ELb0EJPxPiS1_jEEvDpT3_.num_named_barrier, 0
	.set _Z6kernelI27subtract_right_partial_tileLj256ELj1ELb0EJPxPiS1_jEEvDpT3_.private_seg_size, 0
	.set _Z6kernelI27subtract_right_partial_tileLj256ELj1ELb0EJPxPiS1_jEEvDpT3_.uses_vcc, 0
	.set _Z6kernelI27subtract_right_partial_tileLj256ELj1ELb0EJPxPiS1_jEEvDpT3_.uses_flat_scratch, 0
	.set _Z6kernelI27subtract_right_partial_tileLj256ELj1ELb0EJPxPiS1_jEEvDpT3_.has_dyn_sized_stack, 0
	.set _Z6kernelI27subtract_right_partial_tileLj256ELj1ELb0EJPxPiS1_jEEvDpT3_.has_recursion, 0
	.set _Z6kernelI27subtract_right_partial_tileLj256ELj1ELb0EJPxPiS1_jEEvDpT3_.has_indirect_call, 0
	.section	.AMDGPU.csdata,"",@progbits
; Kernel info:
; codeLenInByte = 364
; TotalNumSgprs: 13
; NumVgprs: 7
; ScratchSize: 0
; MemoryBound: 0
; FloatMode: 240
; IeeeMode: 1
; LDSByteSize: 4096 bytes/workgroup (compile time only)
; SGPRBlocks: 0
; VGPRBlocks: 0
; NumSGPRsForWavesPerEU: 13
; NumVGPRsForWavesPerEU: 7
; NamedBarCnt: 0
; Occupancy: 16
; WaveLimiterHint : 0
; COMPUTE_PGM_RSRC2:SCRATCH_EN: 0
; COMPUTE_PGM_RSRC2:USER_SGPR: 2
; COMPUTE_PGM_RSRC2:TRAP_HANDLER: 0
; COMPUTE_PGM_RSRC2:TGID_X_EN: 1
; COMPUTE_PGM_RSRC2:TGID_Y_EN: 0
; COMPUTE_PGM_RSRC2:TGID_Z_EN: 0
; COMPUTE_PGM_RSRC2:TIDIG_COMP_CNT: 0
	.section	.text._Z6kernelI27subtract_right_partial_tileLj256ELj3ELb0EJPxPiS1_jEEvDpT3_,"axG",@progbits,_Z6kernelI27subtract_right_partial_tileLj256ELj3ELb0EJPxPiS1_jEEvDpT3_,comdat
	.protected	_Z6kernelI27subtract_right_partial_tileLj256ELj3ELb0EJPxPiS1_jEEvDpT3_ ; -- Begin function _Z6kernelI27subtract_right_partial_tileLj256ELj3ELb0EJPxPiS1_jEEvDpT3_
	.globl	_Z6kernelI27subtract_right_partial_tileLj256ELj3ELb0EJPxPiS1_jEEvDpT3_
	.p2align	8
	.type	_Z6kernelI27subtract_right_partial_tileLj256ELj3ELb0EJPxPiS1_jEEvDpT3_,@function
_Z6kernelI27subtract_right_partial_tileLj256ELj3ELb0EJPxPiS1_jEEvDpT3_: ; @_Z6kernelI27subtract_right_partial_tileLj256ELj3ELb0EJPxPiS1_jEEvDpT3_
; %bb.0:
	s_load_b128 s[8:11], s[0:1], 0x0
	s_bfe_u32 s2, ttmp6, 0x4000c
	s_and_b32 s3, ttmp6, 15
	s_add_co_i32 s2, s2, 1
	s_getreg_b32 s4, hwreg(HW_REG_IB_STS2, 6, 4)
	s_mul_i32 s2, ttmp9, s2
	v_mad_u32_u24 v10, v0, 3, 1
	s_add_co_i32 s3, s3, s2
	s_cmp_eq_u32 s4, 0
	v_mad_u32_u24 v11, v0, 3, 2
	s_cselect_b32 s12, ttmp9, s3
	s_mov_b32 s3, 0
	s_mul_i32 s2, s12, 0x300
	v_mad_u32_u24 v12, v0, 3, 3
	s_lshl_b64 s[4:5], s[2:3], 3
	s_wait_xcnt 0x0
	s_load_b96 s[0:2], s[0:1], 0x10
	s_wait_kmcnt 0x0
	s_add_nc_u64 s[6:7], s[8:9], s[4:5]
	s_clause 0x2
	global_load_b64 v[2:3], v0, s[6:7] scale_offset
	global_load_b64 v[4:5], v0, s[6:7] offset:2048 scale_offset
	global_load_b64 v[6:7], v0, s[6:7] offset:4096 scale_offset
	s_cvt_f32_u32 s3, s2
	s_wait_xcnt 0x0
	s_sub_co_i32 s6, 0, s2
	s_delay_alu instid0(SALU_CYCLE_1) | instskip(SKIP_1) | instid1(TRANS32_DEP_1)
	v_rcp_iflag_f32_e32 v1, s3
	v_nop
	v_readfirstlane_b32 s3, v1
	v_lshlrev_b32_e32 v1, 3, v0
	s_mul_f32 s3, s3, 0x4f7ffffe
	s_delay_alu instid0(SALU_CYCLE_3) | instskip(NEXT) | instid1(SALU_CYCLE_3)
	s_cvt_u32_f32 s3, s3
	s_mul_i32 s6, s6, s3
	s_delay_alu instid0(SALU_CYCLE_1) | instskip(NEXT) | instid1(SALU_CYCLE_1)
	s_mul_hi_u32 s6, s3, s6
	s_add_co_i32 s3, s3, s6
	s_delay_alu instid0(SALU_CYCLE_1)
	s_mul_hi_u32 s7, s3, 0x300
	s_load_b32 s3, s[10:11], s12 offset:0x0 scale_offset
	s_mul_i32 s6, s7, s2
	s_add_co_i32 s9, s7, 1
	s_sub_co_i32 s8, 0x300, s6
	s_mov_b32 s6, s0
	s_wait_xcnt 0x0
	s_sub_co_i32 s10, s8, s2
	s_cmp_ge_u32 s8, s2
	s_cselect_b32 s0, s9, s7
	s_cselect_b32 s7, s10, s8
	s_add_co_i32 s8, s0, 1
	s_cmp_ge_u32 s7, s2
	s_mov_b32 s7, s1
	s_cselect_b32 s0, s8, s0
	s_delay_alu instid0(SALU_CYCLE_1)
	s_add_co_i32 s1, s0, 1
	s_branch .LBB199_2
.LBB199_1:                              ;   in Loop: Header=BB199_2 Depth=1
	s_or_b32 exec_lo, exec_lo, s0
	v_cmp_gt_u32_e32 vcc_lo, s3, v10
	v_cmp_gt_u32_e64 s0, s3, v11
	s_add_co_i32 s2, s2, -1
	s_barrier_signal -1
	v_dual_cndmask_b32 v15, 0, v5, vcc_lo :: v_dual_cndmask_b32 v17, 0, v7, s0
	v_dual_cndmask_b32 v14, 0, v4, vcc_lo :: v_dual_cndmask_b32 v16, 0, v6, s0
	s_add_co_i32 s0, s1, s3
	v_add_nc_u64_e32 v[6:7], v[8:9], v[6:7]
	s_mul_hi_u32 s3, s0, 0xaaaaaaab
	s_delay_alu instid0(VALU_DEP_2) | instskip(SKIP_4) | instid1(SALU_CYCLE_1)
	v_sub_nc_u64_e32 v[14:15], v[2:3], v[14:15]
	v_sub_nc_u64_e32 v[16:17], v[4:5], v[16:17]
	s_lshr_b32 s3, s3, 9
	s_barrier_wait -1
	s_mulk_i32 s3, 0x300
	s_sub_co_i32 s3, s0, s3
	s_delay_alu instid0(VALU_DEP_2) | instskip(NEXT) | instid1(VALU_DEP_2)
	v_add_nc_u64_e32 v[2:3], v[14:15], v[2:3]
	v_add_nc_u64_e32 v[4:5], v[16:17], v[4:5]
	s_cmp_lg_u32 s2, 0
	s_cbranch_scc0 .LBB199_4
.LBB199_2:                              ; =>This Inner Loop Header: Depth=1
	s_wait_loadcnt 0x0
	v_mov_b64_e32 v[8:9], v[6:7]
	s_mov_b32 s0, exec_lo
	ds_store_b64 v1, v[2:3] offset:2048
	s_wait_dscnt 0x0
	s_barrier_signal -1
	s_barrier_wait -1
	s_wait_kmcnt 0x0
	v_cmpx_gt_u32_e64 s3, v12
	s_cbranch_execz .LBB199_1
; %bb.3:                                ;   in Loop: Header=BB199_2 Depth=1
	ds_load_b64 v[8:9], v1 offset:2056
	s_wait_dscnt 0x0
	v_sub_nc_u64_e32 v[8:9], v[6:7], v[8:9]
	s_branch .LBB199_1
.LBB199_4:
	s_add_nc_u64 s[0:1], s[6:7], s[4:5]
	s_clause 0x2
	global_store_b64 v0, v[2:3], s[0:1] scale_offset
	global_store_b64 v0, v[4:5], s[0:1] offset:2048 scale_offset
	global_store_b64 v0, v[6:7], s[0:1] offset:4096 scale_offset
	s_endpgm
	.section	.rodata,"a",@progbits
	.p2align	6, 0x0
	.amdhsa_kernel _Z6kernelI27subtract_right_partial_tileLj256ELj3ELb0EJPxPiS1_jEEvDpT3_
		.amdhsa_group_segment_fixed_size 4096
		.amdhsa_private_segment_fixed_size 0
		.amdhsa_kernarg_size 28
		.amdhsa_user_sgpr_count 2
		.amdhsa_user_sgpr_dispatch_ptr 0
		.amdhsa_user_sgpr_queue_ptr 0
		.amdhsa_user_sgpr_kernarg_segment_ptr 1
		.amdhsa_user_sgpr_dispatch_id 0
		.amdhsa_user_sgpr_kernarg_preload_length 0
		.amdhsa_user_sgpr_kernarg_preload_offset 0
		.amdhsa_user_sgpr_private_segment_size 0
		.amdhsa_wavefront_size32 1
		.amdhsa_uses_dynamic_stack 0
		.amdhsa_enable_private_segment 0
		.amdhsa_system_sgpr_workgroup_id_x 1
		.amdhsa_system_sgpr_workgroup_id_y 0
		.amdhsa_system_sgpr_workgroup_id_z 0
		.amdhsa_system_sgpr_workgroup_info 0
		.amdhsa_system_vgpr_workitem_id 0
		.amdhsa_next_free_vgpr 18
		.amdhsa_next_free_sgpr 13
		.amdhsa_named_barrier_count 0
		.amdhsa_reserve_vcc 1
		.amdhsa_float_round_mode_32 0
		.amdhsa_float_round_mode_16_64 0
		.amdhsa_float_denorm_mode_32 3
		.amdhsa_float_denorm_mode_16_64 3
		.amdhsa_fp16_overflow 0
		.amdhsa_memory_ordered 1
		.amdhsa_forward_progress 1
		.amdhsa_inst_pref_size 5
		.amdhsa_round_robin_scheduling 0
		.amdhsa_exception_fp_ieee_invalid_op 0
		.amdhsa_exception_fp_denorm_src 0
		.amdhsa_exception_fp_ieee_div_zero 0
		.amdhsa_exception_fp_ieee_overflow 0
		.amdhsa_exception_fp_ieee_underflow 0
		.amdhsa_exception_fp_ieee_inexact 0
		.amdhsa_exception_int_div_zero 0
	.end_amdhsa_kernel
	.section	.text._Z6kernelI27subtract_right_partial_tileLj256ELj3ELb0EJPxPiS1_jEEvDpT3_,"axG",@progbits,_Z6kernelI27subtract_right_partial_tileLj256ELj3ELb0EJPxPiS1_jEEvDpT3_,comdat
.Lfunc_end199:
	.size	_Z6kernelI27subtract_right_partial_tileLj256ELj3ELb0EJPxPiS1_jEEvDpT3_, .Lfunc_end199-_Z6kernelI27subtract_right_partial_tileLj256ELj3ELb0EJPxPiS1_jEEvDpT3_
                                        ; -- End function
	.set _Z6kernelI27subtract_right_partial_tileLj256ELj3ELb0EJPxPiS1_jEEvDpT3_.num_vgpr, 18
	.set _Z6kernelI27subtract_right_partial_tileLj256ELj3ELb0EJPxPiS1_jEEvDpT3_.num_agpr, 0
	.set _Z6kernelI27subtract_right_partial_tileLj256ELj3ELb0EJPxPiS1_jEEvDpT3_.numbered_sgpr, 13
	.set _Z6kernelI27subtract_right_partial_tileLj256ELj3ELb0EJPxPiS1_jEEvDpT3_.num_named_barrier, 0
	.set _Z6kernelI27subtract_right_partial_tileLj256ELj3ELb0EJPxPiS1_jEEvDpT3_.private_seg_size, 0
	.set _Z6kernelI27subtract_right_partial_tileLj256ELj3ELb0EJPxPiS1_jEEvDpT3_.uses_vcc, 1
	.set _Z6kernelI27subtract_right_partial_tileLj256ELj3ELb0EJPxPiS1_jEEvDpT3_.uses_flat_scratch, 0
	.set _Z6kernelI27subtract_right_partial_tileLj256ELj3ELb0EJPxPiS1_jEEvDpT3_.has_dyn_sized_stack, 0
	.set _Z6kernelI27subtract_right_partial_tileLj256ELj3ELb0EJPxPiS1_jEEvDpT3_.has_recursion, 0
	.set _Z6kernelI27subtract_right_partial_tileLj256ELj3ELb0EJPxPiS1_jEEvDpT3_.has_indirect_call, 0
	.section	.AMDGPU.csdata,"",@progbits
; Kernel info:
; codeLenInByte = 524
; TotalNumSgprs: 15
; NumVgprs: 18
; ScratchSize: 0
; MemoryBound: 0
; FloatMode: 240
; IeeeMode: 1
; LDSByteSize: 4096 bytes/workgroup (compile time only)
; SGPRBlocks: 0
; VGPRBlocks: 1
; NumSGPRsForWavesPerEU: 15
; NumVGPRsForWavesPerEU: 18
; NamedBarCnt: 0
; Occupancy: 16
; WaveLimiterHint : 1
; COMPUTE_PGM_RSRC2:SCRATCH_EN: 0
; COMPUTE_PGM_RSRC2:USER_SGPR: 2
; COMPUTE_PGM_RSRC2:TRAP_HANDLER: 0
; COMPUTE_PGM_RSRC2:TGID_X_EN: 1
; COMPUTE_PGM_RSRC2:TGID_Y_EN: 0
; COMPUTE_PGM_RSRC2:TGID_Z_EN: 0
; COMPUTE_PGM_RSRC2:TIDIG_COMP_CNT: 0
	.section	.text._Z6kernelI27subtract_right_partial_tileLj256ELj4ELb0EJPxPiS1_jEEvDpT3_,"axG",@progbits,_Z6kernelI27subtract_right_partial_tileLj256ELj4ELb0EJPxPiS1_jEEvDpT3_,comdat
	.protected	_Z6kernelI27subtract_right_partial_tileLj256ELj4ELb0EJPxPiS1_jEEvDpT3_ ; -- Begin function _Z6kernelI27subtract_right_partial_tileLj256ELj4ELb0EJPxPiS1_jEEvDpT3_
	.globl	_Z6kernelI27subtract_right_partial_tileLj256ELj4ELb0EJPxPiS1_jEEvDpT3_
	.p2align	8
	.type	_Z6kernelI27subtract_right_partial_tileLj256ELj4ELb0EJPxPiS1_jEEvDpT3_,@function
_Z6kernelI27subtract_right_partial_tileLj256ELj4ELb0EJPxPiS1_jEEvDpT3_: ; @_Z6kernelI27subtract_right_partial_tileLj256ELj4ELb0EJPxPiS1_jEEvDpT3_
; %bb.0:
	s_load_b128 s[8:11], s[0:1], 0x0
	s_bfe_u32 s2, ttmp6, 0x4000c
	s_and_b32 s3, ttmp6, 15
	s_add_co_i32 s2, s2, 1
	s_getreg_b32 s4, hwreg(HW_REG_IB_STS2, 6, 4)
	s_mul_i32 s2, ttmp9, s2
	v_lshlrev_b32_e32 v10, 2, v0
	s_add_co_i32 s3, s3, s2
	s_cmp_eq_u32 s4, 0
	s_cselect_b32 s12, ttmp9, s3
	s_mov_b32 s3, 0
	s_lshl_b32 s2, s12, 10
	s_delay_alu instid0(SALU_CYCLE_1)
	s_lshl_b64 s[4:5], s[2:3], 3
	s_wait_xcnt 0x0
	s_load_b96 s[0:2], s[0:1], 0x10
	s_wait_kmcnt 0x0
	s_add_nc_u64 s[6:7], s[8:9], s[4:5]
	s_clause 0x3
	global_load_b64 v[2:3], v0, s[6:7] scale_offset
	global_load_b64 v[4:5], v0, s[6:7] offset:2048 scale_offset
	global_load_b64 v[6:7], v0, s[6:7] offset:4096 scale_offset
	;; [unrolled: 1-line block ×3, first 2 shown]
	s_cvt_f32_u32 s3, s2
	s_wait_xcnt 0x0
	s_sub_co_i32 s6, 0, s2
	s_delay_alu instid0(SALU_CYCLE_1) | instskip(SKIP_1) | instid1(TRANS32_DEP_1)
	v_rcp_iflag_f32_e32 v1, s3
	v_nop
	v_readfirstlane_b32 s3, v1
	v_dual_lshlrev_b32 v1, 3, v0 :: v_dual_bitop2_b32 v12, 1, v10 bitop3:0x54
	v_dual_add_nc_u32 v15, 4, v10 :: v_dual_bitop2_b32 v13, 2, v10 bitop3:0x54
	s_mul_f32 s3, s3, 0x4f7ffffe
	v_or_b32_e32 v14, 3, v10
	s_delay_alu instid0(SALU_CYCLE_2) | instskip(NEXT) | instid1(SALU_CYCLE_3)
	s_cvt_u32_f32 s3, s3
	s_mul_i32 s6, s6, s3
	s_delay_alu instid0(SALU_CYCLE_1) | instskip(NEXT) | instid1(SALU_CYCLE_1)
	s_mul_hi_u32 s6, s3, s6
	s_add_co_i32 s3, s3, s6
	s_delay_alu instid0(SALU_CYCLE_1)
	s_lshr_b32 s7, s3, 22
	s_load_b32 s3, s[10:11], s12 offset:0x0 scale_offset
	s_mul_i32 s6, s7, s2
	s_add_co_i32 s9, s7, 1
	s_sub_co_i32 s8, 0x400, s6
	s_mov_b32 s6, s0
	s_wait_xcnt 0x0
	s_sub_co_i32 s10, s8, s2
	s_cmp_ge_u32 s8, s2
	s_cselect_b32 s0, s9, s7
	s_cselect_b32 s7, s10, s8
	s_add_co_i32 s8, s0, 1
	s_cmp_ge_u32 s7, s2
	s_mov_b32 s7, s1
	s_cselect_b32 s8, s8, s0
	s_delay_alu instid0(SALU_CYCLE_1)
	s_add_co_i32 s8, s8, 1
	s_branch .LBB200_2
.LBB200_1:                              ;   in Loop: Header=BB200_2 Depth=1
	s_or_b32 exec_lo, exec_lo, s0
	v_cmp_gt_u32_e32 vcc_lo, s3, v12
	v_cmp_gt_u32_e64 s0, s3, v13
	v_cmp_gt_u32_e64 s1, s3, v14
	s_add_co_i32 s2, s2, -1
	v_dual_cndmask_b32 v17, 0, v5, vcc_lo :: v_dual_cndmask_b32 v19, 0, v7, s0
	v_dual_cndmask_b32 v16, 0, v4, vcc_lo :: v_dual_cndmask_b32 v18, 0, v6, s0
	v_dual_cndmask_b32 v21, 0, v9, s1 :: v_dual_cndmask_b32 v20, 0, v8, s1
	v_add_nc_u64_e32 v[8:9], v[10:11], v[8:9]
	s_delay_alu instid0(VALU_DEP_3) | instskip(NEXT) | instid1(VALU_DEP_4)
	v_sub_nc_u64_e32 v[16:17], v[2:3], v[16:17]
	v_sub_nc_u64_e32 v[18:19], v[4:5], v[18:19]
	s_add_co_i32 s0, s8, s3
	v_sub_nc_u64_e32 v[20:21], v[6:7], v[20:21]
	s_and_b32 s3, s0, 0x3ff
	s_cmp_lg_u32 s2, 0
	s_barrier_signal -1
	v_add_nc_u64_e32 v[2:3], v[16:17], v[2:3]
	v_add_nc_u64_e32 v[4:5], v[18:19], v[4:5]
	s_barrier_wait -1
	v_add_nc_u64_e32 v[6:7], v[20:21], v[6:7]
	s_cbranch_scc0 .LBB200_4
.LBB200_2:                              ; =>This Inner Loop Header: Depth=1
	s_wait_loadcnt 0x0
	v_mov_b64_e32 v[10:11], v[8:9]
	s_mov_b32 s0, exec_lo
	ds_store_b64 v1, v[2:3] offset:2048
	s_wait_dscnt 0x0
	s_barrier_signal -1
	s_barrier_wait -1
	s_wait_kmcnt 0x0
	v_cmpx_gt_u32_e64 s3, v15
	s_cbranch_execz .LBB200_1
; %bb.3:                                ;   in Loop: Header=BB200_2 Depth=1
	ds_load_b64 v[10:11], v1 offset:2056
	s_wait_dscnt 0x0
	v_sub_nc_u64_e32 v[10:11], v[8:9], v[10:11]
	s_branch .LBB200_1
.LBB200_4:
	s_add_nc_u64 s[0:1], s[6:7], s[4:5]
	s_clause 0x3
	global_store_b64 v0, v[2:3], s[0:1] scale_offset
	global_store_b64 v0, v[4:5], s[0:1] offset:2048 scale_offset
	global_store_b64 v0, v[6:7], s[0:1] offset:4096 scale_offset
	;; [unrolled: 1-line block ×3, first 2 shown]
	s_endpgm
	.section	.rodata,"a",@progbits
	.p2align	6, 0x0
	.amdhsa_kernel _Z6kernelI27subtract_right_partial_tileLj256ELj4ELb0EJPxPiS1_jEEvDpT3_
		.amdhsa_group_segment_fixed_size 4096
		.amdhsa_private_segment_fixed_size 0
		.amdhsa_kernarg_size 28
		.amdhsa_user_sgpr_count 2
		.amdhsa_user_sgpr_dispatch_ptr 0
		.amdhsa_user_sgpr_queue_ptr 0
		.amdhsa_user_sgpr_kernarg_segment_ptr 1
		.amdhsa_user_sgpr_dispatch_id 0
		.amdhsa_user_sgpr_kernarg_preload_length 0
		.amdhsa_user_sgpr_kernarg_preload_offset 0
		.amdhsa_user_sgpr_private_segment_size 0
		.amdhsa_wavefront_size32 1
		.amdhsa_uses_dynamic_stack 0
		.amdhsa_enable_private_segment 0
		.amdhsa_system_sgpr_workgroup_id_x 1
		.amdhsa_system_sgpr_workgroup_id_y 0
		.amdhsa_system_sgpr_workgroup_id_z 0
		.amdhsa_system_sgpr_workgroup_info 0
		.amdhsa_system_vgpr_workitem_id 0
		.amdhsa_next_free_vgpr 22
		.amdhsa_next_free_sgpr 13
		.amdhsa_named_barrier_count 0
		.amdhsa_reserve_vcc 1
		.amdhsa_float_round_mode_32 0
		.amdhsa_float_round_mode_16_64 0
		.amdhsa_float_denorm_mode_32 3
		.amdhsa_float_denorm_mode_16_64 3
		.amdhsa_fp16_overflow 0
		.amdhsa_memory_ordered 1
		.amdhsa_forward_progress 1
		.amdhsa_inst_pref_size 5
		.amdhsa_round_robin_scheduling 0
		.amdhsa_exception_fp_ieee_invalid_op 0
		.amdhsa_exception_fp_denorm_src 0
		.amdhsa_exception_fp_ieee_div_zero 0
		.amdhsa_exception_fp_ieee_overflow 0
		.amdhsa_exception_fp_ieee_underflow 0
		.amdhsa_exception_fp_ieee_inexact 0
		.amdhsa_exception_int_div_zero 0
	.end_amdhsa_kernel
	.section	.text._Z6kernelI27subtract_right_partial_tileLj256ELj4ELb0EJPxPiS1_jEEvDpT3_,"axG",@progbits,_Z6kernelI27subtract_right_partial_tileLj256ELj4ELb0EJPxPiS1_jEEvDpT3_,comdat
.Lfunc_end200:
	.size	_Z6kernelI27subtract_right_partial_tileLj256ELj4ELb0EJPxPiS1_jEEvDpT3_, .Lfunc_end200-_Z6kernelI27subtract_right_partial_tileLj256ELj4ELb0EJPxPiS1_jEEvDpT3_
                                        ; -- End function
	.set _Z6kernelI27subtract_right_partial_tileLj256ELj4ELb0EJPxPiS1_jEEvDpT3_.num_vgpr, 22
	.set _Z6kernelI27subtract_right_partial_tileLj256ELj4ELb0EJPxPiS1_jEEvDpT3_.num_agpr, 0
	.set _Z6kernelI27subtract_right_partial_tileLj256ELj4ELb0EJPxPiS1_jEEvDpT3_.numbered_sgpr, 13
	.set _Z6kernelI27subtract_right_partial_tileLj256ELj4ELb0EJPxPiS1_jEEvDpT3_.num_named_barrier, 0
	.set _Z6kernelI27subtract_right_partial_tileLj256ELj4ELb0EJPxPiS1_jEEvDpT3_.private_seg_size, 0
	.set _Z6kernelI27subtract_right_partial_tileLj256ELj4ELb0EJPxPiS1_jEEvDpT3_.uses_vcc, 1
	.set _Z6kernelI27subtract_right_partial_tileLj256ELj4ELb0EJPxPiS1_jEEvDpT3_.uses_flat_scratch, 0
	.set _Z6kernelI27subtract_right_partial_tileLj256ELj4ELb0EJPxPiS1_jEEvDpT3_.has_dyn_sized_stack, 0
	.set _Z6kernelI27subtract_right_partial_tileLj256ELj4ELb0EJPxPiS1_jEEvDpT3_.has_recursion, 0
	.set _Z6kernelI27subtract_right_partial_tileLj256ELj4ELb0EJPxPiS1_jEEvDpT3_.has_indirect_call, 0
	.section	.AMDGPU.csdata,"",@progbits
; Kernel info:
; codeLenInByte = 560
; TotalNumSgprs: 15
; NumVgprs: 22
; ScratchSize: 0
; MemoryBound: 0
; FloatMode: 240
; IeeeMode: 1
; LDSByteSize: 4096 bytes/workgroup (compile time only)
; SGPRBlocks: 0
; VGPRBlocks: 1
; NumSGPRsForWavesPerEU: 15
; NumVGPRsForWavesPerEU: 22
; NamedBarCnt: 0
; Occupancy: 16
; WaveLimiterHint : 1
; COMPUTE_PGM_RSRC2:SCRATCH_EN: 0
; COMPUTE_PGM_RSRC2:USER_SGPR: 2
; COMPUTE_PGM_RSRC2:TRAP_HANDLER: 0
; COMPUTE_PGM_RSRC2:TGID_X_EN: 1
; COMPUTE_PGM_RSRC2:TGID_Y_EN: 0
; COMPUTE_PGM_RSRC2:TGID_Z_EN: 0
; COMPUTE_PGM_RSRC2:TIDIG_COMP_CNT: 0
	.section	.text._Z6kernelI27subtract_right_partial_tileLj256ELj8ELb0EJPxPiS1_jEEvDpT3_,"axG",@progbits,_Z6kernelI27subtract_right_partial_tileLj256ELj8ELb0EJPxPiS1_jEEvDpT3_,comdat
	.protected	_Z6kernelI27subtract_right_partial_tileLj256ELj8ELb0EJPxPiS1_jEEvDpT3_ ; -- Begin function _Z6kernelI27subtract_right_partial_tileLj256ELj8ELb0EJPxPiS1_jEEvDpT3_
	.globl	_Z6kernelI27subtract_right_partial_tileLj256ELj8ELb0EJPxPiS1_jEEvDpT3_
	.p2align	8
	.type	_Z6kernelI27subtract_right_partial_tileLj256ELj8ELb0EJPxPiS1_jEEvDpT3_,@function
_Z6kernelI27subtract_right_partial_tileLj256ELj8ELb0EJPxPiS1_jEEvDpT3_: ; @_Z6kernelI27subtract_right_partial_tileLj256ELj8ELb0EJPxPiS1_jEEvDpT3_
; %bb.0:
	s_load_b128 s[4:7], s[0:1], 0x0
	s_bfe_u32 s2, ttmp6, 0x4000c
	s_and_b32 s3, ttmp6, 15
	s_add_co_i32 s2, s2, 1
	s_getreg_b32 s8, hwreg(HW_REG_IB_STS2, 6, 4)
	s_mul_i32 s2, ttmp9, s2
	s_delay_alu instid0(SALU_CYCLE_1) | instskip(SKIP_4) | instid1(SALU_CYCLE_1)
	s_add_co_i32 s3, s3, s2
	s_cmp_eq_u32 s8, 0
	s_cselect_b32 s10, ttmp9, s3
	s_mov_b32 s3, 0
	s_lshl_b32 s2, s10, 11
	s_lshl_b64 s[8:9], s[2:3], 3
	s_wait_xcnt 0x0
	s_load_b96 s[0:2], s[0:1], 0x10
	s_wait_kmcnt 0x0
	s_add_nc_u64 s[4:5], s[4:5], s[8:9]
	s_clause 0x7
	global_load_b64 v[16:17], v0, s[4:5] scale_offset
	global_load_b64 v[14:15], v0, s[4:5] offset:2048 scale_offset
	global_load_b64 v[12:13], v0, s[4:5] offset:4096 scale_offset
	;; [unrolled: 1-line block ×7, first 2 shown]
	s_cvt_f32_u32 s3, s2
	s_wait_xcnt 0x0
	s_sub_co_i32 s4, 0, s2
	s_delay_alu instid0(SALU_CYCLE_1) | instskip(SKIP_1) | instid1(TRANS32_DEP_1)
	v_rcp_iflag_f32_e32 v1, s3
	v_nop
	v_readfirstlane_b32 s3, v1
	v_lshlrev_b32_e32 v1, 3, v0
	s_mul_f32 s3, s3, 0x4f7ffffe
	s_delay_alu instid0(VALU_DEP_1) | instskip(SKIP_1) | instid1(SALU_CYCLE_1)
	v_dual_add_nc_u32 v27, 8, v1 :: v_dual_bitop2_b32 v20, 1, v1 bitop3:0x54
	v_or_b32_e32 v21, 2, v1
	s_cvt_u32_f32 s3, s3
	v_or_b32_e32 v22, 3, v1
	v_or_b32_e32 v23, 4, v1
	;; [unrolled: 1-line block ×3, first 2 shown]
	s_mul_i32 s4, s4, s3
	v_or_b32_e32 v25, 6, v1
	s_mul_hi_u32 s4, s3, s4
	v_or_b32_e32 v26, 7, v1
	s_add_co_i32 s3, s3, s4
	s_mov_b32 s4, s0
	s_lshr_b32 s5, s3, 21
	s_load_b32 s3, s[6:7], s10 offset:0x0 scale_offset
	s_mul_i32 s0, s5, s2
	s_wait_xcnt 0x0
	s_add_co_i32 s6, s5, 1
	s_sub_co_i32 s0, 0x800, s0
	s_delay_alu instid0(SALU_CYCLE_1)
	s_sub_co_i32 s7, s0, s2
	s_cmp_ge_u32 s0, s2
	s_cselect_b32 s5, s6, s5
	s_cselect_b32 s0, s7, s0
	s_add_co_i32 s6, s5, 1
	s_cmp_ge_u32 s0, s2
	s_cselect_b32 s6, s6, s5
	s_mov_b32 s5, s1
	s_add_co_i32 s6, s6, 1
	s_branch .LBB201_2
.LBB201_1:                              ;   in Loop: Header=BB201_2 Depth=1
	s_or_b32 exec_lo, exec_lo, s0
	v_cmp_gt_u32_e32 vcc_lo, s3, v20
	v_cmp_gt_u32_e64 s0, s3, v21
	v_cmp_gt_u32_e64 s1, s3, v26
	s_add_co_i32 s2, s2, -1
	v_dual_cndmask_b32 v29, 0, v15, vcc_lo :: v_dual_cndmask_b32 v31, 0, v13, s0
	v_dual_cndmask_b32 v28, 0, v14, vcc_lo :: v_dual_cndmask_b32 v30, 0, v12, s0
	v_cmp_gt_u32_e32 vcc_lo, s3, v22
	v_cmp_gt_u32_e64 s0, s3, v23
	v_dual_cndmask_b32 v41, 0, v3, s1 :: v_dual_cndmask_b32 v40, 0, v2, s1
	s_delay_alu instid0(VALU_DEP_4) | instskip(SKIP_1) | instid1(VALU_DEP_4)
	v_sub_nc_u64_e32 v[28:29], v[16:17], v[28:29]
	v_dual_cndmask_b32 v33, 0, v11 :: v_dual_cndmask_b32 v32, 0, v10
	v_dual_cndmask_b32 v35, 0, v9, s0 :: v_dual_cndmask_b32 v34, 0, v8, s0
	v_cmp_gt_u32_e32 vcc_lo, s3, v24
	v_cmp_gt_u32_e64 s0, s3, v25
	v_sub_nc_u64_e32 v[30:31], v[14:15], v[30:31]
	v_sub_nc_u64_e32 v[32:33], v[12:13], v[32:33]
	;; [unrolled: 1-line block ×3, first 2 shown]
	v_dual_cndmask_b32 v37, 0, v7 :: v_dual_cndmask_b32 v36, 0, v6
	v_dual_cndmask_b32 v39, 0, v5, s0 :: v_dual_cndmask_b32 v38, 0, v4, s0
	v_sub_nc_u64_e32 v[40:41], v[4:5], v[40:41]
	v_add_nc_u64_e32 v[16:17], v[28:29], v[16:17]
	s_delay_alu instid0(VALU_DEP_4)
	v_sub_nc_u64_e32 v[36:37], v[8:9], v[36:37]
	v_add_nc_u64_e32 v[14:15], v[30:31], v[14:15]
	v_sub_nc_u64_e32 v[38:39], v[6:7], v[38:39]
	v_add_nc_u64_e32 v[12:13], v[32:33], v[12:13]
	v_add_nc_u64_e32 v[10:11], v[34:35], v[10:11]
	;; [unrolled: 1-line block ×5, first 2 shown]
	s_add_co_i32 s0, s6, s3
	v_add_nc_u64_e32 v[6:7], v[38:39], v[6:7]
	s_and_b32 s3, s0, 0x7ff
	s_cmp_lg_u32 s2, 0
	s_barrier_signal -1
	s_barrier_wait -1
	s_cbranch_scc0 .LBB201_4
.LBB201_2:                              ; =>This Inner Loop Header: Depth=1
	s_wait_loadcnt 0x0
	v_mov_b64_e32 v[18:19], v[2:3]
	s_mov_b32 s0, exec_lo
	ds_store_b64 v1, v[16:17] offset:2048
	s_wait_dscnt 0x0
	s_barrier_signal -1
	s_barrier_wait -1
	s_wait_kmcnt 0x0
	v_cmpx_gt_u32_e64 s3, v27
	s_cbranch_execz .LBB201_1
; %bb.3:                                ;   in Loop: Header=BB201_2 Depth=1
	ds_load_b64 v[18:19], v1 offset:2056
	s_wait_dscnt 0x0
	v_sub_nc_u64_e32 v[18:19], v[2:3], v[18:19]
	s_branch .LBB201_1
.LBB201_4:
	s_add_nc_u64 s[0:1], s[4:5], s[8:9]
	s_clause 0x7
	global_store_b64 v0, v[16:17], s[0:1] scale_offset
	global_store_b64 v0, v[14:15], s[0:1] offset:2048 scale_offset
	global_store_b64 v0, v[12:13], s[0:1] offset:4096 scale_offset
	;; [unrolled: 1-line block ×7, first 2 shown]
	s_endpgm
	.section	.rodata,"a",@progbits
	.p2align	6, 0x0
	.amdhsa_kernel _Z6kernelI27subtract_right_partial_tileLj256ELj8ELb0EJPxPiS1_jEEvDpT3_
		.amdhsa_group_segment_fixed_size 4096
		.amdhsa_private_segment_fixed_size 0
		.amdhsa_kernarg_size 28
		.amdhsa_user_sgpr_count 2
		.amdhsa_user_sgpr_dispatch_ptr 0
		.amdhsa_user_sgpr_queue_ptr 0
		.amdhsa_user_sgpr_kernarg_segment_ptr 1
		.amdhsa_user_sgpr_dispatch_id 0
		.amdhsa_user_sgpr_kernarg_preload_length 0
		.amdhsa_user_sgpr_kernarg_preload_offset 0
		.amdhsa_user_sgpr_private_segment_size 0
		.amdhsa_wavefront_size32 1
		.amdhsa_uses_dynamic_stack 0
		.amdhsa_enable_private_segment 0
		.amdhsa_system_sgpr_workgroup_id_x 1
		.amdhsa_system_sgpr_workgroup_id_y 0
		.amdhsa_system_sgpr_workgroup_id_z 0
		.amdhsa_system_sgpr_workgroup_info 0
		.amdhsa_system_vgpr_workitem_id 0
		.amdhsa_next_free_vgpr 42
		.amdhsa_next_free_sgpr 11
		.amdhsa_named_barrier_count 0
		.amdhsa_reserve_vcc 1
		.amdhsa_float_round_mode_32 0
		.amdhsa_float_round_mode_16_64 0
		.amdhsa_float_denorm_mode_32 3
		.amdhsa_float_denorm_mode_16_64 3
		.amdhsa_fp16_overflow 0
		.amdhsa_memory_ordered 1
		.amdhsa_forward_progress 1
		.amdhsa_inst_pref_size 6
		.amdhsa_round_robin_scheduling 0
		.amdhsa_exception_fp_ieee_invalid_op 0
		.amdhsa_exception_fp_denorm_src 0
		.amdhsa_exception_fp_ieee_div_zero 0
		.amdhsa_exception_fp_ieee_overflow 0
		.amdhsa_exception_fp_ieee_underflow 0
		.amdhsa_exception_fp_ieee_inexact 0
		.amdhsa_exception_int_div_zero 0
	.end_amdhsa_kernel
	.section	.text._Z6kernelI27subtract_right_partial_tileLj256ELj8ELb0EJPxPiS1_jEEvDpT3_,"axG",@progbits,_Z6kernelI27subtract_right_partial_tileLj256ELj8ELb0EJPxPiS1_jEEvDpT3_,comdat
.Lfunc_end201:
	.size	_Z6kernelI27subtract_right_partial_tileLj256ELj8ELb0EJPxPiS1_jEEvDpT3_, .Lfunc_end201-_Z6kernelI27subtract_right_partial_tileLj256ELj8ELb0EJPxPiS1_jEEvDpT3_
                                        ; -- End function
	.set _Z6kernelI27subtract_right_partial_tileLj256ELj8ELb0EJPxPiS1_jEEvDpT3_.num_vgpr, 42
	.set _Z6kernelI27subtract_right_partial_tileLj256ELj8ELb0EJPxPiS1_jEEvDpT3_.num_agpr, 0
	.set _Z6kernelI27subtract_right_partial_tileLj256ELj8ELb0EJPxPiS1_jEEvDpT3_.numbered_sgpr, 11
	.set _Z6kernelI27subtract_right_partial_tileLj256ELj8ELb0EJPxPiS1_jEEvDpT3_.num_named_barrier, 0
	.set _Z6kernelI27subtract_right_partial_tileLj256ELj8ELb0EJPxPiS1_jEEvDpT3_.private_seg_size, 0
	.set _Z6kernelI27subtract_right_partial_tileLj256ELj8ELb0EJPxPiS1_jEEvDpT3_.uses_vcc, 1
	.set _Z6kernelI27subtract_right_partial_tileLj256ELj8ELb0EJPxPiS1_jEEvDpT3_.uses_flat_scratch, 0
	.set _Z6kernelI27subtract_right_partial_tileLj256ELj8ELb0EJPxPiS1_jEEvDpT3_.has_dyn_sized_stack, 0
	.set _Z6kernelI27subtract_right_partial_tileLj256ELj8ELb0EJPxPiS1_jEEvDpT3_.has_recursion, 0
	.set _Z6kernelI27subtract_right_partial_tileLj256ELj8ELb0EJPxPiS1_jEEvDpT3_.has_indirect_call, 0
	.section	.AMDGPU.csdata,"",@progbits
; Kernel info:
; codeLenInByte = 756
; TotalNumSgprs: 13
; NumVgprs: 42
; ScratchSize: 0
; MemoryBound: 0
; FloatMode: 240
; IeeeMode: 1
; LDSByteSize: 4096 bytes/workgroup (compile time only)
; SGPRBlocks: 0
; VGPRBlocks: 2
; NumSGPRsForWavesPerEU: 13
; NumVGPRsForWavesPerEU: 42
; NamedBarCnt: 0
; Occupancy: 16
; WaveLimiterHint : 1
; COMPUTE_PGM_RSRC2:SCRATCH_EN: 0
; COMPUTE_PGM_RSRC2:USER_SGPR: 2
; COMPUTE_PGM_RSRC2:TRAP_HANDLER: 0
; COMPUTE_PGM_RSRC2:TGID_X_EN: 1
; COMPUTE_PGM_RSRC2:TGID_Y_EN: 0
; COMPUTE_PGM_RSRC2:TGID_Z_EN: 0
; COMPUTE_PGM_RSRC2:TIDIG_COMP_CNT: 0
	.section	.text._Z6kernelI27subtract_right_partial_tileLj256ELj16ELb0EJPxPiS1_jEEvDpT3_,"axG",@progbits,_Z6kernelI27subtract_right_partial_tileLj256ELj16ELb0EJPxPiS1_jEEvDpT3_,comdat
	.protected	_Z6kernelI27subtract_right_partial_tileLj256ELj16ELb0EJPxPiS1_jEEvDpT3_ ; -- Begin function _Z6kernelI27subtract_right_partial_tileLj256ELj16ELb0EJPxPiS1_jEEvDpT3_
	.globl	_Z6kernelI27subtract_right_partial_tileLj256ELj16ELb0EJPxPiS1_jEEvDpT3_
	.p2align	8
	.type	_Z6kernelI27subtract_right_partial_tileLj256ELj16ELb0EJPxPiS1_jEEvDpT3_,@function
_Z6kernelI27subtract_right_partial_tileLj256ELj16ELb0EJPxPiS1_jEEvDpT3_: ; @_Z6kernelI27subtract_right_partial_tileLj256ELj16ELb0EJPxPiS1_jEEvDpT3_
; %bb.0:
	s_load_b128 s[4:7], s[0:1], 0x0
	s_bfe_u32 s2, ttmp6, 0x4000c
	s_and_b32 s3, ttmp6, 15
	s_add_co_i32 s2, s2, 1
	s_getreg_b32 s8, hwreg(HW_REG_IB_STS2, 6, 4)
	s_mul_i32 s2, ttmp9, s2
	v_lshlrev_b32_e32 v34, 4, v0
	s_add_co_i32 s3, s3, s2
	s_cmp_eq_u32 s8, 0
	s_cselect_b32 s10, ttmp9, s3
	s_mov_b32 s3, 0
	s_lshl_b32 s2, s10, 12
	s_delay_alu instid0(SALU_CYCLE_1)
	s_lshl_b64 s[8:9], s[2:3], 3
	s_wait_xcnt 0x0
	s_load_b96 s[0:2], s[0:1], 0x10
	s_wait_kmcnt 0x0
	s_add_nc_u64 s[4:5], s[4:5], s[8:9]
	s_clause 0xf
	global_load_b64 v[32:33], v0, s[4:5] scale_offset
	global_load_b64 v[30:31], v0, s[4:5] offset:2048 scale_offset
	global_load_b64 v[28:29], v0, s[4:5] offset:4096 scale_offset
	;; [unrolled: 1-line block ×15, first 2 shown]
	s_cvt_f32_u32 s3, s2
	s_wait_xcnt 0x0
	s_sub_co_i32 s4, 0, s2
	s_delay_alu instid0(SALU_CYCLE_1) | instskip(SKIP_1) | instid1(TRANS32_DEP_1)
	v_rcp_iflag_f32_e32 v1, s3
	v_nop
	v_readfirstlane_b32 s3, v1
	v_dual_lshlrev_b32 v1, 3, v0 :: v_dual_bitop2_b32 v36, 1, v34 bitop3:0x54
	v_dual_add_nc_u32 v51, 16, v34 :: v_dual_bitop2_b32 v37, 2, v34 bitop3:0x54
	s_mul_f32 s3, s3, 0x4f7ffffe
	v_or_b32_e32 v38, 3, v34
	v_or_b32_e32 v39, 4, v34
	;; [unrolled: 1-line block ×3, first 2 shown]
	s_cvt_u32_f32 s3, s3
	v_or_b32_e32 v41, 6, v34
	v_or_b32_e32 v42, 7, v34
	;; [unrolled: 1-line block ×3, first 2 shown]
	s_mul_i32 s4, s4, s3
	v_or_b32_e32 v44, 9, v34
	s_mul_hi_u32 s4, s3, s4
	v_or_b32_e32 v45, 10, v34
	s_add_co_i32 s3, s3, s4
	s_mov_b32 s4, s0
	s_lshr_b32 s5, s3, 20
	v_or_b32_e32 v46, 11, v34
	s_mul_i32 s3, s5, s2
	s_add_co_i32 s11, s5, 1
	s_sub_co_i32 s0, 0x1000, s3
	s_load_b32 s3, s[6:7], s10 offset:0x0 scale_offset
	s_sub_co_i32 s12, s0, s2
	s_cmp_ge_u32 s0, s2
	v_or_b32_e32 v47, 12, v34
	s_cselect_b32 s5, s11, s5
	s_cselect_b32 s0, s12, s0
	s_wait_xcnt 0x0
	s_add_co_i32 s6, s5, 1
	s_cmp_ge_u32 s0, s2
	v_or_b32_e32 v48, 13, v34
	v_or_b32_e32 v49, 14, v34
	;; [unrolled: 1-line block ×3, first 2 shown]
	s_cselect_b32 s0, s6, s5
	s_mov_b32 s5, s1
	s_add_co_i32 s1, s0, 1
	s_branch .LBB202_2
.LBB202_1:                              ;   in Loop: Header=BB202_2 Depth=1
	s_or_b32 exec_lo, exec_lo, s0
	v_cmp_gt_u32_e32 vcc_lo, s3, v36
	v_cmp_gt_u32_e64 s0, s3, v37
	s_add_co_i32 s2, s2, -1
	s_barrier_signal -1
	v_dual_cndmask_b32 v53, 0, v31, vcc_lo :: v_dual_cndmask_b32 v55, 0, v29, s0
	v_dual_cndmask_b32 v52, 0, v30, vcc_lo :: v_dual_cndmask_b32 v54, 0, v28, s0
	v_cmp_gt_u32_e32 vcc_lo, s3, v38
	v_cmp_gt_u32_e64 s0, s3, v39
	s_barrier_wait -1
	s_delay_alu instid0(VALU_DEP_3)
	v_sub_nc_u64_e32 v[52:53], v[32:33], v[52:53]
	v_sub_nc_u64_e32 v[54:55], v[30:31], v[54:55]
	v_dual_cndmask_b32 v57, 0, v27 :: v_dual_cndmask_b32 v56, 0, v26
	v_cmp_gt_u32_e32 vcc_lo, s3, v40
	v_dual_cndmask_b32 v59, 0, v25, s0 :: v_dual_cndmask_b32 v58, 0, v24, s0
	v_cmp_gt_u32_e64 s0, s3, v41
	s_delay_alu instid0(VALU_DEP_4)
	v_sub_nc_u64_e32 v[56:57], v[28:29], v[56:57]
	v_dual_cndmask_b32 v61, 0, v23 :: v_dual_cndmask_b32 v60, 0, v22
	v_cmp_gt_u32_e32 vcc_lo, s3, v42
	v_add_nc_u64_e32 v[32:33], v[52:53], v[32:33]
	v_dual_cndmask_b32 v53, 0, v21, s0 :: v_dual_cndmask_b32 v52, 0, v20, s0
	v_sub_nc_u64_e32 v[58:59], v[26:27], v[58:59]
	v_cmp_gt_u32_e64 s0, s3, v43
	v_add_nc_u64_e32 v[30:31], v[54:55], v[30:31]
	v_dual_cndmask_b32 v55, 0, v19 :: v_dual_cndmask_b32 v54, 0, v18
	v_cmp_gt_u32_e32 vcc_lo, s3, v44
	v_sub_nc_u64_e32 v[60:61], v[24:25], v[60:61]
	v_sub_nc_u64_e32 v[52:53], v[22:23], v[52:53]
	v_add_nc_u64_e32 v[28:29], v[56:57], v[28:29]
	v_dual_cndmask_b32 v57, 0, v17, s0 :: v_dual_cndmask_b32 v56, 0, v16, s0
	v_cmp_gt_u32_e64 s0, s3, v45
	v_add_nc_u64_e32 v[26:27], v[58:59], v[26:27]
	v_dual_cndmask_b32 v59, 0, v15 :: v_dual_cndmask_b32 v58, 0, v14
	v_cmp_gt_u32_e32 vcc_lo, s3, v46
	v_add_nc_u64_e32 v[24:25], v[60:61], v[24:25]
	v_dual_cndmask_b32 v61, 0, v13, s0 :: v_dual_cndmask_b32 v60, 0, v12, s0
	v_sub_nc_u64_e32 v[54:55], v[20:21], v[54:55]
	v_sub_nc_u64_e32 v[56:57], v[18:19], v[56:57]
	v_add_nc_u64_e32 v[22:23], v[52:53], v[22:23]
	v_dual_cndmask_b32 v53, 0, v11 :: v_dual_cndmask_b32 v52, 0, v10
	v_cmp_gt_u32_e64 s0, s3, v47
	v_cmp_gt_u32_e32 vcc_lo, s3, v48
	v_sub_nc_u64_e32 v[58:59], v[16:17], v[58:59]
	v_sub_nc_u64_e32 v[60:61], v[14:15], v[60:61]
	v_add_nc_u64_e32 v[20:21], v[54:55], v[20:21]
	v_dual_cndmask_b32 v55, 0, v9, s0 :: v_dual_cndmask_b32 v54, 0, v8, s0
	v_add_nc_u64_e32 v[18:19], v[56:57], v[18:19]
	v_dual_cndmask_b32 v57, 0, v7 :: v_dual_cndmask_b32 v56, 0, v6
	v_cmp_gt_u32_e64 s0, s3, v49
	v_cmp_gt_u32_e32 vcc_lo, s3, v50
	v_add_nc_u64_e32 v[16:17], v[58:59], v[16:17]
	v_add_nc_u64_e32 v[14:15], v[60:61], v[14:15]
	v_sub_nc_u64_e32 v[52:53], v[12:13], v[52:53]
	v_dual_cndmask_b32 v59, 0, v5, s0 :: v_dual_cndmask_b32 v58, 0, v4, s0
	v_dual_cndmask_b32 v61, 0, v3 :: v_dual_cndmask_b32 v60, 0, v2
	v_sub_nc_u64_e32 v[54:55], v[10:11], v[54:55]
	v_sub_nc_u64_e32 v[56:57], v[8:9], v[56:57]
	s_delay_alu instid0(VALU_DEP_4)
	v_sub_nc_u64_e32 v[58:59], v[6:7], v[58:59]
	v_add_nc_u64_e32 v[12:13], v[52:53], v[12:13]
	v_sub_nc_u64_e32 v[60:61], v[4:5], v[60:61]
	v_add_nc_u64_e32 v[2:3], v[34:35], v[2:3]
	s_add_co_i32 s0, s1, s3
	v_add_nc_u64_e32 v[10:11], v[54:55], v[10:11]
	v_add_nc_u64_e32 v[8:9], v[56:57], v[8:9]
	;; [unrolled: 1-line block ×3, first 2 shown]
	s_and_b32 s3, s0, 0xfff
	v_add_nc_u64_e32 v[4:5], v[60:61], v[4:5]
	s_cmp_lg_u32 s2, 0
	s_cbranch_scc0 .LBB202_4
.LBB202_2:                              ; =>This Inner Loop Header: Depth=1
	s_wait_loadcnt 0x0
	v_mov_b64_e32 v[34:35], v[2:3]
	s_mov_b32 s0, exec_lo
	ds_store_b64 v1, v[32:33] offset:2048
	s_wait_dscnt 0x0
	s_barrier_signal -1
	s_barrier_wait -1
	s_wait_kmcnt 0x0
	v_cmpx_gt_u32_e64 s3, v51
	s_cbranch_execz .LBB202_1
; %bb.3:                                ;   in Loop: Header=BB202_2 Depth=1
	ds_load_b64 v[34:35], v1 offset:2056
	s_wait_dscnt 0x0
	v_sub_nc_u64_e32 v[34:35], v[2:3], v[34:35]
	s_branch .LBB202_1
.LBB202_4:
	s_add_nc_u64 s[0:1], s[4:5], s[8:9]
	s_clause 0xf
	global_store_b64 v0, v[32:33], s[0:1] scale_offset
	global_store_b64 v0, v[30:31], s[0:1] offset:2048 scale_offset
	global_store_b64 v0, v[28:29], s[0:1] offset:4096 scale_offset
	;; [unrolled: 1-line block ×15, first 2 shown]
	s_endpgm
	.section	.rodata,"a",@progbits
	.p2align	6, 0x0
	.amdhsa_kernel _Z6kernelI27subtract_right_partial_tileLj256ELj16ELb0EJPxPiS1_jEEvDpT3_
		.amdhsa_group_segment_fixed_size 4096
		.amdhsa_private_segment_fixed_size 0
		.amdhsa_kernarg_size 28
		.amdhsa_user_sgpr_count 2
		.amdhsa_user_sgpr_dispatch_ptr 0
		.amdhsa_user_sgpr_queue_ptr 0
		.amdhsa_user_sgpr_kernarg_segment_ptr 1
		.amdhsa_user_sgpr_dispatch_id 0
		.amdhsa_user_sgpr_kernarg_preload_length 0
		.amdhsa_user_sgpr_kernarg_preload_offset 0
		.amdhsa_user_sgpr_private_segment_size 0
		.amdhsa_wavefront_size32 1
		.amdhsa_uses_dynamic_stack 0
		.amdhsa_enable_private_segment 0
		.amdhsa_system_sgpr_workgroup_id_x 1
		.amdhsa_system_sgpr_workgroup_id_y 0
		.amdhsa_system_sgpr_workgroup_id_z 0
		.amdhsa_system_sgpr_workgroup_info 0
		.amdhsa_system_vgpr_workitem_id 0
		.amdhsa_next_free_vgpr 62
		.amdhsa_next_free_sgpr 13
		.amdhsa_named_barrier_count 0
		.amdhsa_reserve_vcc 1
		.amdhsa_float_round_mode_32 0
		.amdhsa_float_round_mode_16_64 0
		.amdhsa_float_denorm_mode_32 3
		.amdhsa_float_denorm_mode_16_64 3
		.amdhsa_fp16_overflow 0
		.amdhsa_memory_ordered 1
		.amdhsa_forward_progress 1
		.amdhsa_inst_pref_size 10
		.amdhsa_round_robin_scheduling 0
		.amdhsa_exception_fp_ieee_invalid_op 0
		.amdhsa_exception_fp_denorm_src 0
		.amdhsa_exception_fp_ieee_div_zero 0
		.amdhsa_exception_fp_ieee_overflow 0
		.amdhsa_exception_fp_ieee_underflow 0
		.amdhsa_exception_fp_ieee_inexact 0
		.amdhsa_exception_int_div_zero 0
	.end_amdhsa_kernel
	.section	.text._Z6kernelI27subtract_right_partial_tileLj256ELj16ELb0EJPxPiS1_jEEvDpT3_,"axG",@progbits,_Z6kernelI27subtract_right_partial_tileLj256ELj16ELb0EJPxPiS1_jEEvDpT3_,comdat
.Lfunc_end202:
	.size	_Z6kernelI27subtract_right_partial_tileLj256ELj16ELb0EJPxPiS1_jEEvDpT3_, .Lfunc_end202-_Z6kernelI27subtract_right_partial_tileLj256ELj16ELb0EJPxPiS1_jEEvDpT3_
                                        ; -- End function
	.set _Z6kernelI27subtract_right_partial_tileLj256ELj16ELb0EJPxPiS1_jEEvDpT3_.num_vgpr, 62
	.set _Z6kernelI27subtract_right_partial_tileLj256ELj16ELb0EJPxPiS1_jEEvDpT3_.num_agpr, 0
	.set _Z6kernelI27subtract_right_partial_tileLj256ELj16ELb0EJPxPiS1_jEEvDpT3_.numbered_sgpr, 13
	.set _Z6kernelI27subtract_right_partial_tileLj256ELj16ELb0EJPxPiS1_jEEvDpT3_.num_named_barrier, 0
	.set _Z6kernelI27subtract_right_partial_tileLj256ELj16ELb0EJPxPiS1_jEEvDpT3_.private_seg_size, 0
	.set _Z6kernelI27subtract_right_partial_tileLj256ELj16ELb0EJPxPiS1_jEEvDpT3_.uses_vcc, 1
	.set _Z6kernelI27subtract_right_partial_tileLj256ELj16ELb0EJPxPiS1_jEEvDpT3_.uses_flat_scratch, 0
	.set _Z6kernelI27subtract_right_partial_tileLj256ELj16ELb0EJPxPiS1_jEEvDpT3_.has_dyn_sized_stack, 0
	.set _Z6kernelI27subtract_right_partial_tileLj256ELj16ELb0EJPxPiS1_jEEvDpT3_.has_recursion, 0
	.set _Z6kernelI27subtract_right_partial_tileLj256ELj16ELb0EJPxPiS1_jEEvDpT3_.has_indirect_call, 0
	.section	.AMDGPU.csdata,"",@progbits
; Kernel info:
; codeLenInByte = 1168
; TotalNumSgprs: 15
; NumVgprs: 62
; ScratchSize: 0
; MemoryBound: 0
; FloatMode: 240
; IeeeMode: 1
; LDSByteSize: 4096 bytes/workgroup (compile time only)
; SGPRBlocks: 0
; VGPRBlocks: 3
; NumSGPRsForWavesPerEU: 15
; NumVGPRsForWavesPerEU: 62
; NamedBarCnt: 0
; Occupancy: 16
; WaveLimiterHint : 1
; COMPUTE_PGM_RSRC2:SCRATCH_EN: 0
; COMPUTE_PGM_RSRC2:USER_SGPR: 2
; COMPUTE_PGM_RSRC2:TRAP_HANDLER: 0
; COMPUTE_PGM_RSRC2:TGID_X_EN: 1
; COMPUTE_PGM_RSRC2:TGID_Y_EN: 0
; COMPUTE_PGM_RSRC2:TGID_Z_EN: 0
; COMPUTE_PGM_RSRC2:TIDIG_COMP_CNT: 0
	.section	.text._Z6kernelI27subtract_right_partial_tileLj256ELj32ELb0EJPxPiS1_jEEvDpT3_,"axG",@progbits,_Z6kernelI27subtract_right_partial_tileLj256ELj32ELb0EJPxPiS1_jEEvDpT3_,comdat
	.protected	_Z6kernelI27subtract_right_partial_tileLj256ELj32ELb0EJPxPiS1_jEEvDpT3_ ; -- Begin function _Z6kernelI27subtract_right_partial_tileLj256ELj32ELb0EJPxPiS1_jEEvDpT3_
	.globl	_Z6kernelI27subtract_right_partial_tileLj256ELj32ELb0EJPxPiS1_jEEvDpT3_
	.p2align	8
	.type	_Z6kernelI27subtract_right_partial_tileLj256ELj32ELb0EJPxPiS1_jEEvDpT3_,@function
_Z6kernelI27subtract_right_partial_tileLj256ELj32ELb0EJPxPiS1_jEEvDpT3_: ; @_Z6kernelI27subtract_right_partial_tileLj256ELj32ELb0EJPxPiS1_jEEvDpT3_
; %bb.0:
	s_load_b128 s[4:7], s[0:1], 0x0
	s_bfe_u32 s2, ttmp6, 0x4000c
	s_and_b32 s3, ttmp6, 15
	s_add_co_i32 s2, s2, 1
	s_getreg_b32 s8, hwreg(HW_REG_IB_STS2, 6, 4)
	s_mul_i32 s2, ttmp9, s2
	v_dual_lshlrev_b32 v66, 5, v0 :: v_dual_lshlrev_b32 v1, 3, v0
	s_add_co_i32 s3, s3, s2
	s_cmp_eq_u32 s8, 0
	s_cselect_b32 s10, ttmp9, s3
	s_mov_b32 s3, 0
	s_lshl_b32 s2, s10, 13
	v_dual_add_nc_u32 v99, 32, v66 :: v_dual_bitop2_b32 v68, 1, v66 bitop3:0x54
	s_lshl_b64 s[8:9], s[2:3], 3
	v_or_b32_e32 v69, 2, v66
	v_or_b32_e32 v70, 3, v66
	;; [unrolled: 1-line block ×3, first 2 shown]
	s_wait_kmcnt 0x0
	s_add_nc_u64 s[2:3], s[4:5], s[8:9]
	v_or_b32_e32 v72, 5, v66
	s_clause 0x1f
	global_load_b64 v[2:3], v0, s[2:3] scale_offset
	global_load_b64 v[8:9], v0, s[2:3] offset:2048 scale_offset
	global_load_b64 v[6:7], v0, s[2:3] offset:4096 scale_offset
	global_load_b64 v[4:5], v0, s[2:3] offset:6144 scale_offset
	global_load_b64 v[10:11], v0, s[2:3] offset:8192 scale_offset
	global_load_b64 v[12:13], v0, s[2:3] offset:10240 scale_offset
	global_load_b64 v[14:15], v0, s[2:3] offset:12288 scale_offset
	global_load_b64 v[16:17], v0, s[2:3] offset:14336 scale_offset
	global_load_b64 v[18:19], v0, s[2:3] offset:16384 scale_offset
	global_load_b64 v[20:21], v0, s[2:3] offset:18432 scale_offset
	global_load_b64 v[22:23], v0, s[2:3] offset:20480 scale_offset
	global_load_b64 v[24:25], v0, s[2:3] offset:22528 scale_offset
	global_load_b64 v[64:65], v0, s[2:3] offset:24576 scale_offset
	global_load_b64 v[62:63], v0, s[2:3] offset:26624 scale_offset
	global_load_b64 v[60:61], v0, s[2:3] offset:28672 scale_offset
	global_load_b64 v[58:59], v0, s[2:3] offset:30720 scale_offset
	global_load_b64 v[56:57], v0, s[2:3] offset:32768 scale_offset
	global_load_b64 v[54:55], v0, s[2:3] offset:34816 scale_offset
	global_load_b64 v[52:53], v0, s[2:3] offset:36864 scale_offset
	global_load_b64 v[50:51], v0, s[2:3] offset:38912 scale_offset
	global_load_b64 v[48:49], v0, s[2:3] offset:40960 scale_offset
	global_load_b64 v[46:47], v0, s[2:3] offset:43008 scale_offset
	global_load_b64 v[44:45], v0, s[2:3] offset:45056 scale_offset
	global_load_b64 v[42:43], v0, s[2:3] offset:47104 scale_offset
	global_load_b64 v[40:41], v0, s[2:3] offset:49152 scale_offset
	global_load_b64 v[38:39], v0, s[2:3] offset:51200 scale_offset
	global_load_b64 v[36:37], v0, s[2:3] offset:53248 scale_offset
	global_load_b64 v[34:35], v0, s[2:3] offset:55296 scale_offset
	global_load_b64 v[32:33], v0, s[2:3] offset:57344 scale_offset
	global_load_b64 v[30:31], v0, s[2:3] offset:59392 scale_offset
	global_load_b64 v[28:29], v0, s[2:3] offset:61440 scale_offset
	global_load_b64 v[26:27], v0, s[2:3] offset:63488 scale_offset
	s_wait_xcnt 0x0
	s_load_b96 s[0:2], s[0:1], 0x10
	v_or_b32_e32 v73, 6, v66
	v_or_b32_e32 v74, 7, v66
	;; [unrolled: 1-line block ×19, first 2 shown]
	s_wait_kmcnt 0x0
	s_cvt_f32_u32 s3, s2
	s_sub_co_i32 s4, 0, s2
	v_or_b32_e32 v92, 25, v66
	v_or_b32_e32 v93, 26, v66
	v_rcp_iflag_f32_e32 v67, s3
	v_or_b32_e32 v94, 27, v66
	v_or_b32_e32 v95, 28, v66
	;; [unrolled: 1-line block ×5, first 2 shown]
	s_delay_alu instid0(TRANS32_DEP_1) | instskip(SKIP_1) | instid1(SALU_CYCLE_3)
	v_readfirstlane_b32 s3, v67
	s_mul_f32 s3, s3, 0x4f7ffffe
	s_cvt_u32_f32 s3, s3
	s_delay_alu instid0(SALU_CYCLE_3) | instskip(NEXT) | instid1(SALU_CYCLE_1)
	s_mul_i32 s4, s4, s3
	s_mul_hi_u32 s4, s3, s4
	s_delay_alu instid0(SALU_CYCLE_1) | instskip(SKIP_2) | instid1(SALU_CYCLE_1)
	s_add_co_i32 s3, s3, s4
	s_mov_b32 s4, s0
	s_lshr_b32 s5, s3, 19
	s_mul_i32 s3, s5, s2
	s_add_co_i32 s11, s5, 1
	s_sub_co_i32 s0, 0x2000, s3
	s_load_b32 s3, s[6:7], s10 offset:0x0 scale_offset
	s_sub_co_i32 s12, s0, s2
	s_cmp_ge_u32 s0, s2
	s_cselect_b32 s5, s11, s5
	s_cselect_b32 s0, s12, s0
	s_wait_xcnt 0x0
	s_add_co_i32 s6, s5, 1
	s_cmp_ge_u32 s0, s2
	s_cselect_b32 s0, s6, s5
	s_mov_b32 s5, s1
	s_add_co_i32 s1, s0, 1
	s_branch .LBB203_2
.LBB203_1:                              ;   in Loop: Header=BB203_2 Depth=1
	s_or_b32 exec_lo, exec_lo, s0
	v_cmp_gt_u32_e32 vcc_lo, s3, v68
	v_cmp_gt_u32_e64 s0, s3, v69
	s_add_co_i32 s2, s2, -1
	s_barrier_signal -1
	v_dual_cndmask_b32 v101, 0, v9, vcc_lo :: v_dual_cndmask_b32 v103, 0, v7, s0
	v_dual_cndmask_b32 v100, 0, v8, vcc_lo :: v_dual_cndmask_b32 v102, 0, v6, s0
	v_cmp_gt_u32_e32 vcc_lo, s3, v70
	v_cmp_gt_u32_e64 s0, s3, v71
	s_barrier_wait -1
	s_delay_alu instid0(VALU_DEP_3)
	v_sub_nc_u64_e32 v[100:101], v[2:3], v[100:101]
	v_sub_nc_u64_e32 v[102:103], v[8:9], v[102:103]
	v_dual_cndmask_b32 v105, 0, v5 :: v_dual_cndmask_b32 v104, 0, v4
	v_cmp_gt_u32_e32 vcc_lo, s3, v72
	v_dual_cndmask_b32 v107, 0, v11, s0 :: v_dual_cndmask_b32 v106, 0, v10, s0
	v_cmp_gt_u32_e64 s0, s3, v73
	s_delay_alu instid0(VALU_DEP_4)
	v_sub_nc_u64_e32 v[104:105], v[6:7], v[104:105]
	v_dual_cndmask_b32 v109, 0, v13 :: v_dual_cndmask_b32 v108, 0, v12
	v_cmp_gt_u32_e32 vcc_lo, s3, v74
	v_add_nc_u64_e32 v[2:3], v[100:101], v[2:3]
	v_dual_cndmask_b32 v101, 0, v15, s0 :: v_dual_cndmask_b32 v100, 0, v14, s0
	v_sub_nc_u64_e32 v[106:107], v[4:5], v[106:107]
	v_cmp_gt_u32_e64 s0, s3, v75
	v_add_nc_u64_e32 v[8:9], v[102:103], v[8:9]
	v_dual_cndmask_b32 v103, 0, v17 :: v_dual_cndmask_b32 v102, 0, v16
	v_cmp_gt_u32_e32 vcc_lo, s3, v76
	v_sub_nc_u64_e32 v[108:109], v[10:11], v[108:109]
	v_sub_nc_u64_e32 v[100:101], v[12:13], v[100:101]
	v_add_nc_u64_e32 v[6:7], v[104:105], v[6:7]
	v_dual_cndmask_b32 v105, 0, v19, s0 :: v_dual_cndmask_b32 v104, 0, v18, s0
	v_cmp_gt_u32_e64 s0, s3, v77
	v_add_nc_u64_e32 v[4:5], v[106:107], v[4:5]
	v_dual_cndmask_b32 v107, 0, v21 :: v_dual_cndmask_b32 v106, 0, v20
	v_cmp_gt_u32_e32 vcc_lo, s3, v78
	v_sub_nc_u64_e32 v[102:103], v[14:15], v[102:103]
	v_add_nc_u64_e32 v[10:11], v[108:109], v[10:11]
	v_dual_cndmask_b32 v109, 0, v23, s0 :: v_dual_cndmask_b32 v108, 0, v22, s0
	v_sub_nc_u64_e32 v[104:105], v[16:17], v[104:105]
	v_cmp_gt_u32_e64 s0, s3, v79
	v_add_nc_u64_e32 v[12:13], v[100:101], v[12:13]
	v_dual_cndmask_b32 v101, 0, v25 :: v_dual_cndmask_b32 v100, 0, v24
	v_cmp_gt_u32_e32 vcc_lo, s3, v80
	v_sub_nc_u64_e32 v[106:107], v[18:19], v[106:107]
	v_sub_nc_u64_e32 v[108:109], v[20:21], v[108:109]
	v_add_nc_u64_e32 v[14:15], v[102:103], v[14:15]
	v_dual_cndmask_b32 v103, 0, v65, s0 :: v_dual_cndmask_b32 v102, 0, v64, s0
	v_cmp_gt_u32_e64 s0, s3, v81
	v_add_nc_u64_e32 v[16:17], v[104:105], v[16:17]
	v_dual_cndmask_b32 v105, 0, v63 :: v_dual_cndmask_b32 v104, 0, v62
	v_cmp_gt_u32_e32 vcc_lo, s3, v82
	v_sub_nc_u64_e32 v[100:101], v[22:23], v[100:101]
	;; [unrolled: 16-line block ×4, first 2 shown]
	v_add_nc_u64_e32 v[56:57], v[102:103], v[56:57]
	v_dual_cndmask_b32 v103, 0, v45, s0 :: v_dual_cndmask_b32 v102, 0, v44, s0
	v_sub_nc_u64_e32 v[108:109], v[50:51], v[108:109]
	v_cmp_gt_u32_e64 s0, s3, v91
	v_add_nc_u64_e32 v[54:55], v[104:105], v[54:55]
	v_dual_cndmask_b32 v105, 0, v43 :: v_dual_cndmask_b32 v104, 0, v42
	v_cmp_gt_u32_e32 vcc_lo, s3, v92
	v_sub_nc_u64_e32 v[100:101], v[48:49], v[100:101]
	v_sub_nc_u64_e32 v[102:103], v[46:47], v[102:103]
	v_add_nc_u64_e32 v[52:53], v[106:107], v[52:53]
	v_dual_cndmask_b32 v107, 0, v41, s0 :: v_dual_cndmask_b32 v106, 0, v40, s0
	v_cmp_gt_u32_e64 s0, s3, v93
	v_add_nc_u64_e32 v[50:51], v[108:109], v[50:51]
	v_dual_cndmask_b32 v109, 0, v39 :: v_dual_cndmask_b32 v108, 0, v38
	v_cmp_gt_u32_e32 vcc_lo, s3, v94
	v_add_nc_u64_e32 v[48:49], v[100:101], v[48:49]
	v_dual_cndmask_b32 v101, 0, v37, s0 :: v_dual_cndmask_b32 v100, 0, v36, s0
	v_sub_nc_u64_e32 v[104:105], v[44:45], v[104:105]
	v_sub_nc_u64_e32 v[106:107], v[42:43], v[106:107]
	v_add_nc_u64_e32 v[46:47], v[102:103], v[46:47]
	v_dual_cndmask_b32 v103, 0, v35 :: v_dual_cndmask_b32 v102, 0, v34
	v_cmp_gt_u32_e64 s0, s3, v95
	v_cmp_gt_u32_e32 vcc_lo, s3, v96
	v_sub_nc_u64_e32 v[108:109], v[40:41], v[108:109]
	v_sub_nc_u64_e32 v[100:101], v[38:39], v[100:101]
	v_add_nc_u64_e32 v[44:45], v[104:105], v[44:45]
	v_dual_cndmask_b32 v105, 0, v33, s0 :: v_dual_cndmask_b32 v104, 0, v32, s0
	v_add_nc_u64_e32 v[42:43], v[106:107], v[42:43]
	v_dual_cndmask_b32 v107, 0, v31 :: v_dual_cndmask_b32 v106, 0, v30
	v_cmp_gt_u32_e64 s0, s3, v97
	v_cmp_gt_u32_e32 vcc_lo, s3, v98
	v_add_nc_u64_e32 v[40:41], v[108:109], v[40:41]
	v_add_nc_u64_e32 v[38:39], v[100:101], v[38:39]
	v_sub_nc_u64_e32 v[102:103], v[36:37], v[102:103]
	v_dual_cndmask_b32 v109, 0, v29, s0 :: v_dual_cndmask_b32 v108, 0, v28, s0
	v_dual_cndmask_b32 v101, 0, v27 :: v_dual_cndmask_b32 v100, 0, v26
	v_sub_nc_u64_e32 v[104:105], v[34:35], v[104:105]
	v_sub_nc_u64_e32 v[106:107], v[32:33], v[106:107]
	s_delay_alu instid0(VALU_DEP_4)
	v_sub_nc_u64_e32 v[108:109], v[30:31], v[108:109]
	v_add_nc_u64_e32 v[36:37], v[102:103], v[36:37]
	v_sub_nc_u64_e32 v[100:101], v[28:29], v[100:101]
	v_add_nc_u64_e32 v[26:27], v[66:67], v[26:27]
	s_add_co_i32 s0, s1, s3
	v_add_nc_u64_e32 v[34:35], v[104:105], v[34:35]
	v_add_nc_u64_e32 v[32:33], v[106:107], v[32:33]
	;; [unrolled: 1-line block ×3, first 2 shown]
	s_and_b32 s3, s0, 0x1fff
	v_add_nc_u64_e32 v[28:29], v[100:101], v[28:29]
	s_cmp_lg_u32 s2, 0
	s_cbranch_scc0 .LBB203_4
.LBB203_2:                              ; =>This Inner Loop Header: Depth=1
	s_wait_loadcnt 0x0
	v_mov_b64_e32 v[66:67], v[26:27]
	s_mov_b32 s0, exec_lo
	ds_store_b64 v1, v[2:3] offset:2048
	s_wait_dscnt 0x0
	s_barrier_signal -1
	s_barrier_wait -1
	s_wait_kmcnt 0x0
	v_cmpx_gt_u32_e64 s3, v99
	s_cbranch_execz .LBB203_1
; %bb.3:                                ;   in Loop: Header=BB203_2 Depth=1
	ds_load_b64 v[66:67], v1 offset:2056
	s_wait_dscnt 0x0
	v_sub_nc_u64_e32 v[66:67], v[26:27], v[66:67]
	s_branch .LBB203_1
.LBB203_4:
	s_add_nc_u64 s[0:1], s[4:5], s[8:9]
	s_clause 0x1f
	global_store_b64 v0, v[2:3], s[0:1] scale_offset
	global_store_b64 v0, v[8:9], s[0:1] offset:2048 scale_offset
	global_store_b64 v0, v[6:7], s[0:1] offset:4096 scale_offset
	;; [unrolled: 1-line block ×31, first 2 shown]
	s_sendmsg sendmsg(MSG_DEALLOC_VGPRS)
	s_endpgm
	.section	.rodata,"a",@progbits
	.p2align	6, 0x0
	.amdhsa_kernel _Z6kernelI27subtract_right_partial_tileLj256ELj32ELb0EJPxPiS1_jEEvDpT3_
		.amdhsa_group_segment_fixed_size 4096
		.amdhsa_private_segment_fixed_size 0
		.amdhsa_kernarg_size 28
		.amdhsa_user_sgpr_count 2
		.amdhsa_user_sgpr_dispatch_ptr 0
		.amdhsa_user_sgpr_queue_ptr 0
		.amdhsa_user_sgpr_kernarg_segment_ptr 1
		.amdhsa_user_sgpr_dispatch_id 0
		.amdhsa_user_sgpr_kernarg_preload_length 0
		.amdhsa_user_sgpr_kernarg_preload_offset 0
		.amdhsa_user_sgpr_private_segment_size 0
		.amdhsa_wavefront_size32 1
		.amdhsa_uses_dynamic_stack 0
		.amdhsa_enable_private_segment 0
		.amdhsa_system_sgpr_workgroup_id_x 1
		.amdhsa_system_sgpr_workgroup_id_y 0
		.amdhsa_system_sgpr_workgroup_id_z 0
		.amdhsa_system_sgpr_workgroup_info 0
		.amdhsa_system_vgpr_workitem_id 0
		.amdhsa_next_free_vgpr 110
		.amdhsa_next_free_sgpr 13
		.amdhsa_named_barrier_count 0
		.amdhsa_reserve_vcc 1
		.amdhsa_float_round_mode_32 0
		.amdhsa_float_round_mode_16_64 0
		.amdhsa_float_denorm_mode_32 3
		.amdhsa_float_denorm_mode_16_64 3
		.amdhsa_fp16_overflow 0
		.amdhsa_memory_ordered 1
		.amdhsa_forward_progress 1
		.amdhsa_inst_pref_size 16
		.amdhsa_round_robin_scheduling 0
		.amdhsa_exception_fp_ieee_invalid_op 0
		.amdhsa_exception_fp_denorm_src 0
		.amdhsa_exception_fp_ieee_div_zero 0
		.amdhsa_exception_fp_ieee_overflow 0
		.amdhsa_exception_fp_ieee_underflow 0
		.amdhsa_exception_fp_ieee_inexact 0
		.amdhsa_exception_int_div_zero 0
	.end_amdhsa_kernel
	.section	.text._Z6kernelI27subtract_right_partial_tileLj256ELj32ELb0EJPxPiS1_jEEvDpT3_,"axG",@progbits,_Z6kernelI27subtract_right_partial_tileLj256ELj32ELb0EJPxPiS1_jEEvDpT3_,comdat
.Lfunc_end203:
	.size	_Z6kernelI27subtract_right_partial_tileLj256ELj32ELb0EJPxPiS1_jEEvDpT3_, .Lfunc_end203-_Z6kernelI27subtract_right_partial_tileLj256ELj32ELb0EJPxPiS1_jEEvDpT3_
                                        ; -- End function
	.set _Z6kernelI27subtract_right_partial_tileLj256ELj32ELb0EJPxPiS1_jEEvDpT3_.num_vgpr, 110
	.set _Z6kernelI27subtract_right_partial_tileLj256ELj32ELb0EJPxPiS1_jEEvDpT3_.num_agpr, 0
	.set _Z6kernelI27subtract_right_partial_tileLj256ELj32ELb0EJPxPiS1_jEEvDpT3_.numbered_sgpr, 13
	.set _Z6kernelI27subtract_right_partial_tileLj256ELj32ELb0EJPxPiS1_jEEvDpT3_.num_named_barrier, 0
	.set _Z6kernelI27subtract_right_partial_tileLj256ELj32ELb0EJPxPiS1_jEEvDpT3_.private_seg_size, 0
	.set _Z6kernelI27subtract_right_partial_tileLj256ELj32ELb0EJPxPiS1_jEEvDpT3_.uses_vcc, 1
	.set _Z6kernelI27subtract_right_partial_tileLj256ELj32ELb0EJPxPiS1_jEEvDpT3_.uses_flat_scratch, 0
	.set _Z6kernelI27subtract_right_partial_tileLj256ELj32ELb0EJPxPiS1_jEEvDpT3_.has_dyn_sized_stack, 0
	.set _Z6kernelI27subtract_right_partial_tileLj256ELj32ELb0EJPxPiS1_jEEvDpT3_.has_recursion, 0
	.set _Z6kernelI27subtract_right_partial_tileLj256ELj32ELb0EJPxPiS1_jEEvDpT3_.has_indirect_call, 0
	.section	.AMDGPU.csdata,"",@progbits
; Kernel info:
; codeLenInByte = 2004
; TotalNumSgprs: 15
; NumVgprs: 110
; ScratchSize: 0
; MemoryBound: 0
; FloatMode: 240
; IeeeMode: 1
; LDSByteSize: 4096 bytes/workgroup (compile time only)
; SGPRBlocks: 0
; VGPRBlocks: 6
; NumSGPRsForWavesPerEU: 15
; NumVGPRsForWavesPerEU: 110
; NamedBarCnt: 0
; Occupancy: 9
; WaveLimiterHint : 1
; COMPUTE_PGM_RSRC2:SCRATCH_EN: 0
; COMPUTE_PGM_RSRC2:USER_SGPR: 2
; COMPUTE_PGM_RSRC2:TRAP_HANDLER: 0
; COMPUTE_PGM_RSRC2:TGID_X_EN: 1
; COMPUTE_PGM_RSRC2:TGID_Y_EN: 0
; COMPUTE_PGM_RSRC2:TGID_Z_EN: 0
; COMPUTE_PGM_RSRC2:TIDIG_COMP_CNT: 0
	.section	.text._Z6kernelI27subtract_right_partial_tileLj256ELj1ELb0EJPdPiS1_jEEvDpT3_,"axG",@progbits,_Z6kernelI27subtract_right_partial_tileLj256ELj1ELb0EJPdPiS1_jEEvDpT3_,comdat
	.protected	_Z6kernelI27subtract_right_partial_tileLj256ELj1ELb0EJPdPiS1_jEEvDpT3_ ; -- Begin function _Z6kernelI27subtract_right_partial_tileLj256ELj1ELb0EJPdPiS1_jEEvDpT3_
	.globl	_Z6kernelI27subtract_right_partial_tileLj256ELj1ELb0EJPdPiS1_jEEvDpT3_
	.p2align	8
	.type	_Z6kernelI27subtract_right_partial_tileLj256ELj1ELb0EJPdPiS1_jEEvDpT3_,@function
_Z6kernelI27subtract_right_partial_tileLj256ELj1ELb0EJPdPiS1_jEEvDpT3_: ; @_Z6kernelI27subtract_right_partial_tileLj256ELj1ELb0EJPdPiS1_jEEvDpT3_
; %bb.0:
	s_load_b128 s[8:11], s[0:1], 0x0
	s_bfe_u32 s2, ttmp6, 0x4000c
	s_and_b32 s3, ttmp6, 15
	s_add_co_i32 s2, s2, 1
	s_getreg_b32 s4, hwreg(HW_REG_IB_STS2, 6, 4)
	s_mul_i32 s2, ttmp9, s2
	v_add_nc_u32_e32 v6, 1, v0
	s_add_co_i32 s3, s3, s2
	s_cmp_eq_u32 s4, 0
	s_cselect_b32 s12, ttmp9, s3
	s_mov_b32 s3, 0
	s_lshl_b32 s2, s12, 8
	s_delay_alu instid0(SALU_CYCLE_1)
	s_lshl_b64 s[4:5], s[2:3], 3
	s_wait_xcnt 0x0
	s_load_b96 s[0:2], s[0:1], 0x10
	s_wait_kmcnt 0x0
	s_add_nc_u64 s[6:7], s[8:9], s[4:5]
	global_load_b64 v[2:3], v0, s[6:7] scale_offset
	s_cvt_f32_u32 s3, s2
	s_wait_xcnt 0x0
	s_sub_co_i32 s6, 0, s2
	s_delay_alu instid0(SALU_CYCLE_1) | instskip(SKIP_1) | instid1(TRANS32_DEP_1)
	v_rcp_iflag_f32_e32 v1, s3
	v_nop
	v_readfirstlane_b32 s3, v1
	v_lshlrev_b32_e32 v1, 3, v0
	s_mul_f32 s3, s3, 0x4f7ffffe
	s_delay_alu instid0(SALU_CYCLE_3) | instskip(NEXT) | instid1(SALU_CYCLE_3)
	s_cvt_u32_f32 s3, s3
	s_mul_i32 s6, s6, s3
	s_delay_alu instid0(SALU_CYCLE_1) | instskip(NEXT) | instid1(SALU_CYCLE_1)
	s_mul_hi_u32 s6, s3, s6
	s_add_co_i32 s6, s3, s6
	s_load_b32 s3, s[10:11], s12 offset:0x0 scale_offset
	s_lshr_b32 s6, s6, 24
	s_delay_alu instid0(SALU_CYCLE_1) | instskip(SKIP_2) | instid1(SALU_CYCLE_1)
	s_mul_i32 s7, s6, s2
	s_add_co_i32 s8, s6, 1
	s_sub_co_i32 s7, 0x100, s7
	s_sub_co_i32 s9, s7, s2
	s_cmp_ge_u32 s7, s2
	s_cselect_b32 s6, s8, s6
	s_cselect_b32 s7, s9, s7
	s_add_co_i32 s8, s6, 1
	s_cmp_ge_u32 s7, s2
	s_cselect_b32 s6, s8, s6
	s_delay_alu instid0(SALU_CYCLE_1)
	s_add_co_i32 s6, s6, 1
	s_branch .LBB204_2
.LBB204_1:                              ;   in Loop: Header=BB204_2 Depth=1
	s_or_b32 exec_lo, exec_lo, s7
	s_delay_alu instid0(VALU_DEP_1)
	v_add_f64_e32 v[2:3], v[2:3], v[4:5]
	s_add_co_i32 s3, s6, s3
	s_add_co_i32 s2, s2, -1
	s_and_b32 s3, s3, 0xff
	s_cmp_lg_u32 s2, 0
	s_barrier_signal -1
	s_barrier_wait -1
	s_cbranch_scc0 .LBB204_4
.LBB204_2:                              ; =>This Inner Loop Header: Depth=1
	s_wait_loadcnt 0x0
	s_delay_alu instid0(VALU_DEP_1)
	v_mov_b64_e32 v[4:5], v[2:3]
	s_mov_b32 s7, exec_lo
	ds_store_b64 v1, v[2:3] offset:2048
	s_wait_dscnt 0x0
	s_barrier_signal -1
	s_barrier_wait -1
	s_wait_kmcnt 0x0
	v_cmpx_gt_u32_e64 s3, v6
	s_cbranch_execz .LBB204_1
; %bb.3:                                ;   in Loop: Header=BB204_2 Depth=1
	ds_load_b64 v[4:5], v1 offset:2056
	s_wait_dscnt 0x0
	v_add_f64_e64 v[4:5], v[2:3], -v[4:5]
	s_branch .LBB204_1
.LBB204_4:
	s_add_nc_u64 s[0:1], s[0:1], s[4:5]
	global_store_b64 v0, v[2:3], s[0:1] scale_offset
	s_endpgm
	.section	.rodata,"a",@progbits
	.p2align	6, 0x0
	.amdhsa_kernel _Z6kernelI27subtract_right_partial_tileLj256ELj1ELb0EJPdPiS1_jEEvDpT3_
		.amdhsa_group_segment_fixed_size 4096
		.amdhsa_private_segment_fixed_size 0
		.amdhsa_kernarg_size 28
		.amdhsa_user_sgpr_count 2
		.amdhsa_user_sgpr_dispatch_ptr 0
		.amdhsa_user_sgpr_queue_ptr 0
		.amdhsa_user_sgpr_kernarg_segment_ptr 1
		.amdhsa_user_sgpr_dispatch_id 0
		.amdhsa_user_sgpr_kernarg_preload_length 0
		.amdhsa_user_sgpr_kernarg_preload_offset 0
		.amdhsa_user_sgpr_private_segment_size 0
		.amdhsa_wavefront_size32 1
		.amdhsa_uses_dynamic_stack 0
		.amdhsa_enable_private_segment 0
		.amdhsa_system_sgpr_workgroup_id_x 1
		.amdhsa_system_sgpr_workgroup_id_y 0
		.amdhsa_system_sgpr_workgroup_id_z 0
		.amdhsa_system_sgpr_workgroup_info 0
		.amdhsa_system_vgpr_workitem_id 0
		.amdhsa_next_free_vgpr 7
		.amdhsa_next_free_sgpr 13
		.amdhsa_named_barrier_count 0
		.amdhsa_reserve_vcc 0
		.amdhsa_float_round_mode_32 0
		.amdhsa_float_round_mode_16_64 0
		.amdhsa_float_denorm_mode_32 3
		.amdhsa_float_denorm_mode_16_64 3
		.amdhsa_fp16_overflow 0
		.amdhsa_memory_ordered 1
		.amdhsa_forward_progress 1
		.amdhsa_inst_pref_size 3
		.amdhsa_round_robin_scheduling 0
		.amdhsa_exception_fp_ieee_invalid_op 0
		.amdhsa_exception_fp_denorm_src 0
		.amdhsa_exception_fp_ieee_div_zero 0
		.amdhsa_exception_fp_ieee_overflow 0
		.amdhsa_exception_fp_ieee_underflow 0
		.amdhsa_exception_fp_ieee_inexact 0
		.amdhsa_exception_int_div_zero 0
	.end_amdhsa_kernel
	.section	.text._Z6kernelI27subtract_right_partial_tileLj256ELj1ELb0EJPdPiS1_jEEvDpT3_,"axG",@progbits,_Z6kernelI27subtract_right_partial_tileLj256ELj1ELb0EJPdPiS1_jEEvDpT3_,comdat
.Lfunc_end204:
	.size	_Z6kernelI27subtract_right_partial_tileLj256ELj1ELb0EJPdPiS1_jEEvDpT3_, .Lfunc_end204-_Z6kernelI27subtract_right_partial_tileLj256ELj1ELb0EJPdPiS1_jEEvDpT3_
                                        ; -- End function
	.set _Z6kernelI27subtract_right_partial_tileLj256ELj1ELb0EJPdPiS1_jEEvDpT3_.num_vgpr, 7
	.set _Z6kernelI27subtract_right_partial_tileLj256ELj1ELb0EJPdPiS1_jEEvDpT3_.num_agpr, 0
	.set _Z6kernelI27subtract_right_partial_tileLj256ELj1ELb0EJPdPiS1_jEEvDpT3_.numbered_sgpr, 13
	.set _Z6kernelI27subtract_right_partial_tileLj256ELj1ELb0EJPdPiS1_jEEvDpT3_.num_named_barrier, 0
	.set _Z6kernelI27subtract_right_partial_tileLj256ELj1ELb0EJPdPiS1_jEEvDpT3_.private_seg_size, 0
	.set _Z6kernelI27subtract_right_partial_tileLj256ELj1ELb0EJPdPiS1_jEEvDpT3_.uses_vcc, 0
	.set _Z6kernelI27subtract_right_partial_tileLj256ELj1ELb0EJPdPiS1_jEEvDpT3_.uses_flat_scratch, 0
	.set _Z6kernelI27subtract_right_partial_tileLj256ELj1ELb0EJPdPiS1_jEEvDpT3_.has_dyn_sized_stack, 0
	.set _Z6kernelI27subtract_right_partial_tileLj256ELj1ELb0EJPdPiS1_jEEvDpT3_.has_recursion, 0
	.set _Z6kernelI27subtract_right_partial_tileLj256ELj1ELb0EJPdPiS1_jEEvDpT3_.has_indirect_call, 0
	.section	.AMDGPU.csdata,"",@progbits
; Kernel info:
; codeLenInByte = 372
; TotalNumSgprs: 13
; NumVgprs: 7
; ScratchSize: 0
; MemoryBound: 0
; FloatMode: 240
; IeeeMode: 1
; LDSByteSize: 4096 bytes/workgroup (compile time only)
; SGPRBlocks: 0
; VGPRBlocks: 0
; NumSGPRsForWavesPerEU: 13
; NumVGPRsForWavesPerEU: 7
; NamedBarCnt: 0
; Occupancy: 16
; WaveLimiterHint : 0
; COMPUTE_PGM_RSRC2:SCRATCH_EN: 0
; COMPUTE_PGM_RSRC2:USER_SGPR: 2
; COMPUTE_PGM_RSRC2:TRAP_HANDLER: 0
; COMPUTE_PGM_RSRC2:TGID_X_EN: 1
; COMPUTE_PGM_RSRC2:TGID_Y_EN: 0
; COMPUTE_PGM_RSRC2:TGID_Z_EN: 0
; COMPUTE_PGM_RSRC2:TIDIG_COMP_CNT: 0
	.section	.text._Z6kernelI27subtract_right_partial_tileLj256ELj3ELb0EJPdPiS1_jEEvDpT3_,"axG",@progbits,_Z6kernelI27subtract_right_partial_tileLj256ELj3ELb0EJPdPiS1_jEEvDpT3_,comdat
	.protected	_Z6kernelI27subtract_right_partial_tileLj256ELj3ELb0EJPdPiS1_jEEvDpT3_ ; -- Begin function _Z6kernelI27subtract_right_partial_tileLj256ELj3ELb0EJPdPiS1_jEEvDpT3_
	.globl	_Z6kernelI27subtract_right_partial_tileLj256ELj3ELb0EJPdPiS1_jEEvDpT3_
	.p2align	8
	.type	_Z6kernelI27subtract_right_partial_tileLj256ELj3ELb0EJPdPiS1_jEEvDpT3_,@function
_Z6kernelI27subtract_right_partial_tileLj256ELj3ELb0EJPdPiS1_jEEvDpT3_: ; @_Z6kernelI27subtract_right_partial_tileLj256ELj3ELb0EJPdPiS1_jEEvDpT3_
; %bb.0:
	s_load_b128 s[8:11], s[0:1], 0x0
	s_bfe_u32 s2, ttmp6, 0x4000c
	s_and_b32 s3, ttmp6, 15
	s_add_co_i32 s2, s2, 1
	s_getreg_b32 s4, hwreg(HW_REG_IB_STS2, 6, 4)
	s_mul_i32 s2, ttmp9, s2
	v_mad_u32_u24 v10, v0, 3, 1
	s_add_co_i32 s3, s3, s2
	s_cmp_eq_u32 s4, 0
	v_mad_u32_u24 v11, v0, 3, 2
	s_cselect_b32 s12, ttmp9, s3
	s_mov_b32 s3, 0
	s_mul_i32 s2, s12, 0x300
	v_mad_u32_u24 v12, v0, 3, 3
	s_lshl_b64 s[4:5], s[2:3], 3
	s_wait_xcnt 0x0
	s_load_b96 s[0:2], s[0:1], 0x10
	s_wait_kmcnt 0x0
	s_add_nc_u64 s[6:7], s[8:9], s[4:5]
	s_clause 0x2
	global_load_b64 v[2:3], v0, s[6:7] scale_offset
	global_load_b64 v[4:5], v0, s[6:7] offset:2048 scale_offset
	global_load_b64 v[6:7], v0, s[6:7] offset:4096 scale_offset
	s_cvt_f32_u32 s3, s2
	s_wait_xcnt 0x0
	s_sub_co_i32 s6, 0, s2
	s_delay_alu instid0(SALU_CYCLE_1) | instskip(SKIP_1) | instid1(TRANS32_DEP_1)
	v_rcp_iflag_f32_e32 v1, s3
	v_nop
	v_readfirstlane_b32 s3, v1
	v_lshlrev_b32_e32 v1, 3, v0
	s_mul_f32 s3, s3, 0x4f7ffffe
	s_delay_alu instid0(SALU_CYCLE_3) | instskip(NEXT) | instid1(SALU_CYCLE_3)
	s_cvt_u32_f32 s3, s3
	s_mul_i32 s6, s6, s3
	s_delay_alu instid0(SALU_CYCLE_1) | instskip(NEXT) | instid1(SALU_CYCLE_1)
	s_mul_hi_u32 s6, s3, s6
	s_add_co_i32 s3, s3, s6
	s_delay_alu instid0(SALU_CYCLE_1)
	s_mul_hi_u32 s7, s3, 0x300
	s_load_b32 s3, s[10:11], s12 offset:0x0 scale_offset
	s_mul_i32 s6, s7, s2
	s_add_co_i32 s9, s7, 1
	s_sub_co_i32 s8, 0x300, s6
	s_mov_b32 s6, s0
	s_wait_xcnt 0x0
	s_sub_co_i32 s10, s8, s2
	s_cmp_ge_u32 s8, s2
	s_cselect_b32 s0, s9, s7
	s_cselect_b32 s7, s10, s8
	s_add_co_i32 s8, s0, 1
	s_cmp_ge_u32 s7, s2
	s_mov_b32 s7, s1
	s_cselect_b32 s0, s8, s0
	s_delay_alu instid0(SALU_CYCLE_1)
	s_add_co_i32 s1, s0, 1
	s_branch .LBB205_2
.LBB205_1:                              ;   in Loop: Header=BB205_2 Depth=1
	s_or_b32 exec_lo, exec_lo, s0
	v_add_f64_e64 v[14:15], v[2:3], -v[4:5]
	v_add_f64_e64 v[16:17], v[4:5], -v[6:7]
	v_cmp_gt_u32_e32 vcc_lo, s3, v10
	v_cmp_gt_u32_e64 s0, s3, v11
	v_add_f64_e32 v[6:7], v[6:7], v[8:9]
	s_add_co_i32 s2, s2, -1
	s_barrier_signal -1
	s_barrier_wait -1
	v_dual_cndmask_b32 v15, v3, v15 :: v_dual_cndmask_b32 v14, v2, v14
	v_dual_cndmask_b32 v17, v5, v17, s0 :: v_dual_cndmask_b32 v16, v4, v16, s0
	s_add_co_i32 s0, s1, s3
	s_delay_alu instid0(VALU_DEP_2) | instskip(SKIP_1) | instid1(VALU_DEP_2)
	v_add_f64_e32 v[2:3], v[2:3], v[14:15]
	s_mul_hi_u32 s3, s0, 0xaaaaaaab
	v_add_f64_e32 v[4:5], v[4:5], v[16:17]
	s_lshr_b32 s3, s3, 9
	s_delay_alu instid0(SALU_CYCLE_1) | instskip(NEXT) | instid1(SALU_CYCLE_1)
	s_mulk_i32 s3, 0x300
	s_sub_co_i32 s3, s0, s3
	s_cmp_lg_u32 s2, 0
	s_cbranch_scc0 .LBB205_4
.LBB205_2:                              ; =>This Inner Loop Header: Depth=1
	s_wait_loadcnt 0x0
	v_mov_b64_e32 v[8:9], v[6:7]
	s_mov_b32 s0, exec_lo
	ds_store_b64 v1, v[2:3] offset:2048
	s_wait_dscnt 0x0
	s_barrier_signal -1
	s_barrier_wait -1
	s_wait_kmcnt 0x0
	v_cmpx_gt_u32_e64 s3, v12
	s_cbranch_execz .LBB205_1
; %bb.3:                                ;   in Loop: Header=BB205_2 Depth=1
	ds_load_b64 v[8:9], v1 offset:2056
	s_wait_dscnt 0x0
	v_add_f64_e64 v[8:9], v[6:7], -v[8:9]
	s_branch .LBB205_1
.LBB205_4:
	s_add_nc_u64 s[0:1], s[6:7], s[4:5]
	s_clause 0x2
	global_store_b64 v0, v[2:3], s[0:1] scale_offset
	global_store_b64 v0, v[4:5], s[0:1] offset:2048 scale_offset
	global_store_b64 v0, v[6:7], s[0:1] offset:4096 scale_offset
	s_endpgm
	.section	.rodata,"a",@progbits
	.p2align	6, 0x0
	.amdhsa_kernel _Z6kernelI27subtract_right_partial_tileLj256ELj3ELb0EJPdPiS1_jEEvDpT3_
		.amdhsa_group_segment_fixed_size 4096
		.amdhsa_private_segment_fixed_size 0
		.amdhsa_kernarg_size 28
		.amdhsa_user_sgpr_count 2
		.amdhsa_user_sgpr_dispatch_ptr 0
		.amdhsa_user_sgpr_queue_ptr 0
		.amdhsa_user_sgpr_kernarg_segment_ptr 1
		.amdhsa_user_sgpr_dispatch_id 0
		.amdhsa_user_sgpr_kernarg_preload_length 0
		.amdhsa_user_sgpr_kernarg_preload_offset 0
		.amdhsa_user_sgpr_private_segment_size 0
		.amdhsa_wavefront_size32 1
		.amdhsa_uses_dynamic_stack 0
		.amdhsa_enable_private_segment 0
		.amdhsa_system_sgpr_workgroup_id_x 1
		.amdhsa_system_sgpr_workgroup_id_y 0
		.amdhsa_system_sgpr_workgroup_id_z 0
		.amdhsa_system_sgpr_workgroup_info 0
		.amdhsa_system_vgpr_workitem_id 0
		.amdhsa_next_free_vgpr 18
		.amdhsa_next_free_sgpr 13
		.amdhsa_named_barrier_count 0
		.amdhsa_reserve_vcc 1
		.amdhsa_float_round_mode_32 0
		.amdhsa_float_round_mode_16_64 0
		.amdhsa_float_denorm_mode_32 3
		.amdhsa_float_denorm_mode_16_64 3
		.amdhsa_fp16_overflow 0
		.amdhsa_memory_ordered 1
		.amdhsa_forward_progress 1
		.amdhsa_inst_pref_size 5
		.amdhsa_round_robin_scheduling 0
		.amdhsa_exception_fp_ieee_invalid_op 0
		.amdhsa_exception_fp_denorm_src 0
		.amdhsa_exception_fp_ieee_div_zero 0
		.amdhsa_exception_fp_ieee_overflow 0
		.amdhsa_exception_fp_ieee_underflow 0
		.amdhsa_exception_fp_ieee_inexact 0
		.amdhsa_exception_int_div_zero 0
	.end_amdhsa_kernel
	.section	.text._Z6kernelI27subtract_right_partial_tileLj256ELj3ELb0EJPdPiS1_jEEvDpT3_,"axG",@progbits,_Z6kernelI27subtract_right_partial_tileLj256ELj3ELb0EJPdPiS1_jEEvDpT3_,comdat
.Lfunc_end205:
	.size	_Z6kernelI27subtract_right_partial_tileLj256ELj3ELb0EJPdPiS1_jEEvDpT3_, .Lfunc_end205-_Z6kernelI27subtract_right_partial_tileLj256ELj3ELb0EJPdPiS1_jEEvDpT3_
                                        ; -- End function
	.set _Z6kernelI27subtract_right_partial_tileLj256ELj3ELb0EJPdPiS1_jEEvDpT3_.num_vgpr, 18
	.set _Z6kernelI27subtract_right_partial_tileLj256ELj3ELb0EJPdPiS1_jEEvDpT3_.num_agpr, 0
	.set _Z6kernelI27subtract_right_partial_tileLj256ELj3ELb0EJPdPiS1_jEEvDpT3_.numbered_sgpr, 13
	.set _Z6kernelI27subtract_right_partial_tileLj256ELj3ELb0EJPdPiS1_jEEvDpT3_.num_named_barrier, 0
	.set _Z6kernelI27subtract_right_partial_tileLj256ELj3ELb0EJPdPiS1_jEEvDpT3_.private_seg_size, 0
	.set _Z6kernelI27subtract_right_partial_tileLj256ELj3ELb0EJPdPiS1_jEEvDpT3_.uses_vcc, 1
	.set _Z6kernelI27subtract_right_partial_tileLj256ELj3ELb0EJPdPiS1_jEEvDpT3_.uses_flat_scratch, 0
	.set _Z6kernelI27subtract_right_partial_tileLj256ELj3ELb0EJPdPiS1_jEEvDpT3_.has_dyn_sized_stack, 0
	.set _Z6kernelI27subtract_right_partial_tileLj256ELj3ELb0EJPdPiS1_jEEvDpT3_.has_recursion, 0
	.set _Z6kernelI27subtract_right_partial_tileLj256ELj3ELb0EJPdPiS1_jEEvDpT3_.has_indirect_call, 0
	.section	.AMDGPU.csdata,"",@progbits
; Kernel info:
; codeLenInByte = 532
; TotalNumSgprs: 15
; NumVgprs: 18
; ScratchSize: 0
; MemoryBound: 0
; FloatMode: 240
; IeeeMode: 1
; LDSByteSize: 4096 bytes/workgroup (compile time only)
; SGPRBlocks: 0
; VGPRBlocks: 1
; NumSGPRsForWavesPerEU: 15
; NumVGPRsForWavesPerEU: 18
; NamedBarCnt: 0
; Occupancy: 16
; WaveLimiterHint : 1
; COMPUTE_PGM_RSRC2:SCRATCH_EN: 0
; COMPUTE_PGM_RSRC2:USER_SGPR: 2
; COMPUTE_PGM_RSRC2:TRAP_HANDLER: 0
; COMPUTE_PGM_RSRC2:TGID_X_EN: 1
; COMPUTE_PGM_RSRC2:TGID_Y_EN: 0
; COMPUTE_PGM_RSRC2:TGID_Z_EN: 0
; COMPUTE_PGM_RSRC2:TIDIG_COMP_CNT: 0
	.section	.text._Z6kernelI27subtract_right_partial_tileLj256ELj4ELb0EJPdPiS1_jEEvDpT3_,"axG",@progbits,_Z6kernelI27subtract_right_partial_tileLj256ELj4ELb0EJPdPiS1_jEEvDpT3_,comdat
	.protected	_Z6kernelI27subtract_right_partial_tileLj256ELj4ELb0EJPdPiS1_jEEvDpT3_ ; -- Begin function _Z6kernelI27subtract_right_partial_tileLj256ELj4ELb0EJPdPiS1_jEEvDpT3_
	.globl	_Z6kernelI27subtract_right_partial_tileLj256ELj4ELb0EJPdPiS1_jEEvDpT3_
	.p2align	8
	.type	_Z6kernelI27subtract_right_partial_tileLj256ELj4ELb0EJPdPiS1_jEEvDpT3_,@function
_Z6kernelI27subtract_right_partial_tileLj256ELj4ELb0EJPdPiS1_jEEvDpT3_: ; @_Z6kernelI27subtract_right_partial_tileLj256ELj4ELb0EJPdPiS1_jEEvDpT3_
; %bb.0:
	s_load_b128 s[8:11], s[0:1], 0x0
	s_bfe_u32 s2, ttmp6, 0x4000c
	s_and_b32 s3, ttmp6, 15
	s_add_co_i32 s2, s2, 1
	s_getreg_b32 s4, hwreg(HW_REG_IB_STS2, 6, 4)
	s_mul_i32 s2, ttmp9, s2
	v_lshlrev_b32_e32 v10, 2, v0
	s_add_co_i32 s3, s3, s2
	s_cmp_eq_u32 s4, 0
	s_cselect_b32 s12, ttmp9, s3
	s_mov_b32 s3, 0
	s_lshl_b32 s2, s12, 10
	s_delay_alu instid0(SALU_CYCLE_1)
	s_lshl_b64 s[4:5], s[2:3], 3
	s_wait_xcnt 0x0
	s_load_b96 s[0:2], s[0:1], 0x10
	s_wait_kmcnt 0x0
	s_add_nc_u64 s[6:7], s[8:9], s[4:5]
	s_clause 0x3
	global_load_b64 v[2:3], v0, s[6:7] scale_offset
	global_load_b64 v[4:5], v0, s[6:7] offset:2048 scale_offset
	global_load_b64 v[6:7], v0, s[6:7] offset:4096 scale_offset
	;; [unrolled: 1-line block ×3, first 2 shown]
	s_cvt_f32_u32 s3, s2
	s_wait_xcnt 0x0
	s_sub_co_i32 s6, 0, s2
	s_delay_alu instid0(SALU_CYCLE_1) | instskip(SKIP_1) | instid1(TRANS32_DEP_1)
	v_rcp_iflag_f32_e32 v1, s3
	v_nop
	v_readfirstlane_b32 s3, v1
	v_dual_lshlrev_b32 v1, 3, v0 :: v_dual_bitop2_b32 v12, 1, v10 bitop3:0x54
	v_dual_add_nc_u32 v15, 4, v10 :: v_dual_bitop2_b32 v13, 2, v10 bitop3:0x54
	s_mul_f32 s3, s3, 0x4f7ffffe
	v_or_b32_e32 v14, 3, v10
	s_delay_alu instid0(SALU_CYCLE_2) | instskip(NEXT) | instid1(SALU_CYCLE_3)
	s_cvt_u32_f32 s3, s3
	s_mul_i32 s6, s6, s3
	s_delay_alu instid0(SALU_CYCLE_1) | instskip(NEXT) | instid1(SALU_CYCLE_1)
	s_mul_hi_u32 s6, s3, s6
	s_add_co_i32 s3, s3, s6
	s_delay_alu instid0(SALU_CYCLE_1)
	s_lshr_b32 s7, s3, 22
	s_load_b32 s3, s[10:11], s12 offset:0x0 scale_offset
	s_mul_i32 s6, s7, s2
	s_add_co_i32 s9, s7, 1
	s_sub_co_i32 s8, 0x400, s6
	s_mov_b32 s6, s0
	s_wait_xcnt 0x0
	s_sub_co_i32 s10, s8, s2
	s_cmp_ge_u32 s8, s2
	s_cselect_b32 s0, s9, s7
	s_cselect_b32 s7, s10, s8
	s_add_co_i32 s8, s0, 1
	s_cmp_ge_u32 s7, s2
	s_mov_b32 s7, s1
	s_cselect_b32 s8, s8, s0
	s_delay_alu instid0(SALU_CYCLE_1)
	s_add_co_i32 s8, s8, 1
	s_branch .LBB206_2
.LBB206_1:                              ;   in Loop: Header=BB206_2 Depth=1
	s_or_b32 exec_lo, exec_lo, s0
	v_cmp_gt_u32_e32 vcc_lo, s3, v12
	v_add_f64_e64 v[18:19], v[4:5], -v[6:7]
	v_cmp_gt_u32_e64 s0, s3, v13
	v_add_f64_e64 v[16:17], v[2:3], -v[4:5]
	v_cmp_gt_u32_e64 s1, s3, v14
	s_add_co_i32 s2, s2, -1
	s_barrier_signal -1
	s_barrier_wait -1
	v_dual_cndmask_b32 v19, v5, v19, s0 :: v_dual_cndmask_b32 v17, v3, v17, vcc_lo
	v_dual_add_f64 v[20:21], v[6:7], -v[8:9] :: v_dual_cndmask_b32 v18, v4, v18, s0
	v_dual_add_f64 v[8:9], v[8:9], v[10:11] :: v_dual_cndmask_b32 v16, v2, v16, vcc_lo
	s_add_co_i32 s0, s8, s3
	s_delay_alu instid0(SALU_CYCLE_1) | instskip(SKIP_1) | instid1(VALU_DEP_2)
	s_and_b32 s3, s0, 0x3ff
	s_cmp_lg_u32 s2, 0
	v_dual_add_f64 v[4:5], v[4:5], v[18:19] :: v_dual_cndmask_b32 v20, v6, v20, s1
	s_delay_alu instid0(VALU_DEP_3) | instskip(SKIP_1) | instid1(VALU_DEP_2)
	v_cndmask_b32_e64 v21, v7, v21, s1
	v_add_f64_e32 v[2:3], v[2:3], v[16:17]
	v_add_f64_e32 v[6:7], v[6:7], v[20:21]
	s_cbranch_scc0 .LBB206_4
.LBB206_2:                              ; =>This Inner Loop Header: Depth=1
	s_wait_loadcnt 0x0
	v_mov_b64_e32 v[10:11], v[8:9]
	s_mov_b32 s0, exec_lo
	ds_store_b64 v1, v[2:3] offset:2048
	s_wait_dscnt 0x0
	s_barrier_signal -1
	s_barrier_wait -1
	s_wait_kmcnt 0x0
	v_cmpx_gt_u32_e64 s3, v15
	s_cbranch_execz .LBB206_1
; %bb.3:                                ;   in Loop: Header=BB206_2 Depth=1
	ds_load_b64 v[10:11], v1 offset:2056
	s_wait_dscnt 0x0
	v_add_f64_e64 v[10:11], v[8:9], -v[10:11]
	s_branch .LBB206_1
.LBB206_4:
	s_add_nc_u64 s[0:1], s[6:7], s[4:5]
	s_clause 0x3
	global_store_b64 v0, v[2:3], s[0:1] scale_offset
	global_store_b64 v0, v[4:5], s[0:1] offset:2048 scale_offset
	global_store_b64 v0, v[6:7], s[0:1] offset:4096 scale_offset
	;; [unrolled: 1-line block ×3, first 2 shown]
	s_endpgm
	.section	.rodata,"a",@progbits
	.p2align	6, 0x0
	.amdhsa_kernel _Z6kernelI27subtract_right_partial_tileLj256ELj4ELb0EJPdPiS1_jEEvDpT3_
		.amdhsa_group_segment_fixed_size 4096
		.amdhsa_private_segment_fixed_size 0
		.amdhsa_kernarg_size 28
		.amdhsa_user_sgpr_count 2
		.amdhsa_user_sgpr_dispatch_ptr 0
		.amdhsa_user_sgpr_queue_ptr 0
		.amdhsa_user_sgpr_kernarg_segment_ptr 1
		.amdhsa_user_sgpr_dispatch_id 0
		.amdhsa_user_sgpr_kernarg_preload_length 0
		.amdhsa_user_sgpr_kernarg_preload_offset 0
		.amdhsa_user_sgpr_private_segment_size 0
		.amdhsa_wavefront_size32 1
		.amdhsa_uses_dynamic_stack 0
		.amdhsa_enable_private_segment 0
		.amdhsa_system_sgpr_workgroup_id_x 1
		.amdhsa_system_sgpr_workgroup_id_y 0
		.amdhsa_system_sgpr_workgroup_id_z 0
		.amdhsa_system_sgpr_workgroup_info 0
		.amdhsa_system_vgpr_workitem_id 0
		.amdhsa_next_free_vgpr 22
		.amdhsa_next_free_sgpr 13
		.amdhsa_named_barrier_count 0
		.amdhsa_reserve_vcc 1
		.amdhsa_float_round_mode_32 0
		.amdhsa_float_round_mode_16_64 0
		.amdhsa_float_denorm_mode_32 3
		.amdhsa_float_denorm_mode_16_64 3
		.amdhsa_fp16_overflow 0
		.amdhsa_memory_ordered 1
		.amdhsa_forward_progress 1
		.amdhsa_inst_pref_size 5
		.amdhsa_round_robin_scheduling 0
		.amdhsa_exception_fp_ieee_invalid_op 0
		.amdhsa_exception_fp_denorm_src 0
		.amdhsa_exception_fp_ieee_div_zero 0
		.amdhsa_exception_fp_ieee_overflow 0
		.amdhsa_exception_fp_ieee_underflow 0
		.amdhsa_exception_fp_ieee_inexact 0
		.amdhsa_exception_int_div_zero 0
	.end_amdhsa_kernel
	.section	.text._Z6kernelI27subtract_right_partial_tileLj256ELj4ELb0EJPdPiS1_jEEvDpT3_,"axG",@progbits,_Z6kernelI27subtract_right_partial_tileLj256ELj4ELb0EJPdPiS1_jEEvDpT3_,comdat
.Lfunc_end206:
	.size	_Z6kernelI27subtract_right_partial_tileLj256ELj4ELb0EJPdPiS1_jEEvDpT3_, .Lfunc_end206-_Z6kernelI27subtract_right_partial_tileLj256ELj4ELb0EJPdPiS1_jEEvDpT3_
                                        ; -- End function
	.set _Z6kernelI27subtract_right_partial_tileLj256ELj4ELb0EJPdPiS1_jEEvDpT3_.num_vgpr, 22
	.set _Z6kernelI27subtract_right_partial_tileLj256ELj4ELb0EJPdPiS1_jEEvDpT3_.num_agpr, 0
	.set _Z6kernelI27subtract_right_partial_tileLj256ELj4ELb0EJPdPiS1_jEEvDpT3_.numbered_sgpr, 13
	.set _Z6kernelI27subtract_right_partial_tileLj256ELj4ELb0EJPdPiS1_jEEvDpT3_.num_named_barrier, 0
	.set _Z6kernelI27subtract_right_partial_tileLj256ELj4ELb0EJPdPiS1_jEEvDpT3_.private_seg_size, 0
	.set _Z6kernelI27subtract_right_partial_tileLj256ELj4ELb0EJPdPiS1_jEEvDpT3_.uses_vcc, 1
	.set _Z6kernelI27subtract_right_partial_tileLj256ELj4ELb0EJPdPiS1_jEEvDpT3_.uses_flat_scratch, 0
	.set _Z6kernelI27subtract_right_partial_tileLj256ELj4ELb0EJPdPiS1_jEEvDpT3_.has_dyn_sized_stack, 0
	.set _Z6kernelI27subtract_right_partial_tileLj256ELj4ELb0EJPdPiS1_jEEvDpT3_.has_recursion, 0
	.set _Z6kernelI27subtract_right_partial_tileLj256ELj4ELb0EJPdPiS1_jEEvDpT3_.has_indirect_call, 0
	.section	.AMDGPU.csdata,"",@progbits
; Kernel info:
; codeLenInByte = 584
; TotalNumSgprs: 15
; NumVgprs: 22
; ScratchSize: 0
; MemoryBound: 0
; FloatMode: 240
; IeeeMode: 1
; LDSByteSize: 4096 bytes/workgroup (compile time only)
; SGPRBlocks: 0
; VGPRBlocks: 1
; NumSGPRsForWavesPerEU: 15
; NumVGPRsForWavesPerEU: 22
; NamedBarCnt: 0
; Occupancy: 16
; WaveLimiterHint : 1
; COMPUTE_PGM_RSRC2:SCRATCH_EN: 0
; COMPUTE_PGM_RSRC2:USER_SGPR: 2
; COMPUTE_PGM_RSRC2:TRAP_HANDLER: 0
; COMPUTE_PGM_RSRC2:TGID_X_EN: 1
; COMPUTE_PGM_RSRC2:TGID_Y_EN: 0
; COMPUTE_PGM_RSRC2:TGID_Z_EN: 0
; COMPUTE_PGM_RSRC2:TIDIG_COMP_CNT: 0
	.section	.text._Z6kernelI27subtract_right_partial_tileLj256ELj8ELb0EJPdPiS1_jEEvDpT3_,"axG",@progbits,_Z6kernelI27subtract_right_partial_tileLj256ELj8ELb0EJPdPiS1_jEEvDpT3_,comdat
	.protected	_Z6kernelI27subtract_right_partial_tileLj256ELj8ELb0EJPdPiS1_jEEvDpT3_ ; -- Begin function _Z6kernelI27subtract_right_partial_tileLj256ELj8ELb0EJPdPiS1_jEEvDpT3_
	.globl	_Z6kernelI27subtract_right_partial_tileLj256ELj8ELb0EJPdPiS1_jEEvDpT3_
	.p2align	8
	.type	_Z6kernelI27subtract_right_partial_tileLj256ELj8ELb0EJPdPiS1_jEEvDpT3_,@function
_Z6kernelI27subtract_right_partial_tileLj256ELj8ELb0EJPdPiS1_jEEvDpT3_: ; @_Z6kernelI27subtract_right_partial_tileLj256ELj8ELb0EJPdPiS1_jEEvDpT3_
; %bb.0:
	s_load_b128 s[4:7], s[0:1], 0x0
	s_bfe_u32 s2, ttmp6, 0x4000c
	s_and_b32 s3, ttmp6, 15
	s_add_co_i32 s2, s2, 1
	s_getreg_b32 s8, hwreg(HW_REG_IB_STS2, 6, 4)
	s_mul_i32 s2, ttmp9, s2
	s_delay_alu instid0(SALU_CYCLE_1)
	s_add_co_i32 s3, s3, s2
	s_cmp_eq_u32 s8, 0
	s_load_b96 s[8:10], s[0:1], 0x10
	s_cselect_b32 s11, ttmp9, s3
	s_mov_b32 s3, 0
	s_lshl_b32 s2, s11, 11
	s_delay_alu instid0(SALU_CYCLE_1)
	s_lshl_b64 s[12:13], s[2:3], 3
	s_wait_kmcnt 0x0
	s_add_nc_u64 s[0:1], s[4:5], s[12:13]
	s_clause 0x7
	global_load_b64 v[16:17], v0, s[0:1] scale_offset
	global_load_b64 v[14:15], v0, s[0:1] offset:2048 scale_offset
	global_load_b64 v[12:13], v0, s[0:1] offset:4096 scale_offset
	;; [unrolled: 1-line block ×7, first 2 shown]
	s_load_b32 s6, s[6:7], s11 offset:0x0 scale_offset
	s_cvt_f32_u32 s0, s10
	s_sub_co_i32 s1, 0, s10
	s_delay_alu instid0(SALU_CYCLE_2) | instskip(SKIP_1) | instid1(TRANS32_DEP_1)
	v_rcp_iflag_f32_e32 v1, s0
	v_nop
	v_readfirstlane_b32 s0, v1
	v_lshlrev_b32_e32 v1, 3, v0
	s_mul_f32 s0, s0, 0x4f7ffffe
	s_delay_alu instid0(VALU_DEP_1) | instskip(SKIP_1) | instid1(SALU_CYCLE_1)
	v_dual_add_nc_u32 v27, 8, v1 :: v_dual_bitop2_b32 v20, 1, v1 bitop3:0x54
	v_or_b32_e32 v21, 2, v1
	s_cvt_u32_f32 s0, s0
	v_or_b32_e32 v22, 3, v1
	v_or_b32_e32 v23, 4, v1
	;; [unrolled: 1-line block ×3, first 2 shown]
	s_mul_i32 s1, s1, s0
	v_or_b32_e32 v25, 6, v1
	s_mul_hi_u32 s1, s0, s1
	v_or_b32_e32 v26, 7, v1
	s_add_co_i32 s0, s0, s1
	s_delay_alu instid0(SALU_CYCLE_1) | instskip(NEXT) | instid1(SALU_CYCLE_1)
	s_lshr_b32 s0, s0, 21
	s_mul_i32 s1, s0, s10
	s_add_co_i32 s2, s0, 1
	s_sub_co_i32 s1, 0x800, s1
	s_delay_alu instid0(SALU_CYCLE_1)
	s_sub_co_i32 s3, s1, s10
	s_cmp_ge_u32 s1, s10
	s_cselect_b32 s0, s2, s0
	s_cselect_b32 s1, s3, s1
	s_add_co_i32 s2, s0, 1
	s_cmp_ge_u32 s1, s10
	s_wait_xcnt 0x0
	s_cselect_b32 s7, s2, s0
	s_delay_alu instid0(SALU_CYCLE_1)
	s_add_co_i32 s7, s7, 1
	s_branch .LBB207_2
.LBB207_1:                              ;   in Loop: Header=BB207_2 Depth=1
	s_or_b32 exec_lo, exec_lo, s0
	v_add_f64_e64 v[28:29], v[16:17], -v[14:15]
	v_add_f64_e64 v[30:31], v[14:15], -v[12:13]
	;; [unrolled: 1-line block ×7, first 2 shown]
	v_cmp_gt_u32_e32 vcc_lo, s6, v20
	v_cmp_gt_u32_e64 s0, s6, v21
	v_cmp_gt_u32_e64 s1, s6, v22
	;; [unrolled: 1-line block ×6, first 2 shown]
	v_add_f64_e32 v[2:3], v[2:3], v[18:19]
	s_add_co_i32 s10, s10, -1
	s_barrier_signal -1
	s_barrier_wait -1
	v_dual_cndmask_b32 v29, v17, v29 :: v_dual_cndmask_b32 v28, v16, v28
	v_dual_cndmask_b32 v31, v15, v31, s0 :: v_dual_cndmask_b32 v30, v14, v30, s0
	v_dual_cndmask_b32 v33, v13, v33, s1 :: v_dual_cndmask_b32 v32, v12, v32, s1
	;; [unrolled: 1-line block ×6, first 2 shown]
	v_add_f64_e32 v[16:17], v[16:17], v[28:29]
	v_add_f64_e32 v[14:15], v[14:15], v[30:31]
	v_add_f64_e32 v[12:13], v[12:13], v[32:33]
	v_add_f64_e32 v[10:11], v[10:11], v[34:35]
	v_add_f64_e32 v[8:9], v[8:9], v[36:37]
	v_add_f64_e32 v[6:7], v[6:7], v[38:39]
	v_add_f64_e32 v[4:5], v[4:5], v[40:41]
	s_add_co_i32 s0, s7, s6
	s_delay_alu instid0(SALU_CYCLE_1)
	s_and_b32 s6, s0, 0x7ff
	s_cmp_lg_u32 s10, 0
	s_cbranch_scc0 .LBB207_4
.LBB207_2:                              ; =>This Inner Loop Header: Depth=1
	s_wait_loadcnt 0x0
	v_mov_b64_e32 v[18:19], v[2:3]
	s_mov_b32 s0, exec_lo
	ds_store_b64 v1, v[16:17] offset:2048
	s_wait_dscnt 0x0
	s_barrier_signal -1
	s_barrier_wait -1
	s_wait_kmcnt 0x0
	v_cmpx_gt_u32_e64 s6, v27
	s_cbranch_execz .LBB207_1
; %bb.3:                                ;   in Loop: Header=BB207_2 Depth=1
	ds_load_b64 v[18:19], v1 offset:2056
	s_wait_dscnt 0x0
	v_add_f64_e64 v[18:19], v[2:3], -v[18:19]
	s_branch .LBB207_1
.LBB207_4:
	s_add_nc_u64 s[0:1], s[8:9], s[12:13]
	s_clause 0x7
	global_store_b64 v0, v[16:17], s[0:1] scale_offset
	global_store_b64 v0, v[14:15], s[0:1] offset:2048 scale_offset
	global_store_b64 v0, v[12:13], s[0:1] offset:4096 scale_offset
	;; [unrolled: 1-line block ×7, first 2 shown]
	s_endpgm
	.section	.rodata,"a",@progbits
	.p2align	6, 0x0
	.amdhsa_kernel _Z6kernelI27subtract_right_partial_tileLj256ELj8ELb0EJPdPiS1_jEEvDpT3_
		.amdhsa_group_segment_fixed_size 4096
		.amdhsa_private_segment_fixed_size 0
		.amdhsa_kernarg_size 28
		.amdhsa_user_sgpr_count 2
		.amdhsa_user_sgpr_dispatch_ptr 0
		.amdhsa_user_sgpr_queue_ptr 0
		.amdhsa_user_sgpr_kernarg_segment_ptr 1
		.amdhsa_user_sgpr_dispatch_id 0
		.amdhsa_user_sgpr_kernarg_preload_length 0
		.amdhsa_user_sgpr_kernarg_preload_offset 0
		.amdhsa_user_sgpr_private_segment_size 0
		.amdhsa_wavefront_size32 1
		.amdhsa_uses_dynamic_stack 0
		.amdhsa_enable_private_segment 0
		.amdhsa_system_sgpr_workgroup_id_x 1
		.amdhsa_system_sgpr_workgroup_id_y 0
		.amdhsa_system_sgpr_workgroup_id_z 0
		.amdhsa_system_sgpr_workgroup_info 0
		.amdhsa_system_vgpr_workitem_id 0
		.amdhsa_next_free_vgpr 42
		.amdhsa_next_free_sgpr 14
		.amdhsa_named_barrier_count 0
		.amdhsa_reserve_vcc 1
		.amdhsa_float_round_mode_32 0
		.amdhsa_float_round_mode_16_64 0
		.amdhsa_float_denorm_mode_32 3
		.amdhsa_float_denorm_mode_16_64 3
		.amdhsa_fp16_overflow 0
		.amdhsa_memory_ordered 1
		.amdhsa_forward_progress 1
		.amdhsa_inst_pref_size 7
		.amdhsa_round_robin_scheduling 0
		.amdhsa_exception_fp_ieee_invalid_op 0
		.amdhsa_exception_fp_denorm_src 0
		.amdhsa_exception_fp_ieee_div_zero 0
		.amdhsa_exception_fp_ieee_overflow 0
		.amdhsa_exception_fp_ieee_underflow 0
		.amdhsa_exception_fp_ieee_inexact 0
		.amdhsa_exception_int_div_zero 0
	.end_amdhsa_kernel
	.section	.text._Z6kernelI27subtract_right_partial_tileLj256ELj8ELb0EJPdPiS1_jEEvDpT3_,"axG",@progbits,_Z6kernelI27subtract_right_partial_tileLj256ELj8ELb0EJPdPiS1_jEEvDpT3_,comdat
.Lfunc_end207:
	.size	_Z6kernelI27subtract_right_partial_tileLj256ELj8ELb0EJPdPiS1_jEEvDpT3_, .Lfunc_end207-_Z6kernelI27subtract_right_partial_tileLj256ELj8ELb0EJPdPiS1_jEEvDpT3_
                                        ; -- End function
	.set _Z6kernelI27subtract_right_partial_tileLj256ELj8ELb0EJPdPiS1_jEEvDpT3_.num_vgpr, 42
	.set _Z6kernelI27subtract_right_partial_tileLj256ELj8ELb0EJPdPiS1_jEEvDpT3_.num_agpr, 0
	.set _Z6kernelI27subtract_right_partial_tileLj256ELj8ELb0EJPdPiS1_jEEvDpT3_.numbered_sgpr, 14
	.set _Z6kernelI27subtract_right_partial_tileLj256ELj8ELb0EJPdPiS1_jEEvDpT3_.num_named_barrier, 0
	.set _Z6kernelI27subtract_right_partial_tileLj256ELj8ELb0EJPdPiS1_jEEvDpT3_.private_seg_size, 0
	.set _Z6kernelI27subtract_right_partial_tileLj256ELj8ELb0EJPdPiS1_jEEvDpT3_.uses_vcc, 1
	.set _Z6kernelI27subtract_right_partial_tileLj256ELj8ELb0EJPdPiS1_jEEvDpT3_.uses_flat_scratch, 0
	.set _Z6kernelI27subtract_right_partial_tileLj256ELj8ELb0EJPdPiS1_jEEvDpT3_.has_dyn_sized_stack, 0
	.set _Z6kernelI27subtract_right_partial_tileLj256ELj8ELb0EJPdPiS1_jEEvDpT3_.has_recursion, 0
	.set _Z6kernelI27subtract_right_partial_tileLj256ELj8ELb0EJPdPiS1_jEEvDpT3_.has_indirect_call, 0
	.section	.AMDGPU.csdata,"",@progbits
; Kernel info:
; codeLenInByte = 792
; TotalNumSgprs: 16
; NumVgprs: 42
; ScratchSize: 0
; MemoryBound: 0
; FloatMode: 240
; IeeeMode: 1
; LDSByteSize: 4096 bytes/workgroup (compile time only)
; SGPRBlocks: 0
; VGPRBlocks: 2
; NumSGPRsForWavesPerEU: 16
; NumVGPRsForWavesPerEU: 42
; NamedBarCnt: 0
; Occupancy: 16
; WaveLimiterHint : 1
; COMPUTE_PGM_RSRC2:SCRATCH_EN: 0
; COMPUTE_PGM_RSRC2:USER_SGPR: 2
; COMPUTE_PGM_RSRC2:TRAP_HANDLER: 0
; COMPUTE_PGM_RSRC2:TGID_X_EN: 1
; COMPUTE_PGM_RSRC2:TGID_Y_EN: 0
; COMPUTE_PGM_RSRC2:TGID_Z_EN: 0
; COMPUTE_PGM_RSRC2:TIDIG_COMP_CNT: 0
	.section	.text._Z6kernelI27subtract_right_partial_tileLj256ELj16ELb0EJPdPiS1_jEEvDpT3_,"axG",@progbits,_Z6kernelI27subtract_right_partial_tileLj256ELj16ELb0EJPdPiS1_jEEvDpT3_,comdat
	.protected	_Z6kernelI27subtract_right_partial_tileLj256ELj16ELb0EJPdPiS1_jEEvDpT3_ ; -- Begin function _Z6kernelI27subtract_right_partial_tileLj256ELj16ELb0EJPdPiS1_jEEvDpT3_
	.globl	_Z6kernelI27subtract_right_partial_tileLj256ELj16ELb0EJPdPiS1_jEEvDpT3_
	.p2align	8
	.type	_Z6kernelI27subtract_right_partial_tileLj256ELj16ELb0EJPdPiS1_jEEvDpT3_,@function
_Z6kernelI27subtract_right_partial_tileLj256ELj16ELb0EJPdPiS1_jEEvDpT3_: ; @_Z6kernelI27subtract_right_partial_tileLj256ELj16ELb0EJPdPiS1_jEEvDpT3_
; %bb.0:
	s_load_b128 s[4:7], s[0:1], 0x0
	s_bfe_u32 s2, ttmp6, 0x4000c
	s_and_b32 s3, ttmp6, 15
	s_add_co_i32 s2, s2, 1
	s_getreg_b32 s8, hwreg(HW_REG_IB_STS2, 6, 4)
	s_mul_i32 s2, ttmp9, s2
	v_lshlrev_b32_e32 v34, 4, v0
	s_add_co_i32 s3, s3, s2
	s_cmp_eq_u32 s8, 0
	s_load_b96 s[8:10], s[0:1], 0x10
	s_cselect_b32 s11, ttmp9, s3
	s_mov_b32 s3, 0
	s_lshl_b32 s2, s11, 12
	s_delay_alu instid0(SALU_CYCLE_1)
	s_lshl_b64 s[12:13], s[2:3], 3
	s_wait_kmcnt 0x0
	s_add_nc_u64 s[0:1], s[4:5], s[12:13]
	s_clause 0xf
	global_load_b64 v[32:33], v0, s[0:1] scale_offset
	global_load_b64 v[30:31], v0, s[0:1] offset:2048 scale_offset
	global_load_b64 v[28:29], v0, s[0:1] offset:4096 scale_offset
	;; [unrolled: 1-line block ×15, first 2 shown]
	s_load_b32 s11, s[6:7], s11 offset:0x0 scale_offset
	s_cvt_f32_u32 s0, s10
	s_sub_co_i32 s1, 0, s10
	s_delay_alu instid0(SALU_CYCLE_2) | instskip(SKIP_1) | instid1(TRANS32_DEP_1)
	v_rcp_iflag_f32_e32 v1, s0
	v_nop
	v_readfirstlane_b32 s0, v1
	v_dual_lshlrev_b32 v1, 3, v0 :: v_dual_bitop2_b32 v36, 1, v34 bitop3:0x54
	v_dual_add_nc_u32 v51, 16, v34 :: v_dual_bitop2_b32 v37, 2, v34 bitop3:0x54
	s_mul_f32 s0, s0, 0x4f7ffffe
	v_or_b32_e32 v38, 3, v34
	v_or_b32_e32 v39, 4, v34
	;; [unrolled: 1-line block ×3, first 2 shown]
	s_cvt_u32_f32 s0, s0
	v_or_b32_e32 v41, 6, v34
	v_or_b32_e32 v42, 7, v34
	;; [unrolled: 1-line block ×3, first 2 shown]
	s_mul_i32 s1, s1, s0
	v_or_b32_e32 v44, 9, v34
	s_mul_hi_u32 s1, s0, s1
	v_or_b32_e32 v45, 10, v34
	s_add_co_i32 s0, s0, s1
	v_or_b32_e32 v46, 11, v34
	s_lshr_b32 s0, s0, 20
	v_or_b32_e32 v47, 12, v34
	s_mul_i32 s1, s0, s10
	s_add_co_i32 s2, s0, 1
	s_sub_co_i32 s1, 0x1000, s1
	v_or_b32_e32 v48, 13, v34
	s_sub_co_i32 s3, s1, s10
	s_cmp_ge_u32 s1, s10
	v_or_b32_e32 v49, 14, v34
	s_cselect_b32 s0, s2, s0
	s_cselect_b32 s1, s3, s1
	s_add_co_i32 s2, s0, 1
	s_cmp_ge_u32 s1, s10
	v_or_b32_e32 v50, 15, v34
	s_cselect_b32 s14, s2, s0
	s_delay_alu instid0(SALU_CYCLE_1)
	s_add_co_i32 s14, s14, 1
	s_branch .LBB208_2
.LBB208_1:                              ;   in Loop: Header=BB208_2 Depth=1
	s_or_b32 exec_lo, exec_lo, s0
	v_add_f64_e64 v[52:53], v[32:33], -v[30:31]
	v_add_f64_e64 v[54:55], v[30:31], -v[28:29]
	v_add_f64_e64 v[70:71], v[14:15], -v[12:13]
	v_add_f64_e64 v[56:57], v[28:29], -v[26:27]
	v_add_f64_e64 v[72:73], v[12:13], -v[10:11]
	v_add_f64_e64 v[74:75], v[10:11], -v[8:9]
	v_add_f64_e64 v[58:59], v[26:27], -v[24:25]
	v_add_f64_e64 v[60:61], v[24:25], -v[22:23]
	v_add_f64_e64 v[62:63], v[22:23], -v[20:21]
	v_add_f64_e64 v[64:65], v[20:21], -v[18:19]
	v_add_f64_e64 v[66:67], v[18:19], -v[16:17]
	v_add_f64_e64 v[68:69], v[16:17], -v[14:15]
	v_add_f64_e64 v[76:77], v[8:9], -v[6:7]
	v_add_f64_e64 v[78:79], v[6:7], -v[4:5]
	v_add_f64_e64 v[80:81], v[4:5], -v[2:3]
	v_cmp_gt_u32_e32 vcc_lo, s11, v36
	v_cmp_gt_u32_e64 s0, s11, v37
	v_cmp_gt_u32_e64 s1, s11, v38
	;; [unrolled: 1-line block ×8, first 2 shown]
	v_add_f64_e32 v[2:3], v[2:3], v[34:35]
	s_add_co_i32 s10, s10, -1
	s_barrier_signal -1
	s_barrier_wait -1
	v_dual_cndmask_b32 v53, v33, v53 :: v_dual_cndmask_b32 v52, v32, v52
	v_cmp_gt_u32_e32 vcc_lo, s11, v45
	v_dual_cndmask_b32 v55, v31, v55, s0 :: v_dual_cndmask_b32 v54, v30, v54, s0
	v_cmp_gt_u32_e64 s0, s11, v46
	v_dual_cndmask_b32 v57, v29, v57, s1 :: v_dual_cndmask_b32 v56, v28, v56, s1
	v_dual_cndmask_b32 v71, v15, v71 :: v_dual_cndmask_b32 v70, v14, v70
	v_cmp_gt_u32_e32 vcc_lo, s11, v47
	s_delay_alu instid0(VALU_DEP_4)
	v_dual_cndmask_b32 v73, v13, v73, s0 :: v_dual_cndmask_b32 v72, v12, v72, s0
	v_cmp_gt_u32_e64 s0, s11, v48
	v_cmp_gt_u32_e64 s1, s11, v50
	v_dual_cndmask_b32 v75, v11, v75 :: v_dual_cndmask_b32 v74, v10, v74
	v_cmp_gt_u32_e32 vcc_lo, s11, v49
	v_dual_cndmask_b32 v59, v27, v59, s2 :: v_dual_cndmask_b32 v58, v26, v58, s2
	v_dual_cndmask_b32 v61, v25, v61, s3 :: v_dual_cndmask_b32 v60, v24, v60, s3
	;; [unrolled: 1-line block ×7, first 2 shown]
	v_dual_cndmask_b32 v79, v7, v79 :: v_dual_cndmask_b32 v78, v6, v78
	v_dual_cndmask_b32 v81, v5, v81, s1 :: v_dual_cndmask_b32 v80, v4, v80, s1
	v_add_f64_e32 v[32:33], v[32:33], v[52:53]
	v_add_f64_e32 v[30:31], v[30:31], v[54:55]
	;; [unrolled: 1-line block ×15, first 2 shown]
	s_add_co_i32 s0, s14, s11
	s_delay_alu instid0(SALU_CYCLE_1)
	s_and_b32 s11, s0, 0xfff
	s_cmp_lg_u32 s10, 0
	s_cbranch_scc0 .LBB208_4
.LBB208_2:                              ; =>This Inner Loop Header: Depth=1
	s_wait_loadcnt 0x0
	v_mov_b64_e32 v[34:35], v[2:3]
	s_mov_b32 s0, exec_lo
	ds_store_b64 v1, v[32:33] offset:2048
	s_wait_dscnt 0x0
	s_barrier_signal -1
	s_barrier_wait -1
	s_wait_kmcnt 0x0
	v_cmpx_gt_u32_e64 s11, v51
	s_cbranch_execz .LBB208_1
; %bb.3:                                ;   in Loop: Header=BB208_2 Depth=1
	ds_load_b64 v[34:35], v1 offset:2056
	s_wait_dscnt 0x0
	v_add_f64_e64 v[34:35], v[2:3], -v[34:35]
	s_branch .LBB208_1
.LBB208_4:
	s_add_nc_u64 s[0:1], s[8:9], s[12:13]
	s_clause 0xf
	global_store_b64 v0, v[32:33], s[0:1] scale_offset
	global_store_b64 v0, v[30:31], s[0:1] offset:2048 scale_offset
	global_store_b64 v0, v[28:29], s[0:1] offset:4096 scale_offset
	;; [unrolled: 1-line block ×15, first 2 shown]
	s_sendmsg sendmsg(MSG_DEALLOC_VGPRS)
	s_endpgm
	.section	.rodata,"a",@progbits
	.p2align	6, 0x0
	.amdhsa_kernel _Z6kernelI27subtract_right_partial_tileLj256ELj16ELb0EJPdPiS1_jEEvDpT3_
		.amdhsa_group_segment_fixed_size 4096
		.amdhsa_private_segment_fixed_size 0
		.amdhsa_kernarg_size 28
		.amdhsa_user_sgpr_count 2
		.amdhsa_user_sgpr_dispatch_ptr 0
		.amdhsa_user_sgpr_queue_ptr 0
		.amdhsa_user_sgpr_kernarg_segment_ptr 1
		.amdhsa_user_sgpr_dispatch_id 0
		.amdhsa_user_sgpr_kernarg_preload_length 0
		.amdhsa_user_sgpr_kernarg_preload_offset 0
		.amdhsa_user_sgpr_private_segment_size 0
		.amdhsa_wavefront_size32 1
		.amdhsa_uses_dynamic_stack 0
		.amdhsa_enable_private_segment 0
		.amdhsa_system_sgpr_workgroup_id_x 1
		.amdhsa_system_sgpr_workgroup_id_y 0
		.amdhsa_system_sgpr_workgroup_id_z 0
		.amdhsa_system_sgpr_workgroup_info 0
		.amdhsa_system_vgpr_workitem_id 0
		.amdhsa_next_free_vgpr 82
		.amdhsa_next_free_sgpr 15
		.amdhsa_named_barrier_count 0
		.amdhsa_reserve_vcc 1
		.amdhsa_float_round_mode_32 0
		.amdhsa_float_round_mode_16_64 0
		.amdhsa_float_denorm_mode_32 3
		.amdhsa_float_denorm_mode_16_64 3
		.amdhsa_fp16_overflow 0
		.amdhsa_memory_ordered 1
		.amdhsa_forward_progress 1
		.amdhsa_inst_pref_size 10
		.amdhsa_round_robin_scheduling 0
		.amdhsa_exception_fp_ieee_invalid_op 0
		.amdhsa_exception_fp_denorm_src 0
		.amdhsa_exception_fp_ieee_div_zero 0
		.amdhsa_exception_fp_ieee_overflow 0
		.amdhsa_exception_fp_ieee_underflow 0
		.amdhsa_exception_fp_ieee_inexact 0
		.amdhsa_exception_int_div_zero 0
	.end_amdhsa_kernel
	.section	.text._Z6kernelI27subtract_right_partial_tileLj256ELj16ELb0EJPdPiS1_jEEvDpT3_,"axG",@progbits,_Z6kernelI27subtract_right_partial_tileLj256ELj16ELb0EJPdPiS1_jEEvDpT3_,comdat
.Lfunc_end208:
	.size	_Z6kernelI27subtract_right_partial_tileLj256ELj16ELb0EJPdPiS1_jEEvDpT3_, .Lfunc_end208-_Z6kernelI27subtract_right_partial_tileLj256ELj16ELb0EJPdPiS1_jEEvDpT3_
                                        ; -- End function
	.set _Z6kernelI27subtract_right_partial_tileLj256ELj16ELb0EJPdPiS1_jEEvDpT3_.num_vgpr, 82
	.set _Z6kernelI27subtract_right_partial_tileLj256ELj16ELb0EJPdPiS1_jEEvDpT3_.num_agpr, 0
	.set _Z6kernelI27subtract_right_partial_tileLj256ELj16ELb0EJPdPiS1_jEEvDpT3_.numbered_sgpr, 15
	.set _Z6kernelI27subtract_right_partial_tileLj256ELj16ELb0EJPdPiS1_jEEvDpT3_.num_named_barrier, 0
	.set _Z6kernelI27subtract_right_partial_tileLj256ELj16ELb0EJPdPiS1_jEEvDpT3_.private_seg_size, 0
	.set _Z6kernelI27subtract_right_partial_tileLj256ELj16ELb0EJPdPiS1_jEEvDpT3_.uses_vcc, 1
	.set _Z6kernelI27subtract_right_partial_tileLj256ELj16ELb0EJPdPiS1_jEEvDpT3_.uses_flat_scratch, 0
	.set _Z6kernelI27subtract_right_partial_tileLj256ELj16ELb0EJPdPiS1_jEEvDpT3_.has_dyn_sized_stack, 0
	.set _Z6kernelI27subtract_right_partial_tileLj256ELj16ELb0EJPdPiS1_jEEvDpT3_.has_recursion, 0
	.set _Z6kernelI27subtract_right_partial_tileLj256ELj16ELb0EJPdPiS1_jEEvDpT3_.has_indirect_call, 0
	.section	.AMDGPU.csdata,"",@progbits
; Kernel info:
; codeLenInByte = 1244
; TotalNumSgprs: 17
; NumVgprs: 82
; ScratchSize: 0
; MemoryBound: 0
; FloatMode: 240
; IeeeMode: 1
; LDSByteSize: 4096 bytes/workgroup (compile time only)
; SGPRBlocks: 0
; VGPRBlocks: 5
; NumSGPRsForWavesPerEU: 17
; NumVGPRsForWavesPerEU: 82
; NamedBarCnt: 0
; Occupancy: 10
; WaveLimiterHint : 1
; COMPUTE_PGM_RSRC2:SCRATCH_EN: 0
; COMPUTE_PGM_RSRC2:USER_SGPR: 2
; COMPUTE_PGM_RSRC2:TRAP_HANDLER: 0
; COMPUTE_PGM_RSRC2:TGID_X_EN: 1
; COMPUTE_PGM_RSRC2:TGID_Y_EN: 0
; COMPUTE_PGM_RSRC2:TGID_Z_EN: 0
; COMPUTE_PGM_RSRC2:TIDIG_COMP_CNT: 0
	.section	.text._Z6kernelI27subtract_right_partial_tileLj256ELj32ELb0EJPdPiS1_jEEvDpT3_,"axG",@progbits,_Z6kernelI27subtract_right_partial_tileLj256ELj32ELb0EJPdPiS1_jEEvDpT3_,comdat
	.protected	_Z6kernelI27subtract_right_partial_tileLj256ELj32ELb0EJPdPiS1_jEEvDpT3_ ; -- Begin function _Z6kernelI27subtract_right_partial_tileLj256ELj32ELb0EJPdPiS1_jEEvDpT3_
	.globl	_Z6kernelI27subtract_right_partial_tileLj256ELj32ELb0EJPdPiS1_jEEvDpT3_
	.p2align	8
	.type	_Z6kernelI27subtract_right_partial_tileLj256ELj32ELb0EJPdPiS1_jEEvDpT3_,@function
_Z6kernelI27subtract_right_partial_tileLj256ELj32ELb0EJPdPiS1_jEEvDpT3_: ; @_Z6kernelI27subtract_right_partial_tileLj256ELj32ELb0EJPdPiS1_jEEvDpT3_
; %bb.0:
	s_load_b128 s[4:7], s[0:1], 0x0
	s_bfe_u32 s2, ttmp6, 0x4000c
	s_and_b32 s3, ttmp6, 15
	s_add_co_i32 s2, s2, 1
	s_getreg_b32 s8, hwreg(HW_REG_IB_STS2, 6, 4)
	s_mul_i32 s2, ttmp9, s2
	v_dual_lshlrev_b32 v66, 5, v0 :: v_dual_lshlrev_b32 v1, 3, v0
	s_add_co_i32 s3, s3, s2
	s_cmp_eq_u32 s8, 0
	s_load_b96 s[8:10], s[0:1], 0x10
	s_cselect_b32 s11, ttmp9, s3
	s_mov_b32 s3, 0
	s_lshl_b32 s2, s11, 13
	v_dual_add_nc_u32 v99, 32, v66 :: v_dual_bitop2_b32 v68, 1, v66 bitop3:0x54
	s_lshl_b64 s[12:13], s[2:3], 3
	v_or_b32_e32 v69, 2, v66
	v_or_b32_e32 v70, 3, v66
	;; [unrolled: 1-line block ×3, first 2 shown]
	s_wait_kmcnt 0x0
	s_add_nc_u64 s[2:3], s[4:5], s[12:13]
	v_or_b32_e32 v72, 5, v66
	s_clause 0x1f
	global_load_b64 v[8:9], v0, s[2:3] scale_offset
	global_load_b64 v[6:7], v0, s[2:3] offset:2048 scale_offset
	global_load_b64 v[4:5], v0, s[2:3] offset:4096 scale_offset
	;; [unrolled: 1-line block ×31, first 2 shown]
	s_load_b32 s7, s[6:7], s11 offset:0x0 scale_offset
	v_or_b32_e32 v73, 6, v66
	v_or_b32_e32 v74, 7, v66
	;; [unrolled: 1-line block ×6, first 2 shown]
	s_cvt_f32_u32 s0, s10
	s_sub_co_i32 s1, 0, s10
	v_or_b32_e32 v79, 12, v66
	v_or_b32_e32 v80, 13, v66
	v_rcp_iflag_f32_e32 v67, s0
	v_or_b32_e32 v81, 14, v66
	v_or_b32_e32 v82, 15, v66
	;; [unrolled: 1-line block ×6, first 2 shown]
	v_readfirstlane_b32 s0, v67
	v_or_b32_e32 v87, 20, v66
	v_or_b32_e32 v88, 21, v66
	;; [unrolled: 1-line block ×4, first 2 shown]
	s_mul_f32 s0, s0, 0x4f7ffffe
	v_or_b32_e32 v91, 24, v66
	v_or_b32_e32 v92, 25, v66
	;; [unrolled: 1-line block ×3, first 2 shown]
	s_cvt_u32_f32 s0, s0
	v_or_b32_e32 v94, 27, v66
	v_or_b32_e32 v95, 28, v66
	;; [unrolled: 1-line block ×3, first 2 shown]
	s_mul_i32 s1, s1, s0
	v_or_b32_e32 v97, 30, v66
	s_mul_hi_u32 s1, s0, s1
	v_or_b32_e32 v98, 31, v66
	s_add_co_i32 s0, s0, s1
	s_delay_alu instid0(SALU_CYCLE_1) | instskip(NEXT) | instid1(SALU_CYCLE_1)
	s_lshr_b32 s0, s0, 19
	s_mul_i32 s1, s0, s10
	s_add_co_i32 s2, s0, 1
	s_sub_co_i32 s1, 0x2000, s1
	s_delay_alu instid0(SALU_CYCLE_1)
	s_sub_co_i32 s3, s1, s10
	s_cmp_ge_u32 s1, s10
	s_cselect_b32 s0, s2, s0
	s_cselect_b32 s1, s3, s1
	s_add_co_i32 s2, s0, 1
	s_cmp_ge_u32 s1, s10
	s_wait_xcnt 0x0
	s_cselect_b32 s11, s2, s0
	s_delay_alu instid0(SALU_CYCLE_1)
	s_add_co_i32 s11, s11, 1
	s_branch .LBB209_2
.LBB209_1:                              ;   in Loop: Header=BB209_2 Depth=1
	s_or_b32 exec_lo, exec_lo, s0
	v_add_f64_e64 v[100:101], v[8:9], -v[6:7]
	v_add_f64_e64 v[116:117], v[24:25], -v[22:23]
	;; [unrolled: 1-line block ×11, first 2 shown]
	v_cmp_gt_u32_e32 vcc_lo, s7, v68
	v_add_f64_e64 v[130:131], v[58:59], -v[56:57]
	v_add_f64_e64 v[132:133], v[56:57], -v[54:55]
	;; [unrolled: 1-line block ×6, first 2 shown]
	v_cmp_gt_u32_e64 s0, s7, v69
	v_add_f64_e64 v[142:143], v[46:47], -v[44:45]
	v_add_f64_e64 v[146:147], v[42:43], -v[40:41]
	v_add_f64_e64 v[150:151], v[38:39], -v[36:37]
	v_add_f64_e64 v[148:149], v[40:41], -v[38:39]
	v_add_f64_e64 v[152:153], v[36:37], -v[34:35]
	v_add_f64_e64 v[154:155], v[34:35], -v[32:33]
	v_add_f64_e64 v[106:107], v[2:3], -v[16:17]
	v_add_f64_e64 v[108:109], v[16:17], -v[14:15]
	v_add_f64_e64 v[110:111], v[14:15], -v[12:13]
	v_add_f64_e64 v[112:113], v[12:13], -v[10:11]
	v_add_f64_e64 v[114:115], v[10:11], -v[24:25]
	v_add_f64_e64 v[156:157], v[32:33], -v[30:31]
	v_add_f64_e64 v[158:159], v[30:31], -v[28:29]
	v_dual_cndmask_b32 v101, v9, v101 :: v_dual_cndmask_b32 v100, v8, v100
	v_cmp_gt_u32_e32 vcc_lo, s7, v76
	v_dual_cndmask_b32 v103, v7, v103, s0 :: v_dual_cndmask_b32 v102, v6, v102, s0
	v_cmp_gt_u32_e64 s0, s7, v77
	v_add_f64_e64 v[160:161], v[28:29], -v[26:27]
	v_dual_cndmask_b32 v117, v25, v117 :: v_dual_cndmask_b32 v116, v24, v116
	v_cmp_gt_u32_e32 vcc_lo, s7, v78
	s_delay_alu instid0(VALU_DEP_4) | instskip(SKIP_4) | instid1(VALU_DEP_4)
	v_dual_cndmask_b32 v119, v23, v119, s0 :: v_dual_cndmask_b32 v118, v22, v118, s0
	v_cmp_gt_u32_e64 s0, s7, v79
	v_cmp_gt_u32_e64 s1, s7, v70
	v_dual_cndmask_b32 v121, v21, v121 :: v_dual_cndmask_b32 v120, v20, v120
	v_cmp_gt_u32_e32 vcc_lo, s7, v80
	v_dual_cndmask_b32 v123, v19, v123, s0 :: v_dual_cndmask_b32 v122, v18, v122, s0
	v_cmp_gt_u32_e64 s0, s7, v81
	v_dual_cndmask_b32 v105, v5, v105, s1 :: v_dual_cndmask_b32 v104, v4, v104, s1
	v_dual_cndmask_b32 v125, v65, v125 :: v_dual_cndmask_b32 v124, v64, v124
	v_cmp_gt_u32_e32 vcc_lo, s7, v82
	s_delay_alu instid0(VALU_DEP_4) | instskip(SKIP_4) | instid1(VALU_DEP_4)
	v_dual_cndmask_b32 v127, v63, v127, s0 :: v_dual_cndmask_b32 v126, v62, v126, s0
	v_cmp_gt_u32_e64 s1, s7, v83
	v_cmp_gt_u32_e64 s0, s7, v84
	v_dual_cndmask_b32 v129, v61, v129 :: v_dual_cndmask_b32 v128, v60, v128
	v_cmp_gt_u32_e32 vcc_lo, s7, v85
	v_dual_cndmask_b32 v131, v59, v131, s1 :: v_dual_cndmask_b32 v130, v58, v130, s1
	s_delay_alu instid0(VALU_DEP_4)
	v_dual_cndmask_b32 v133, v57, v133, s0 :: v_dual_cndmask_b32 v132, v56, v132, s0
	v_dual_cndmask_b32 v135, v55, v135 :: v_dual_cndmask_b32 v134, v54, v134
	v_cmp_gt_u32_e32 vcc_lo, s7, v88
	v_cmp_gt_u32_e64 s1, s7, v86
	v_cmp_gt_u32_e64 s0, s7, v87
	;; [unrolled: 1-line block ×4, first 2 shown]
	v_dual_cndmask_b32 v141, v49, v141 :: v_dual_cndmask_b32 v140, v48, v140
	v_cmp_gt_u32_e32 vcc_lo, s7, v90
	v_dual_cndmask_b32 v137, v53, v137, s1 :: v_dual_cndmask_b32 v136, v52, v136, s1
	v_dual_cndmask_b32 v139, v51, v139, s0 :: v_dual_cndmask_b32 v138, v50, v138, s0
	v_cmp_gt_u32_e64 s1, s7, v89
	v_cmp_gt_u32_e64 s0, s7, v91
	v_dual_cndmask_b32 v145, v45, v145 :: v_dual_cndmask_b32 v144, v44, v144
	v_cmp_gt_u32_e32 vcc_lo, s7, v93
	s_delay_alu instid0(VALU_DEP_4)
	v_dual_cndmask_b32 v143, v47, v143, s1 :: v_dual_cndmask_b32 v142, v46, v142, s1
	v_cmp_gt_u32_e64 s1, s7, v92
	v_dual_cndmask_b32 v147, v43, v147, s0 :: v_dual_cndmask_b32 v146, v42, v146, s0
	v_cmp_gt_u32_e64 s0, s7, v94
	v_dual_cndmask_b32 v151, v39, v151 :: v_dual_cndmask_b32 v150, v38, v150
	v_cmp_gt_u32_e32 vcc_lo, s7, v95
	v_cmp_gt_u32_e64 s4, s7, v73
	v_cmp_gt_u32_e64 s5, s7, v74
	;; [unrolled: 1-line block ×3, first 2 shown]
	v_dual_cndmask_b32 v149, v41, v149, s1 :: v_dual_cndmask_b32 v148, v40, v148, s1
	v_dual_cndmask_b32 v153, v37, v153, s0 :: v_dual_cndmask_b32 v152, v36, v152, s0
	v_dual_cndmask_b32 v155, v35, v155 :: v_dual_cndmask_b32 v154, v34, v154
	v_cmp_gt_u32_e64 s0, s7, v96
	v_cmp_gt_u32_e32 vcc_lo, s7, v97
	v_cmp_gt_u32_e64 s1, s7, v98
	v_dual_cndmask_b32 v107, v3, v107, s2 :: v_dual_cndmask_b32 v106, v2, v106, s2
	v_dual_cndmask_b32 v109, v17, v109, s3 :: v_dual_cndmask_b32 v108, v16, v108, s3
	;; [unrolled: 1-line block ×6, first 2 shown]
	v_dual_cndmask_b32 v159, v31, v159 :: v_dual_cndmask_b32 v158, v30, v158
	v_dual_cndmask_b32 v161, v29, v161, s1 :: v_dual_cndmask_b32 v160, v28, v160, s1
	v_add_f64_e32 v[8:9], v[8:9], v[100:101]
	v_add_f64_e32 v[6:7], v[6:7], v[102:103]
	;; [unrolled: 1-line block ×32, first 2 shown]
	s_add_co_i32 s0, s11, s7
	s_add_co_i32 s10, s10, -1
	s_and_b32 s7, s0, 0x1fff
	s_cmp_lg_u32 s10, 0
	s_barrier_signal -1
	s_barrier_wait -1
	s_cbranch_scc0 .LBB209_4
.LBB209_2:                              ; =>This Inner Loop Header: Depth=1
	s_wait_loadcnt 0x0
	s_delay_alu instid0(VALU_DEP_1)
	v_mov_b64_e32 v[66:67], v[26:27]
	s_mov_b32 s0, exec_lo
	ds_store_b64 v1, v[8:9] offset:2048
	s_wait_dscnt 0x0
	s_barrier_signal -1
	s_barrier_wait -1
	s_wait_kmcnt 0x0
	v_cmpx_gt_u32_e64 s7, v99
	s_cbranch_execz .LBB209_1
; %bb.3:                                ;   in Loop: Header=BB209_2 Depth=1
	ds_load_b64 v[66:67], v1 offset:2056
	s_wait_dscnt 0x0
	v_add_f64_e64 v[66:67], v[26:27], -v[66:67]
	s_branch .LBB209_1
.LBB209_4:
	s_add_nc_u64 s[0:1], s[8:9], s[12:13]
	s_clause 0x1f
	global_store_b64 v0, v[8:9], s[0:1] scale_offset
	global_store_b64 v0, v[6:7], s[0:1] offset:2048 scale_offset
	global_store_b64 v0, v[4:5], s[0:1] offset:4096 scale_offset
	;; [unrolled: 1-line block ×31, first 2 shown]
	s_sendmsg sendmsg(MSG_DEALLOC_VGPRS)
	s_endpgm
	.section	.rodata,"a",@progbits
	.p2align	6, 0x0
	.amdhsa_kernel _Z6kernelI27subtract_right_partial_tileLj256ELj32ELb0EJPdPiS1_jEEvDpT3_
		.amdhsa_group_segment_fixed_size 4096
		.amdhsa_private_segment_fixed_size 0
		.amdhsa_kernarg_size 28
		.amdhsa_user_sgpr_count 2
		.amdhsa_user_sgpr_dispatch_ptr 0
		.amdhsa_user_sgpr_queue_ptr 0
		.amdhsa_user_sgpr_kernarg_segment_ptr 1
		.amdhsa_user_sgpr_dispatch_id 0
		.amdhsa_user_sgpr_kernarg_preload_length 0
		.amdhsa_user_sgpr_kernarg_preload_offset 0
		.amdhsa_user_sgpr_private_segment_size 0
		.amdhsa_wavefront_size32 1
		.amdhsa_uses_dynamic_stack 0
		.amdhsa_enable_private_segment 0
		.amdhsa_system_sgpr_workgroup_id_x 1
		.amdhsa_system_sgpr_workgroup_id_y 0
		.amdhsa_system_sgpr_workgroup_id_z 0
		.amdhsa_system_sgpr_workgroup_info 0
		.amdhsa_system_vgpr_workitem_id 0
		.amdhsa_next_free_vgpr 162
		.amdhsa_next_free_sgpr 14
		.amdhsa_named_barrier_count 0
		.amdhsa_reserve_vcc 1
		.amdhsa_float_round_mode_32 0
		.amdhsa_float_round_mode_16_64 0
		.amdhsa_float_denorm_mode_32 3
		.amdhsa_float_denorm_mode_16_64 3
		.amdhsa_fp16_overflow 0
		.amdhsa_memory_ordered 1
		.amdhsa_forward_progress 1
		.amdhsa_inst_pref_size 17
		.amdhsa_round_robin_scheduling 0
		.amdhsa_exception_fp_ieee_invalid_op 0
		.amdhsa_exception_fp_denorm_src 0
		.amdhsa_exception_fp_ieee_div_zero 0
		.amdhsa_exception_fp_ieee_overflow 0
		.amdhsa_exception_fp_ieee_underflow 0
		.amdhsa_exception_fp_ieee_inexact 0
		.amdhsa_exception_int_div_zero 0
	.end_amdhsa_kernel
	.section	.text._Z6kernelI27subtract_right_partial_tileLj256ELj32ELb0EJPdPiS1_jEEvDpT3_,"axG",@progbits,_Z6kernelI27subtract_right_partial_tileLj256ELj32ELb0EJPdPiS1_jEEvDpT3_,comdat
.Lfunc_end209:
	.size	_Z6kernelI27subtract_right_partial_tileLj256ELj32ELb0EJPdPiS1_jEEvDpT3_, .Lfunc_end209-_Z6kernelI27subtract_right_partial_tileLj256ELj32ELb0EJPdPiS1_jEEvDpT3_
                                        ; -- End function
	.set _Z6kernelI27subtract_right_partial_tileLj256ELj32ELb0EJPdPiS1_jEEvDpT3_.num_vgpr, 162
	.set _Z6kernelI27subtract_right_partial_tileLj256ELj32ELb0EJPdPiS1_jEEvDpT3_.num_agpr, 0
	.set _Z6kernelI27subtract_right_partial_tileLj256ELj32ELb0EJPdPiS1_jEEvDpT3_.numbered_sgpr, 14
	.set _Z6kernelI27subtract_right_partial_tileLj256ELj32ELb0EJPdPiS1_jEEvDpT3_.num_named_barrier, 0
	.set _Z6kernelI27subtract_right_partial_tileLj256ELj32ELb0EJPdPiS1_jEEvDpT3_.private_seg_size, 0
	.set _Z6kernelI27subtract_right_partial_tileLj256ELj32ELb0EJPdPiS1_jEEvDpT3_.uses_vcc, 1
	.set _Z6kernelI27subtract_right_partial_tileLj256ELj32ELb0EJPdPiS1_jEEvDpT3_.uses_flat_scratch, 0
	.set _Z6kernelI27subtract_right_partial_tileLj256ELj32ELb0EJPdPiS1_jEEvDpT3_.has_dyn_sized_stack, 0
	.set _Z6kernelI27subtract_right_partial_tileLj256ELj32ELb0EJPdPiS1_jEEvDpT3_.has_recursion, 0
	.set _Z6kernelI27subtract_right_partial_tileLj256ELj32ELb0EJPdPiS1_jEEvDpT3_.has_indirect_call, 0
	.section	.AMDGPU.csdata,"",@progbits
; Kernel info:
; codeLenInByte = 2160
; TotalNumSgprs: 16
; NumVgprs: 162
; ScratchSize: 0
; MemoryBound: 0
; FloatMode: 240
; IeeeMode: 1
; LDSByteSize: 4096 bytes/workgroup (compile time only)
; SGPRBlocks: 0
; VGPRBlocks: 10
; NumSGPRsForWavesPerEU: 16
; NumVGPRsForWavesPerEU: 162
; NamedBarCnt: 0
; Occupancy: 5
; WaveLimiterHint : 1
; COMPUTE_PGM_RSRC2:SCRATCH_EN: 0
; COMPUTE_PGM_RSRC2:USER_SGPR: 2
; COMPUTE_PGM_RSRC2:TRAP_HANDLER: 0
; COMPUTE_PGM_RSRC2:TGID_X_EN: 1
; COMPUTE_PGM_RSRC2:TGID_Y_EN: 0
; COMPUTE_PGM_RSRC2:TGID_Z_EN: 0
; COMPUTE_PGM_RSRC2:TIDIG_COMP_CNT: 0
	.section	.text._Z6kernelI27subtract_right_partial_tileLj256ELj1ELb1EJPiS1_S1_jEEvDpT3_,"axG",@progbits,_Z6kernelI27subtract_right_partial_tileLj256ELj1ELb1EJPiS1_S1_jEEvDpT3_,comdat
	.protected	_Z6kernelI27subtract_right_partial_tileLj256ELj1ELb1EJPiS1_S1_jEEvDpT3_ ; -- Begin function _Z6kernelI27subtract_right_partial_tileLj256ELj1ELb1EJPiS1_S1_jEEvDpT3_
	.globl	_Z6kernelI27subtract_right_partial_tileLj256ELj1ELb1EJPiS1_S1_jEEvDpT3_
	.p2align	8
	.type	_Z6kernelI27subtract_right_partial_tileLj256ELj1ELb1EJPiS1_S1_jEEvDpT3_,@function
_Z6kernelI27subtract_right_partial_tileLj256ELj1ELb1EJPiS1_S1_jEEvDpT3_: ; @_Z6kernelI27subtract_right_partial_tileLj256ELj1ELb1EJPiS1_S1_jEEvDpT3_
; %bb.0:
	s_load_b128 s[8:11], s[0:1], 0x0
	s_bfe_u32 s2, ttmp6, 0x4000c
	s_and_b32 s3, ttmp6, 15
	s_add_co_i32 s2, s2, 1
	s_getreg_b32 s4, hwreg(HW_REG_IB_STS2, 6, 4)
	s_mul_i32 s2, ttmp9, s2
	v_add_nc_u32_e32 v3, 1, v0
	s_add_co_i32 s3, s3, s2
	s_cmp_eq_u32 s4, 0
	s_cselect_b32 s12, ttmp9, s3
	s_mov_b32 s3, 0
	s_lshl_b32 s2, s12, 8
	s_delay_alu instid0(SALU_CYCLE_1)
	s_lshl_b64 s[4:5], s[2:3], 2
	s_wait_xcnt 0x0
	s_load_b96 s[0:2], s[0:1], 0x10
	s_wait_kmcnt 0x0
	s_add_nc_u64 s[6:7], s[8:9], s[4:5]
	global_load_b32 v1, v0, s[6:7] scale_offset
	s_cvt_f32_u32 s3, s2
	s_wait_xcnt 0x0
	s_sub_co_i32 s6, 0, s2
	s_delay_alu instid0(SALU_CYCLE_1) | instskip(SKIP_1) | instid1(TRANS32_DEP_1)
	v_rcp_iflag_f32_e32 v2, s3
	v_nop
	v_readfirstlane_b32 s3, v2
	v_lshlrev_b32_e32 v2, 2, v0
	s_mul_f32 s3, s3, 0x4f7ffffe
	s_delay_alu instid0(SALU_CYCLE_3) | instskip(NEXT) | instid1(SALU_CYCLE_3)
	s_cvt_u32_f32 s3, s3
	s_mul_i32 s6, s6, s3
	s_delay_alu instid0(SALU_CYCLE_1) | instskip(NEXT) | instid1(SALU_CYCLE_1)
	s_mul_hi_u32 s6, s3, s6
	s_add_co_i32 s6, s3, s6
	s_load_b32 s3, s[10:11], s12 offset:0x0 scale_offset
	s_lshr_b32 s6, s6, 24
	s_delay_alu instid0(SALU_CYCLE_1) | instskip(SKIP_2) | instid1(SALU_CYCLE_1)
	s_mul_i32 s7, s6, s2
	s_add_co_i32 s8, s6, 1
	s_sub_co_i32 s7, 0x100, s7
	s_sub_co_i32 s9, s7, s2
	s_cmp_ge_u32 s7, s2
	s_cselect_b32 s6, s8, s6
	s_cselect_b32 s7, s9, s7
	s_add_co_i32 s8, s6, 1
	s_cmp_ge_u32 s7, s2
	s_cselect_b32 s6, s8, s6
	s_delay_alu instid0(SALU_CYCLE_1)
	s_add_co_i32 s6, s6, 1
	s_branch .LBB210_2
.LBB210_1:                              ;   in Loop: Header=BB210_2 Depth=1
	s_or_b32 exec_lo, exec_lo, s7
	s_add_co_i32 s3, s6, s3
	s_delay_alu instid0(VALU_DEP_1)
	v_add_nc_u32_e32 v1, v4, v1
	s_add_co_i32 s2, s2, -1
	s_and_b32 s3, s3, 0xff
	s_cmp_lg_u32 s2, 0
	s_barrier_signal -1
	s_barrier_wait -1
	s_cbranch_scc0 .LBB210_4
.LBB210_2:                              ; =>This Inner Loop Header: Depth=1
	s_wait_loadcnt 0x0
	v_mov_b32_e32 v4, v1
	s_mov_b32 s7, exec_lo
	ds_store_b32 v2, v1 offset:1024
	s_wait_dscnt 0x0
	s_barrier_signal -1
	s_barrier_wait -1
	s_wait_kmcnt 0x0
	v_cmpx_gt_u32_e64 s3, v3
	s_cbranch_execz .LBB210_1
; %bb.3:                                ;   in Loop: Header=BB210_2 Depth=1
	ds_load_b32 v4, v2 offset:1028
	s_wait_dscnt 0x0
	v_sub_nc_u32_e32 v4, v1, v4
	s_branch .LBB210_1
.LBB210_4:
	s_add_nc_u64 s[0:1], s[0:1], s[4:5]
	global_store_b32 v0, v1, s[0:1] scale_offset
	s_endpgm
	.section	.rodata,"a",@progbits
	.p2align	6, 0x0
	.amdhsa_kernel _Z6kernelI27subtract_right_partial_tileLj256ELj1ELb1EJPiS1_S1_jEEvDpT3_
		.amdhsa_group_segment_fixed_size 2048
		.amdhsa_private_segment_fixed_size 0
		.amdhsa_kernarg_size 28
		.amdhsa_user_sgpr_count 2
		.amdhsa_user_sgpr_dispatch_ptr 0
		.amdhsa_user_sgpr_queue_ptr 0
		.amdhsa_user_sgpr_kernarg_segment_ptr 1
		.amdhsa_user_sgpr_dispatch_id 0
		.amdhsa_user_sgpr_kernarg_preload_length 0
		.amdhsa_user_sgpr_kernarg_preload_offset 0
		.amdhsa_user_sgpr_private_segment_size 0
		.amdhsa_wavefront_size32 1
		.amdhsa_uses_dynamic_stack 0
		.amdhsa_enable_private_segment 0
		.amdhsa_system_sgpr_workgroup_id_x 1
		.amdhsa_system_sgpr_workgroup_id_y 0
		.amdhsa_system_sgpr_workgroup_id_z 0
		.amdhsa_system_sgpr_workgroup_info 0
		.amdhsa_system_vgpr_workitem_id 0
		.amdhsa_next_free_vgpr 5
		.amdhsa_next_free_sgpr 13
		.amdhsa_named_barrier_count 0
		.amdhsa_reserve_vcc 0
		.amdhsa_float_round_mode_32 0
		.amdhsa_float_round_mode_16_64 0
		.amdhsa_float_denorm_mode_32 3
		.amdhsa_float_denorm_mode_16_64 3
		.amdhsa_fp16_overflow 0
		.amdhsa_memory_ordered 1
		.amdhsa_forward_progress 1
		.amdhsa_inst_pref_size 3
		.amdhsa_round_robin_scheduling 0
		.amdhsa_exception_fp_ieee_invalid_op 0
		.amdhsa_exception_fp_denorm_src 0
		.amdhsa_exception_fp_ieee_div_zero 0
		.amdhsa_exception_fp_ieee_overflow 0
		.amdhsa_exception_fp_ieee_underflow 0
		.amdhsa_exception_fp_ieee_inexact 0
		.amdhsa_exception_int_div_zero 0
	.end_amdhsa_kernel
	.section	.text._Z6kernelI27subtract_right_partial_tileLj256ELj1ELb1EJPiS1_S1_jEEvDpT3_,"axG",@progbits,_Z6kernelI27subtract_right_partial_tileLj256ELj1ELb1EJPiS1_S1_jEEvDpT3_,comdat
.Lfunc_end210:
	.size	_Z6kernelI27subtract_right_partial_tileLj256ELj1ELb1EJPiS1_S1_jEEvDpT3_, .Lfunc_end210-_Z6kernelI27subtract_right_partial_tileLj256ELj1ELb1EJPiS1_S1_jEEvDpT3_
                                        ; -- End function
	.set _Z6kernelI27subtract_right_partial_tileLj256ELj1ELb1EJPiS1_S1_jEEvDpT3_.num_vgpr, 5
	.set _Z6kernelI27subtract_right_partial_tileLj256ELj1ELb1EJPiS1_S1_jEEvDpT3_.num_agpr, 0
	.set _Z6kernelI27subtract_right_partial_tileLj256ELj1ELb1EJPiS1_S1_jEEvDpT3_.numbered_sgpr, 13
	.set _Z6kernelI27subtract_right_partial_tileLj256ELj1ELb1EJPiS1_S1_jEEvDpT3_.num_named_barrier, 0
	.set _Z6kernelI27subtract_right_partial_tileLj256ELj1ELb1EJPiS1_S1_jEEvDpT3_.private_seg_size, 0
	.set _Z6kernelI27subtract_right_partial_tileLj256ELj1ELb1EJPiS1_S1_jEEvDpT3_.uses_vcc, 0
	.set _Z6kernelI27subtract_right_partial_tileLj256ELj1ELb1EJPiS1_S1_jEEvDpT3_.uses_flat_scratch, 0
	.set _Z6kernelI27subtract_right_partial_tileLj256ELj1ELb1EJPiS1_S1_jEEvDpT3_.has_dyn_sized_stack, 0
	.set _Z6kernelI27subtract_right_partial_tileLj256ELj1ELb1EJPiS1_S1_jEEvDpT3_.has_recursion, 0
	.set _Z6kernelI27subtract_right_partial_tileLj256ELj1ELb1EJPiS1_S1_jEEvDpT3_.has_indirect_call, 0
	.section	.AMDGPU.csdata,"",@progbits
; Kernel info:
; codeLenInByte = 364
; TotalNumSgprs: 13
; NumVgprs: 5
; ScratchSize: 0
; MemoryBound: 0
; FloatMode: 240
; IeeeMode: 1
; LDSByteSize: 2048 bytes/workgroup (compile time only)
; SGPRBlocks: 0
; VGPRBlocks: 0
; NumSGPRsForWavesPerEU: 13
; NumVGPRsForWavesPerEU: 5
; NamedBarCnt: 0
; Occupancy: 16
; WaveLimiterHint : 0
; COMPUTE_PGM_RSRC2:SCRATCH_EN: 0
; COMPUTE_PGM_RSRC2:USER_SGPR: 2
; COMPUTE_PGM_RSRC2:TRAP_HANDLER: 0
; COMPUTE_PGM_RSRC2:TGID_X_EN: 1
; COMPUTE_PGM_RSRC2:TGID_Y_EN: 0
; COMPUTE_PGM_RSRC2:TGID_Z_EN: 0
; COMPUTE_PGM_RSRC2:TIDIG_COMP_CNT: 0
	.section	.text._Z6kernelI27subtract_right_partial_tileLj256ELj3ELb1EJPiS1_S1_jEEvDpT3_,"axG",@progbits,_Z6kernelI27subtract_right_partial_tileLj256ELj3ELb1EJPiS1_S1_jEEvDpT3_,comdat
	.protected	_Z6kernelI27subtract_right_partial_tileLj256ELj3ELb1EJPiS1_S1_jEEvDpT3_ ; -- Begin function _Z6kernelI27subtract_right_partial_tileLj256ELj3ELb1EJPiS1_S1_jEEvDpT3_
	.globl	_Z6kernelI27subtract_right_partial_tileLj256ELj3ELb1EJPiS1_S1_jEEvDpT3_
	.p2align	8
	.type	_Z6kernelI27subtract_right_partial_tileLj256ELj3ELb1EJPiS1_S1_jEEvDpT3_,@function
_Z6kernelI27subtract_right_partial_tileLj256ELj3ELb1EJPiS1_S1_jEEvDpT3_: ; @_Z6kernelI27subtract_right_partial_tileLj256ELj3ELb1EJPiS1_S1_jEEvDpT3_
; %bb.0:
	s_load_b128 s[8:11], s[0:1], 0x0
	s_bfe_u32 s2, ttmp6, 0x4000c
	s_and_b32 s3, ttmp6, 15
	s_add_co_i32 s2, s2, 1
	s_getreg_b32 s4, hwreg(HW_REG_IB_STS2, 6, 4)
	s_mul_i32 s2, ttmp9, s2
	v_mad_u32_u24 v5, v0, 3, 1
	s_add_co_i32 s3, s3, s2
	s_cmp_eq_u32 s4, 0
	v_mad_u32_u24 v6, v0, 3, 2
	s_cselect_b32 s12, ttmp9, s3
	s_mov_b32 s3, 0
	s_mul_i32 s2, s12, 0x300
	v_mad_u32_u24 v7, v0, 3, 3
	s_lshl_b64 s[4:5], s[2:3], 2
	s_wait_xcnt 0x0
	s_load_b96 s[0:2], s[0:1], 0x10
	s_wait_kmcnt 0x0
	s_add_nc_u64 s[6:7], s[8:9], s[4:5]
	s_clause 0x2
	global_load_b32 v1, v0, s[6:7] scale_offset
	global_load_b32 v2, v0, s[6:7] offset:1024 scale_offset
	global_load_b32 v3, v0, s[6:7] offset:2048 scale_offset
	s_cvt_f32_u32 s3, s2
	s_wait_xcnt 0x0
	s_sub_co_i32 s6, 0, s2
	s_delay_alu instid0(SALU_CYCLE_1) | instskip(SKIP_1) | instid1(TRANS32_DEP_1)
	v_rcp_iflag_f32_e32 v4, s3
	v_nop
	v_readfirstlane_b32 s3, v4
	v_lshlrev_b32_e32 v4, 2, v0
	s_mul_f32 s3, s3, 0x4f7ffffe
	s_delay_alu instid0(SALU_CYCLE_3) | instskip(NEXT) | instid1(SALU_CYCLE_3)
	s_cvt_u32_f32 s3, s3
	s_mul_i32 s6, s6, s3
	s_delay_alu instid0(SALU_CYCLE_1) | instskip(NEXT) | instid1(SALU_CYCLE_1)
	s_mul_hi_u32 s6, s3, s6
	s_add_co_i32 s3, s3, s6
	s_delay_alu instid0(SALU_CYCLE_1) | instskip(SKIP_4) | instid1(SALU_CYCLE_1)
	s_mul_hi_u32 s6, s3, 0x300
	s_load_b32 s3, s[10:11], s12 offset:0x0 scale_offset
	s_mul_i32 s7, s6, s2
	s_add_co_i32 s8, s6, 1
	s_sub_co_i32 s7, 0x300, s7
	s_sub_co_i32 s9, s7, s2
	s_cmp_ge_u32 s7, s2
	s_cselect_b32 s6, s8, s6
	s_cselect_b32 s7, s9, s7
	s_add_co_i32 s8, s6, 1
	s_cmp_ge_u32 s7, s2
	s_cselect_b32 s6, s8, s6
	s_delay_alu instid0(SALU_CYCLE_1)
	s_add_co_i32 s6, s6, 1
	s_branch .LBB211_2
.LBB211_1:                              ;   in Loop: Header=BB211_2 Depth=1
	s_or_b32 exec_lo, exec_lo, s7
	s_add_co_i32 s3, s6, s3
	v_dual_add_nc_u32 v1, v8, v1 :: v_dual_add_nc_u32 v2, v9, v2
	s_mul_hi_u32 s7, s3, 0xaaaaaaab
	v_add_nc_u32_e32 v3, v10, v3
	s_lshr_b32 s7, s7, 9
	s_add_co_i32 s2, s2, -1
	s_mulk_i32 s7, 0x300
	s_delay_alu instid0(SALU_CYCLE_1)
	s_sub_co_i32 s3, s3, s7
	s_cmp_lg_u32 s2, 0
	s_barrier_signal -1
	s_barrier_wait -1
	s_cbranch_scc0 .LBB211_4
.LBB211_2:                              ; =>This Inner Loop Header: Depth=1
	s_wait_loadcnt 0x0
	v_dual_sub_nc_u32 v8, v1, v2 :: v_dual_sub_nc_u32 v9, v2, v3
	s_wait_kmcnt 0x0
	v_cmp_gt_u32_e32 vcc_lo, s3, v5
	v_mov_b32_e32 v10, v3
	s_mov_b32 s7, exec_lo
	ds_store_b32 v4, v1 offset:1024
	s_wait_dscnt 0x0
	v_cndmask_b32_e32 v8, v1, v8, vcc_lo
	v_cmp_gt_u32_e32 vcc_lo, s3, v6
	s_barrier_signal -1
	s_barrier_wait -1
	v_cndmask_b32_e32 v9, v2, v9, vcc_lo
	v_cmpx_gt_u32_e64 s3, v7
	s_cbranch_execz .LBB211_1
; %bb.3:                                ;   in Loop: Header=BB211_2 Depth=1
	ds_load_b32 v10, v4 offset:1028
	s_wait_dscnt 0x0
	v_sub_nc_u32_e32 v10, v3, v10
	s_branch .LBB211_1
.LBB211_4:
	s_add_nc_u64 s[0:1], s[0:1], s[4:5]
	s_clause 0x2
	global_store_b32 v0, v1, s[0:1] scale_offset
	global_store_b32 v0, v2, s[0:1] offset:1024 scale_offset
	global_store_b32 v0, v3, s[0:1] offset:2048 scale_offset
	s_endpgm
	.section	.rodata,"a",@progbits
	.p2align	6, 0x0
	.amdhsa_kernel _Z6kernelI27subtract_right_partial_tileLj256ELj3ELb1EJPiS1_S1_jEEvDpT3_
		.amdhsa_group_segment_fixed_size 2048
		.amdhsa_private_segment_fixed_size 0
		.amdhsa_kernarg_size 28
		.amdhsa_user_sgpr_count 2
		.amdhsa_user_sgpr_dispatch_ptr 0
		.amdhsa_user_sgpr_queue_ptr 0
		.amdhsa_user_sgpr_kernarg_segment_ptr 1
		.amdhsa_user_sgpr_dispatch_id 0
		.amdhsa_user_sgpr_kernarg_preload_length 0
		.amdhsa_user_sgpr_kernarg_preload_offset 0
		.amdhsa_user_sgpr_private_segment_size 0
		.amdhsa_wavefront_size32 1
		.amdhsa_uses_dynamic_stack 0
		.amdhsa_enable_private_segment 0
		.amdhsa_system_sgpr_workgroup_id_x 1
		.amdhsa_system_sgpr_workgroup_id_y 0
		.amdhsa_system_sgpr_workgroup_id_z 0
		.amdhsa_system_sgpr_workgroup_info 0
		.amdhsa_system_vgpr_workitem_id 0
		.amdhsa_next_free_vgpr 11
		.amdhsa_next_free_sgpr 13
		.amdhsa_named_barrier_count 0
		.amdhsa_reserve_vcc 1
		.amdhsa_float_round_mode_32 0
		.amdhsa_float_round_mode_16_64 0
		.amdhsa_float_denorm_mode_32 3
		.amdhsa_float_denorm_mode_16_64 3
		.amdhsa_fp16_overflow 0
		.amdhsa_memory_ordered 1
		.amdhsa_forward_progress 1
		.amdhsa_inst_pref_size 4
		.amdhsa_round_robin_scheduling 0
		.amdhsa_exception_fp_ieee_invalid_op 0
		.amdhsa_exception_fp_denorm_src 0
		.amdhsa_exception_fp_ieee_div_zero 0
		.amdhsa_exception_fp_ieee_overflow 0
		.amdhsa_exception_fp_ieee_underflow 0
		.amdhsa_exception_fp_ieee_inexact 0
		.amdhsa_exception_int_div_zero 0
	.end_amdhsa_kernel
	.section	.text._Z6kernelI27subtract_right_partial_tileLj256ELj3ELb1EJPiS1_S1_jEEvDpT3_,"axG",@progbits,_Z6kernelI27subtract_right_partial_tileLj256ELj3ELb1EJPiS1_S1_jEEvDpT3_,comdat
.Lfunc_end211:
	.size	_Z6kernelI27subtract_right_partial_tileLj256ELj3ELb1EJPiS1_S1_jEEvDpT3_, .Lfunc_end211-_Z6kernelI27subtract_right_partial_tileLj256ELj3ELb1EJPiS1_S1_jEEvDpT3_
                                        ; -- End function
	.set _Z6kernelI27subtract_right_partial_tileLj256ELj3ELb1EJPiS1_S1_jEEvDpT3_.num_vgpr, 11
	.set _Z6kernelI27subtract_right_partial_tileLj256ELj3ELb1EJPiS1_S1_jEEvDpT3_.num_agpr, 0
	.set _Z6kernelI27subtract_right_partial_tileLj256ELj3ELb1EJPiS1_S1_jEEvDpT3_.numbered_sgpr, 13
	.set _Z6kernelI27subtract_right_partial_tileLj256ELj3ELb1EJPiS1_S1_jEEvDpT3_.num_named_barrier, 0
	.set _Z6kernelI27subtract_right_partial_tileLj256ELj3ELb1EJPiS1_S1_jEEvDpT3_.private_seg_size, 0
	.set _Z6kernelI27subtract_right_partial_tileLj256ELj3ELb1EJPiS1_S1_jEEvDpT3_.uses_vcc, 1
	.set _Z6kernelI27subtract_right_partial_tileLj256ELj3ELb1EJPiS1_S1_jEEvDpT3_.uses_flat_scratch, 0
	.set _Z6kernelI27subtract_right_partial_tileLj256ELj3ELb1EJPiS1_S1_jEEvDpT3_.has_dyn_sized_stack, 0
	.set _Z6kernelI27subtract_right_partial_tileLj256ELj3ELb1EJPiS1_S1_jEEvDpT3_.has_recursion, 0
	.set _Z6kernelI27subtract_right_partial_tileLj256ELj3ELb1EJPiS1_S1_jEEvDpT3_.has_indirect_call, 0
	.section	.AMDGPU.csdata,"",@progbits
; Kernel info:
; codeLenInByte = 496
; TotalNumSgprs: 15
; NumVgprs: 11
; ScratchSize: 0
; MemoryBound: 0
; FloatMode: 240
; IeeeMode: 1
; LDSByteSize: 2048 bytes/workgroup (compile time only)
; SGPRBlocks: 0
; VGPRBlocks: 0
; NumSGPRsForWavesPerEU: 15
; NumVGPRsForWavesPerEU: 11
; NamedBarCnt: 0
; Occupancy: 16
; WaveLimiterHint : 1
; COMPUTE_PGM_RSRC2:SCRATCH_EN: 0
; COMPUTE_PGM_RSRC2:USER_SGPR: 2
; COMPUTE_PGM_RSRC2:TRAP_HANDLER: 0
; COMPUTE_PGM_RSRC2:TGID_X_EN: 1
; COMPUTE_PGM_RSRC2:TGID_Y_EN: 0
; COMPUTE_PGM_RSRC2:TGID_Z_EN: 0
; COMPUTE_PGM_RSRC2:TIDIG_COMP_CNT: 0
	.section	.text._Z6kernelI27subtract_right_partial_tileLj256ELj4ELb1EJPiS1_S1_jEEvDpT3_,"axG",@progbits,_Z6kernelI27subtract_right_partial_tileLj256ELj4ELb1EJPiS1_S1_jEEvDpT3_,comdat
	.protected	_Z6kernelI27subtract_right_partial_tileLj256ELj4ELb1EJPiS1_S1_jEEvDpT3_ ; -- Begin function _Z6kernelI27subtract_right_partial_tileLj256ELj4ELb1EJPiS1_S1_jEEvDpT3_
	.globl	_Z6kernelI27subtract_right_partial_tileLj256ELj4ELb1EJPiS1_S1_jEEvDpT3_
	.p2align	8
	.type	_Z6kernelI27subtract_right_partial_tileLj256ELj4ELb1EJPiS1_S1_jEEvDpT3_,@function
_Z6kernelI27subtract_right_partial_tileLj256ELj4ELb1EJPiS1_S1_jEEvDpT3_: ; @_Z6kernelI27subtract_right_partial_tileLj256ELj4ELb1EJPiS1_S1_jEEvDpT3_
; %bb.0:
	s_load_b128 s[8:11], s[0:1], 0x0
	s_bfe_u32 s2, ttmp6, 0x4000c
	s_and_b32 s3, ttmp6, 15
	s_add_co_i32 s2, s2, 1
	s_getreg_b32 s4, hwreg(HW_REG_IB_STS2, 6, 4)
	s_mul_i32 s2, ttmp9, s2
	s_delay_alu instid0(SALU_CYCLE_1) | instskip(SKIP_4) | instid1(SALU_CYCLE_1)
	s_add_co_i32 s3, s3, s2
	s_cmp_eq_u32 s4, 0
	s_cselect_b32 s12, ttmp9, s3
	s_mov_b32 s3, 0
	s_lshl_b32 s2, s12, 10
	s_lshl_b64 s[4:5], s[2:3], 2
	s_wait_xcnt 0x0
	s_load_b96 s[0:2], s[0:1], 0x10
	s_wait_kmcnt 0x0
	s_add_nc_u64 s[6:7], s[8:9], s[4:5]
	s_clause 0x3
	global_load_b32 v1, v0, s[6:7] scale_offset
	global_load_b32 v2, v0, s[6:7] offset:1024 scale_offset
	global_load_b32 v3, v0, s[6:7] offset:2048 scale_offset
	;; [unrolled: 1-line block ×3, first 2 shown]
	s_cvt_f32_u32 s3, s2
	s_wait_xcnt 0x0
	s_sub_co_i32 s6, 0, s2
	s_delay_alu instid0(SALU_CYCLE_1) | instskip(SKIP_1) | instid1(TRANS32_DEP_1)
	v_rcp_iflag_f32_e32 v5, s3
	v_nop
	v_readfirstlane_b32 s3, v5
	v_lshlrev_b32_e32 v5, 2, v0
	s_mul_f32 s3, s3, 0x4f7ffffe
	s_delay_alu instid0(VALU_DEP_1) | instskip(SKIP_1) | instid1(SALU_CYCLE_1)
	v_dual_add_nc_u32 v9, 4, v5 :: v_dual_bitop2_b32 v6, 1, v5 bitop3:0x54
	v_or_b32_e32 v7, 2, v5
	s_cvt_u32_f32 s3, s3
	v_or_b32_e32 v8, 3, v5
	s_delay_alu instid0(SALU_CYCLE_2) | instskip(NEXT) | instid1(SALU_CYCLE_1)
	s_mul_i32 s6, s6, s3
	s_mul_hi_u32 s6, s3, s6
	s_delay_alu instid0(SALU_CYCLE_1) | instskip(NEXT) | instid1(SALU_CYCLE_1)
	s_add_co_i32 s3, s3, s6
	s_lshr_b32 s6, s3, 22
	s_load_b32 s3, s[10:11], s12 offset:0x0 scale_offset
	s_mul_i32 s7, s6, s2
	s_add_co_i32 s8, s6, 1
	s_sub_co_i32 s7, 0x400, s7
	s_delay_alu instid0(SALU_CYCLE_1)
	s_sub_co_i32 s9, s7, s2
	s_cmp_ge_u32 s7, s2
	s_cselect_b32 s6, s8, s6
	s_cselect_b32 s7, s9, s7
	s_add_co_i32 s8, s6, 1
	s_cmp_ge_u32 s7, s2
	s_cselect_b32 s6, s8, s6
	s_delay_alu instid0(SALU_CYCLE_1)
	s_add_co_i32 s6, s6, 1
	s_branch .LBB212_2
.LBB212_1:                              ;   in Loop: Header=BB212_2 Depth=1
	s_or_b32 exec_lo, exec_lo, s7
	v_dual_add_nc_u32 v1, v10, v1 :: v_dual_add_nc_u32 v2, v11, v2
	s_delay_alu instid0(VALU_DEP_2)
	v_dual_add_nc_u32 v3, v12, v3 :: v_dual_add_nc_u32 v4, v13, v4
	s_add_co_i32 s3, s6, s3
	s_add_co_i32 s2, s2, -1
	s_and_b32 s3, s3, 0x3ff
	s_cmp_lg_u32 s2, 0
	s_barrier_signal -1
	s_barrier_wait -1
	s_cbranch_scc0 .LBB212_4
.LBB212_2:                              ; =>This Inner Loop Header: Depth=1
	s_wait_loadcnt 0x1
	v_dual_sub_nc_u32 v10, v1, v2 :: v_dual_sub_nc_u32 v11, v2, v3
	s_wait_kmcnt 0x0
	v_cmp_gt_u32_e32 vcc_lo, s3, v6
	s_wait_loadcnt 0x0
	v_dual_mov_b32 v13, v4 :: v_dual_sub_nc_u32 v12, v3, v4
	s_mov_b32 s7, exec_lo
	ds_store_b32 v5, v1 offset:1024
	v_cndmask_b32_e32 v10, v1, v10, vcc_lo
	v_cmp_gt_u32_e32 vcc_lo, s3, v7
	s_wait_dscnt 0x0
	s_barrier_signal -1
	s_barrier_wait -1
	v_cndmask_b32_e32 v11, v2, v11, vcc_lo
	v_cmp_gt_u32_e32 vcc_lo, s3, v8
	v_cndmask_b32_e32 v12, v3, v12, vcc_lo
	v_cmpx_gt_u32_e64 s3, v9
	s_cbranch_execz .LBB212_1
; %bb.3:                                ;   in Loop: Header=BB212_2 Depth=1
	ds_load_b32 v13, v5 offset:1028
	s_wait_dscnt 0x0
	v_sub_nc_u32_e32 v13, v4, v13
	s_branch .LBB212_1
.LBB212_4:
	s_add_nc_u64 s[0:1], s[0:1], s[4:5]
	s_clause 0x3
	global_store_b32 v0, v1, s[0:1] scale_offset
	global_store_b32 v0, v2, s[0:1] offset:1024 scale_offset
	global_store_b32 v0, v3, s[0:1] offset:2048 scale_offset
	;; [unrolled: 1-line block ×3, first 2 shown]
	s_endpgm
	.section	.rodata,"a",@progbits
	.p2align	6, 0x0
	.amdhsa_kernel _Z6kernelI27subtract_right_partial_tileLj256ELj4ELb1EJPiS1_S1_jEEvDpT3_
		.amdhsa_group_segment_fixed_size 2048
		.amdhsa_private_segment_fixed_size 0
		.amdhsa_kernarg_size 28
		.amdhsa_user_sgpr_count 2
		.amdhsa_user_sgpr_dispatch_ptr 0
		.amdhsa_user_sgpr_queue_ptr 0
		.amdhsa_user_sgpr_kernarg_segment_ptr 1
		.amdhsa_user_sgpr_dispatch_id 0
		.amdhsa_user_sgpr_kernarg_preload_length 0
		.amdhsa_user_sgpr_kernarg_preload_offset 0
		.amdhsa_user_sgpr_private_segment_size 0
		.amdhsa_wavefront_size32 1
		.amdhsa_uses_dynamic_stack 0
		.amdhsa_enable_private_segment 0
		.amdhsa_system_sgpr_workgroup_id_x 1
		.amdhsa_system_sgpr_workgroup_id_y 0
		.amdhsa_system_sgpr_workgroup_id_z 0
		.amdhsa_system_sgpr_workgroup_info 0
		.amdhsa_system_vgpr_workitem_id 0
		.amdhsa_next_free_vgpr 14
		.amdhsa_next_free_sgpr 13
		.amdhsa_named_barrier_count 0
		.amdhsa_reserve_vcc 1
		.amdhsa_float_round_mode_32 0
		.amdhsa_float_round_mode_16_64 0
		.amdhsa_float_denorm_mode_32 3
		.amdhsa_float_denorm_mode_16_64 3
		.amdhsa_fp16_overflow 0
		.amdhsa_memory_ordered 1
		.amdhsa_forward_progress 1
		.amdhsa_inst_pref_size 5
		.amdhsa_round_robin_scheduling 0
		.amdhsa_exception_fp_ieee_invalid_op 0
		.amdhsa_exception_fp_denorm_src 0
		.amdhsa_exception_fp_ieee_div_zero 0
		.amdhsa_exception_fp_ieee_overflow 0
		.amdhsa_exception_fp_ieee_underflow 0
		.amdhsa_exception_fp_ieee_inexact 0
		.amdhsa_exception_int_div_zero 0
	.end_amdhsa_kernel
	.section	.text._Z6kernelI27subtract_right_partial_tileLj256ELj4ELb1EJPiS1_S1_jEEvDpT3_,"axG",@progbits,_Z6kernelI27subtract_right_partial_tileLj256ELj4ELb1EJPiS1_S1_jEEvDpT3_,comdat
.Lfunc_end212:
	.size	_Z6kernelI27subtract_right_partial_tileLj256ELj4ELb1EJPiS1_S1_jEEvDpT3_, .Lfunc_end212-_Z6kernelI27subtract_right_partial_tileLj256ELj4ELb1EJPiS1_S1_jEEvDpT3_
                                        ; -- End function
	.set _Z6kernelI27subtract_right_partial_tileLj256ELj4ELb1EJPiS1_S1_jEEvDpT3_.num_vgpr, 14
	.set _Z6kernelI27subtract_right_partial_tileLj256ELj4ELb1EJPiS1_S1_jEEvDpT3_.num_agpr, 0
	.set _Z6kernelI27subtract_right_partial_tileLj256ELj4ELb1EJPiS1_S1_jEEvDpT3_.numbered_sgpr, 13
	.set _Z6kernelI27subtract_right_partial_tileLj256ELj4ELb1EJPiS1_S1_jEEvDpT3_.num_named_barrier, 0
	.set _Z6kernelI27subtract_right_partial_tileLj256ELj4ELb1EJPiS1_S1_jEEvDpT3_.private_seg_size, 0
	.set _Z6kernelI27subtract_right_partial_tileLj256ELj4ELb1EJPiS1_S1_jEEvDpT3_.uses_vcc, 1
	.set _Z6kernelI27subtract_right_partial_tileLj256ELj4ELb1EJPiS1_S1_jEEvDpT3_.uses_flat_scratch, 0
	.set _Z6kernelI27subtract_right_partial_tileLj256ELj4ELb1EJPiS1_S1_jEEvDpT3_.has_dyn_sized_stack, 0
	.set _Z6kernelI27subtract_right_partial_tileLj256ELj4ELb1EJPiS1_S1_jEEvDpT3_.has_recursion, 0
	.set _Z6kernelI27subtract_right_partial_tileLj256ELj4ELb1EJPiS1_S1_jEEvDpT3_.has_indirect_call, 0
	.section	.AMDGPU.csdata,"",@progbits
; Kernel info:
; codeLenInByte = 528
; TotalNumSgprs: 15
; NumVgprs: 14
; ScratchSize: 0
; MemoryBound: 0
; FloatMode: 240
; IeeeMode: 1
; LDSByteSize: 2048 bytes/workgroup (compile time only)
; SGPRBlocks: 0
; VGPRBlocks: 0
; NumSGPRsForWavesPerEU: 15
; NumVGPRsForWavesPerEU: 14
; NamedBarCnt: 0
; Occupancy: 16
; WaveLimiterHint : 1
; COMPUTE_PGM_RSRC2:SCRATCH_EN: 0
; COMPUTE_PGM_RSRC2:USER_SGPR: 2
; COMPUTE_PGM_RSRC2:TRAP_HANDLER: 0
; COMPUTE_PGM_RSRC2:TGID_X_EN: 1
; COMPUTE_PGM_RSRC2:TGID_Y_EN: 0
; COMPUTE_PGM_RSRC2:TGID_Z_EN: 0
; COMPUTE_PGM_RSRC2:TIDIG_COMP_CNT: 0
	.section	.text._Z6kernelI27subtract_right_partial_tileLj256ELj8ELb1EJPiS1_S1_jEEvDpT3_,"axG",@progbits,_Z6kernelI27subtract_right_partial_tileLj256ELj8ELb1EJPiS1_S1_jEEvDpT3_,comdat
	.protected	_Z6kernelI27subtract_right_partial_tileLj256ELj8ELb1EJPiS1_S1_jEEvDpT3_ ; -- Begin function _Z6kernelI27subtract_right_partial_tileLj256ELj8ELb1EJPiS1_S1_jEEvDpT3_
	.globl	_Z6kernelI27subtract_right_partial_tileLj256ELj8ELb1EJPiS1_S1_jEEvDpT3_
	.p2align	8
	.type	_Z6kernelI27subtract_right_partial_tileLj256ELj8ELb1EJPiS1_S1_jEEvDpT3_,@function
_Z6kernelI27subtract_right_partial_tileLj256ELj8ELb1EJPiS1_S1_jEEvDpT3_: ; @_Z6kernelI27subtract_right_partial_tileLj256ELj8ELb1EJPiS1_S1_jEEvDpT3_
; %bb.0:
	s_load_b128 s[4:7], s[0:1], 0x0
	s_bfe_u32 s2, ttmp6, 0x4000c
	s_and_b32 s3, ttmp6, 15
	s_add_co_i32 s2, s2, 1
	s_getreg_b32 s8, hwreg(HW_REG_IB_STS2, 6, 4)
	s_mul_i32 s2, ttmp9, s2
	v_lshlrev_b32_e32 v17, 3, v0
	s_add_co_i32 s3, s3, s2
	s_cmp_eq_u32 s8, 0
	s_cselect_b32 s10, ttmp9, s3
	s_mov_b32 s3, 0
	s_lshl_b32 s2, s10, 11
	s_delay_alu instid0(SALU_CYCLE_1)
	s_lshl_b64 s[8:9], s[2:3], 2
	s_wait_xcnt 0x0
	s_load_b96 s[0:2], s[0:1], 0x10
	s_wait_kmcnt 0x0
	s_add_nc_u64 s[4:5], s[4:5], s[8:9]
	s_clause 0x7
	global_load_b32 v1, v0, s[4:5] scale_offset
	global_load_b32 v2, v0, s[4:5] offset:1024 scale_offset
	global_load_b32 v3, v0, s[4:5] offset:2048 scale_offset
	global_load_b32 v4, v0, s[4:5] offset:3072 scale_offset
	global_load_b32 v5, v0, s[4:5] offset:4096 scale_offset
	global_load_b32 v6, v0, s[4:5] offset:5120 scale_offset
	global_load_b32 v7, v0, s[4:5] offset:6144 scale_offset
	global_load_b32 v8, v0, s[4:5] offset:7168 scale_offset
	s_cvt_f32_u32 s3, s2
	s_wait_xcnt 0x0
	s_sub_co_i32 s4, 0, s2
	s_delay_alu instid0(SALU_CYCLE_1) | instskip(SKIP_1) | instid1(TRANS32_DEP_1)
	v_rcp_iflag_f32_e32 v9, s3
	v_nop
	v_readfirstlane_b32 s3, v9
	v_dual_lshlrev_b32 v9, 2, v0 :: v_dual_bitop2_b32 v10, 1, v17 bitop3:0x54
	v_or_b32_e32 v11, 2, v17
	v_or_b32_e32 v12, 3, v17
	s_mul_f32 s3, s3, 0x4f7ffffe
	v_or_b32_e32 v13, 4, v17
	v_or_b32_e32 v14, 5, v17
	;; [unrolled: 1-line block ×3, first 2 shown]
	s_cvt_u32_f32 s3, s3
	v_dual_add_nc_u32 v17, 8, v17 :: v_dual_bitop2_b32 v16, 7, v17 bitop3:0x54
	s_delay_alu instid0(SALU_CYCLE_2) | instskip(NEXT) | instid1(SALU_CYCLE_1)
	s_mul_i32 s4, s4, s3
	s_mul_hi_u32 s4, s3, s4
	s_delay_alu instid0(SALU_CYCLE_1) | instskip(NEXT) | instid1(SALU_CYCLE_1)
	s_add_co_i32 s3, s3, s4
	s_lshr_b32 s4, s3, 21
	s_load_b32 s3, s[6:7], s10 offset:0x0 scale_offset
	s_mul_i32 s5, s4, s2
	s_wait_xcnt 0x0
	s_add_co_i32 s6, s4, 1
	s_sub_co_i32 s5, 0x800, s5
	s_delay_alu instid0(SALU_CYCLE_1)
	s_sub_co_i32 s7, s5, s2
	s_cmp_ge_u32 s5, s2
	s_cselect_b32 s4, s6, s4
	s_cselect_b32 s5, s7, s5
	s_add_co_i32 s6, s4, 1
	s_cmp_ge_u32 s5, s2
	s_cselect_b32 s4, s6, s4
	s_delay_alu instid0(SALU_CYCLE_1)
	s_add_co_i32 s4, s4, 1
	s_branch .LBB213_2
.LBB213_1:                              ;   in Loop: Header=BB213_2 Depth=1
	s_or_b32 exec_lo, exec_lo, s5
	v_cmp_gt_u32_e32 vcc_lo, s3, v10
	s_add_co_i32 s2, s2, -1
	s_barrier_signal -1
	s_barrier_wait -1
	v_cndmask_b32_e32 v19, 0, v2, vcc_lo
	v_cmp_gt_u32_e32 vcc_lo, s3, v11
	v_cndmask_b32_e32 v20, 0, v3, vcc_lo
	v_cmp_gt_u32_e32 vcc_lo, s3, v12
	s_delay_alu instid0(VALU_DEP_2) | instskip(SKIP_2) | instid1(VALU_DEP_3)
	v_dual_sub_nc_u32 v19, v1, v19 :: v_dual_sub_nc_u32 v20, v2, v20
	v_cndmask_b32_e32 v21, 0, v4, vcc_lo
	v_cmp_gt_u32_e32 vcc_lo, s3, v13
	v_dual_add_nc_u32 v1, v19, v1 :: v_dual_add_nc_u32 v2, v20, v2
	v_cndmask_b32_e32 v22, 0, v5, vcc_lo
	v_cmp_gt_u32_e32 vcc_lo, s3, v14
	v_dual_sub_nc_u32 v21, v3, v21 :: v_dual_cndmask_b32 v23, 0, v6, vcc_lo
	v_cmp_gt_u32_e32 vcc_lo, s3, v15
	v_cndmask_b32_e32 v24, 0, v7, vcc_lo
	v_cmp_gt_u32_e32 vcc_lo, s3, v16
	s_delay_alu instid0(VALU_DEP_4) | instskip(SKIP_3) | instid1(VALU_DEP_3)
	v_dual_sub_nc_u32 v22, v4, v22 :: v_dual_sub_nc_u32 v23, v5, v23
	s_add_co_i32 s3, s4, s3
	v_dual_add_nc_u32 v3, v21, v3 :: v_dual_cndmask_b32 v25, 0, v8, vcc_lo
	v_sub_nc_u32_e32 v24, v6, v24
	v_add_nc_u32_e32 v4, v22, v4
	s_and_b32 s3, s3, 0x7ff
	s_delay_alu instid0(VALU_DEP_3) | instskip(NEXT) | instid1(VALU_DEP_3)
	v_dual_add_nc_u32 v8, v18, v8 :: v_dual_sub_nc_u32 v25, v7, v25
	v_dual_add_nc_u32 v5, v23, v5 :: v_dual_add_nc_u32 v6, v24, v6
	s_cmp_lg_u32 s2, 0
	s_delay_alu instid0(VALU_DEP_2)
	v_add_nc_u32_e32 v7, v25, v7
	s_cbranch_scc0 .LBB213_4
.LBB213_2:                              ; =>This Inner Loop Header: Depth=1
	s_wait_loadcnt 0x0
	v_mov_b32_e32 v18, v8
	s_mov_b32 s5, exec_lo
	ds_store_b32 v9, v1 offset:1024
	s_wait_dscnt 0x0
	s_barrier_signal -1
	s_barrier_wait -1
	s_wait_kmcnt 0x0
	v_cmpx_gt_u32_e64 s3, v17
	s_cbranch_execz .LBB213_1
; %bb.3:                                ;   in Loop: Header=BB213_2 Depth=1
	ds_load_b32 v18, v9 offset:1028
	s_wait_dscnt 0x0
	v_sub_nc_u32_e32 v18, v8, v18
	s_branch .LBB213_1
.LBB213_4:
	s_add_nc_u64 s[0:1], s[0:1], s[8:9]
	s_clause 0x7
	global_store_b32 v0, v1, s[0:1] scale_offset
	global_store_b32 v0, v2, s[0:1] offset:1024 scale_offset
	global_store_b32 v0, v3, s[0:1] offset:2048 scale_offset
	;; [unrolled: 1-line block ×7, first 2 shown]
	s_endpgm
	.section	.rodata,"a",@progbits
	.p2align	6, 0x0
	.amdhsa_kernel _Z6kernelI27subtract_right_partial_tileLj256ELj8ELb1EJPiS1_S1_jEEvDpT3_
		.amdhsa_group_segment_fixed_size 2048
		.amdhsa_private_segment_fixed_size 0
		.amdhsa_kernarg_size 28
		.amdhsa_user_sgpr_count 2
		.amdhsa_user_sgpr_dispatch_ptr 0
		.amdhsa_user_sgpr_queue_ptr 0
		.amdhsa_user_sgpr_kernarg_segment_ptr 1
		.amdhsa_user_sgpr_dispatch_id 0
		.amdhsa_user_sgpr_kernarg_preload_length 0
		.amdhsa_user_sgpr_kernarg_preload_offset 0
		.amdhsa_user_sgpr_private_segment_size 0
		.amdhsa_wavefront_size32 1
		.amdhsa_uses_dynamic_stack 0
		.amdhsa_enable_private_segment 0
		.amdhsa_system_sgpr_workgroup_id_x 1
		.amdhsa_system_sgpr_workgroup_id_y 0
		.amdhsa_system_sgpr_workgroup_id_z 0
		.amdhsa_system_sgpr_workgroup_info 0
		.amdhsa_system_vgpr_workitem_id 0
		.amdhsa_next_free_vgpr 26
		.amdhsa_next_free_sgpr 11
		.amdhsa_named_barrier_count 0
		.amdhsa_reserve_vcc 1
		.amdhsa_float_round_mode_32 0
		.amdhsa_float_round_mode_16_64 0
		.amdhsa_float_denorm_mode_32 3
		.amdhsa_float_denorm_mode_16_64 3
		.amdhsa_fp16_overflow 0
		.amdhsa_memory_ordered 1
		.amdhsa_forward_progress 1
		.amdhsa_inst_pref_size 6
		.amdhsa_round_robin_scheduling 0
		.amdhsa_exception_fp_ieee_invalid_op 0
		.amdhsa_exception_fp_denorm_src 0
		.amdhsa_exception_fp_ieee_div_zero 0
		.amdhsa_exception_fp_ieee_overflow 0
		.amdhsa_exception_fp_ieee_underflow 0
		.amdhsa_exception_fp_ieee_inexact 0
		.amdhsa_exception_int_div_zero 0
	.end_amdhsa_kernel
	.section	.text._Z6kernelI27subtract_right_partial_tileLj256ELj8ELb1EJPiS1_S1_jEEvDpT3_,"axG",@progbits,_Z6kernelI27subtract_right_partial_tileLj256ELj8ELb1EJPiS1_S1_jEEvDpT3_,comdat
.Lfunc_end213:
	.size	_Z6kernelI27subtract_right_partial_tileLj256ELj8ELb1EJPiS1_S1_jEEvDpT3_, .Lfunc_end213-_Z6kernelI27subtract_right_partial_tileLj256ELj8ELb1EJPiS1_S1_jEEvDpT3_
                                        ; -- End function
	.set _Z6kernelI27subtract_right_partial_tileLj256ELj8ELb1EJPiS1_S1_jEEvDpT3_.num_vgpr, 26
	.set _Z6kernelI27subtract_right_partial_tileLj256ELj8ELb1EJPiS1_S1_jEEvDpT3_.num_agpr, 0
	.set _Z6kernelI27subtract_right_partial_tileLj256ELj8ELb1EJPiS1_S1_jEEvDpT3_.numbered_sgpr, 11
	.set _Z6kernelI27subtract_right_partial_tileLj256ELj8ELb1EJPiS1_S1_jEEvDpT3_.num_named_barrier, 0
	.set _Z6kernelI27subtract_right_partial_tileLj256ELj8ELb1EJPiS1_S1_jEEvDpT3_.private_seg_size, 0
	.set _Z6kernelI27subtract_right_partial_tileLj256ELj8ELb1EJPiS1_S1_jEEvDpT3_.uses_vcc, 1
	.set _Z6kernelI27subtract_right_partial_tileLj256ELj8ELb1EJPiS1_S1_jEEvDpT3_.uses_flat_scratch, 0
	.set _Z6kernelI27subtract_right_partial_tileLj256ELj8ELb1EJPiS1_S1_jEEvDpT3_.has_dyn_sized_stack, 0
	.set _Z6kernelI27subtract_right_partial_tileLj256ELj8ELb1EJPiS1_S1_jEEvDpT3_.has_recursion, 0
	.set _Z6kernelI27subtract_right_partial_tileLj256ELj8ELb1EJPiS1_S1_jEEvDpT3_.has_indirect_call, 0
	.section	.AMDGPU.csdata,"",@progbits
; Kernel info:
; codeLenInByte = 736
; TotalNumSgprs: 13
; NumVgprs: 26
; ScratchSize: 0
; MemoryBound: 0
; FloatMode: 240
; IeeeMode: 1
; LDSByteSize: 2048 bytes/workgroup (compile time only)
; SGPRBlocks: 0
; VGPRBlocks: 1
; NumSGPRsForWavesPerEU: 13
; NumVGPRsForWavesPerEU: 26
; NamedBarCnt: 0
; Occupancy: 16
; WaveLimiterHint : 1
; COMPUTE_PGM_RSRC2:SCRATCH_EN: 0
; COMPUTE_PGM_RSRC2:USER_SGPR: 2
; COMPUTE_PGM_RSRC2:TRAP_HANDLER: 0
; COMPUTE_PGM_RSRC2:TGID_X_EN: 1
; COMPUTE_PGM_RSRC2:TGID_Y_EN: 0
; COMPUTE_PGM_RSRC2:TGID_Z_EN: 0
; COMPUTE_PGM_RSRC2:TIDIG_COMP_CNT: 0
	.section	.text._Z6kernelI27subtract_right_partial_tileLj256ELj16ELb1EJPiS1_S1_jEEvDpT3_,"axG",@progbits,_Z6kernelI27subtract_right_partial_tileLj256ELj16ELb1EJPiS1_S1_jEEvDpT3_,comdat
	.protected	_Z6kernelI27subtract_right_partial_tileLj256ELj16ELb1EJPiS1_S1_jEEvDpT3_ ; -- Begin function _Z6kernelI27subtract_right_partial_tileLj256ELj16ELb1EJPiS1_S1_jEEvDpT3_
	.globl	_Z6kernelI27subtract_right_partial_tileLj256ELj16ELb1EJPiS1_S1_jEEvDpT3_
	.p2align	8
	.type	_Z6kernelI27subtract_right_partial_tileLj256ELj16ELb1EJPiS1_S1_jEEvDpT3_,@function
_Z6kernelI27subtract_right_partial_tileLj256ELj16ELb1EJPiS1_S1_jEEvDpT3_: ; @_Z6kernelI27subtract_right_partial_tileLj256ELj16ELb1EJPiS1_S1_jEEvDpT3_
; %bb.0:
	s_load_b128 s[4:7], s[0:1], 0x0
	s_bfe_u32 s2, ttmp6, 0x4000c
	s_and_b32 s3, ttmp6, 15
	s_add_co_i32 s2, s2, 1
	s_getreg_b32 s8, hwreg(HW_REG_IB_STS2, 6, 4)
	s_mul_i32 s2, ttmp9, s2
	v_lshlrev_b32_e32 v33, 4, v0
	s_add_co_i32 s3, s3, s2
	s_cmp_eq_u32 s8, 0
	s_cselect_b32 s10, ttmp9, s3
	s_mov_b32 s3, 0
	s_lshl_b32 s2, s10, 12
	s_delay_alu instid0(SALU_CYCLE_1)
	s_lshl_b64 s[8:9], s[2:3], 2
	s_wait_xcnt 0x0
	s_load_b96 s[0:2], s[0:1], 0x10
	s_wait_kmcnt 0x0
	s_add_nc_u64 s[4:5], s[4:5], s[8:9]
	s_clause 0xf
	global_load_b32 v16, v0, s[4:5] scale_offset
	global_load_b32 v15, v0, s[4:5] offset:1024 scale_offset
	global_load_b32 v14, v0, s[4:5] offset:2048 scale_offset
	;; [unrolled: 1-line block ×15, first 2 shown]
	s_cvt_f32_u32 s3, s2
	s_wait_xcnt 0x0
	s_sub_co_i32 s4, 0, s2
	s_delay_alu instid0(SALU_CYCLE_1) | instskip(SKIP_1) | instid1(TRANS32_DEP_1)
	v_rcp_iflag_f32_e32 v17, s3
	v_nop
	v_readfirstlane_b32 s3, v17
	v_dual_lshlrev_b32 v17, 2, v0 :: v_dual_bitop2_b32 v18, 1, v33 bitop3:0x54
	v_or_b32_e32 v19, 2, v33
	v_or_b32_e32 v20, 3, v33
	s_mul_f32 s3, s3, 0x4f7ffffe
	v_or_b32_e32 v21, 4, v33
	v_or_b32_e32 v22, 5, v33
	;; [unrolled: 1-line block ×3, first 2 shown]
	s_cvt_u32_f32 s3, s3
	v_or_b32_e32 v24, 7, v33
	v_or_b32_e32 v25, 8, v33
	;; [unrolled: 1-line block ×3, first 2 shown]
	s_mul_i32 s4, s4, s3
	v_or_b32_e32 v27, 10, v33
	s_mul_hi_u32 s4, s3, s4
	v_or_b32_e32 v28, 11, v33
	s_add_co_i32 s3, s3, s4
	v_or_b32_e32 v29, 12, v33
	s_lshr_b32 s4, s3, 20
	v_or_b32_e32 v30, 13, v33
	s_mul_i32 s3, s4, s2
	s_add_co_i32 s11, s4, 1
	s_sub_co_i32 s5, 0x1000, s3
	s_load_b32 s3, s[6:7], s10 offset:0x0 scale_offset
	s_sub_co_i32 s12, s5, s2
	s_cmp_ge_u32 s5, s2
	v_or_b32_e32 v31, 14, v33
	s_cselect_b32 s4, s11, s4
	s_cselect_b32 s5, s12, s5
	s_wait_xcnt 0x0
	s_add_co_i32 s6, s4, 1
	s_cmp_ge_u32 s5, s2
	v_dual_add_nc_u32 v33, 16, v33 :: v_dual_bitop2_b32 v32, 15, v33 bitop3:0x54
	s_cselect_b32 s4, s6, s4
	s_delay_alu instid0(SALU_CYCLE_1)
	s_add_co_i32 s4, s4, 1
	s_branch .LBB214_2
.LBB214_1:                              ;   in Loop: Header=BB214_2 Depth=1
	s_or_b32 exec_lo, exec_lo, s5
	v_cmp_gt_u32_e32 vcc_lo, s3, v18
	s_add_co_i32 s2, s2, -1
	s_barrier_signal -1
	s_barrier_wait -1
	v_cndmask_b32_e32 v35, 0, v15, vcc_lo
	v_cmp_gt_u32_e32 vcc_lo, s3, v19
	v_cndmask_b32_e32 v36, 0, v14, vcc_lo
	v_cmp_gt_u32_e32 vcc_lo, s3, v20
	s_delay_alu instid0(VALU_DEP_2) | instskip(SKIP_1) | instid1(VALU_DEP_2)
	v_dual_cndmask_b32 v37, 0, v13 :: v_dual_sub_nc_u32 v36, v15, v36
	v_cmp_gt_u32_e32 vcc_lo, s3, v21
	v_dual_cndmask_b32 v38, 0, v12 :: v_dual_add_nc_u32 v15, v36, v15
	v_cmp_gt_u32_e32 vcc_lo, s3, v22
	s_delay_alu instid0(VALU_DEP_4) | instskip(SKIP_2) | instid1(VALU_DEP_3)
	v_dual_sub_nc_u32 v35, v16, v35 :: v_dual_sub_nc_u32 v37, v14, v37
	v_cndmask_b32_e32 v39, 0, v11, vcc_lo
	v_cmp_gt_u32_e32 vcc_lo, s3, v23
	v_dual_sub_nc_u32 v38, v13, v38 :: v_dual_add_nc_u32 v16, v35, v16
	s_delay_alu instid0(VALU_DEP_3) | instskip(SKIP_1) | instid1(VALU_DEP_3)
	v_dual_cndmask_b32 v40, 0, v10 :: v_dual_sub_nc_u32 v39, v12, v39
	v_cmp_gt_u32_e32 vcc_lo, s3, v24
	v_dual_add_nc_u32 v14, v37, v14 :: v_dual_add_nc_u32 v13, v38, v13
	v_cndmask_b32_e32 v41, 0, v9, vcc_lo
	v_cmp_gt_u32_e32 vcc_lo, s3, v25
	v_sub_nc_u32_e32 v40, v11, v40
	v_add_nc_u32_e32 v12, v39, v12
	v_cndmask_b32_e32 v42, 0, v8, vcc_lo
	v_cmp_gt_u32_e32 vcc_lo, s3, v26
	s_delay_alu instid0(VALU_DEP_4)
	v_add_nc_u32_e32 v11, v40, v11
	v_cndmask_b32_e32 v43, 0, v7, vcc_lo
	v_cmp_gt_u32_e32 vcc_lo, s3, v27
	v_dual_sub_nc_u32 v41, v10, v41 :: v_dual_sub_nc_u32 v42, v9, v42
	v_cndmask_b32_e32 v44, 0, v6, vcc_lo
	v_cmp_gt_u32_e32 vcc_lo, s3, v28
	s_delay_alu instid0(VALU_DEP_3) | instskip(NEXT) | instid1(VALU_DEP_3)
	v_dual_sub_nc_u32 v43, v8, v43 :: v_dual_add_nc_u32 v10, v41, v10
	v_dual_add_nc_u32 v9, v42, v9 :: v_dual_sub_nc_u32 v44, v7, v44
	v_cndmask_b32_e32 v45, 0, v5, vcc_lo
	v_cmp_gt_u32_e32 vcc_lo, s3, v29
	s_delay_alu instid0(VALU_DEP_3) | instskip(SKIP_2) | instid1(VALU_DEP_2)
	v_dual_add_nc_u32 v8, v43, v8 :: v_dual_add_nc_u32 v7, v44, v7
	v_cndmask_b32_e32 v46, 0, v4, vcc_lo
	v_cmp_gt_u32_e32 vcc_lo, s3, v30
	v_dual_cndmask_b32 v47, 0, v3 :: v_dual_sub_nc_u32 v46, v5, v46
	v_cmp_gt_u32_e32 vcc_lo, s3, v31
	s_delay_alu instid0(VALU_DEP_2) | instskip(SKIP_1) | instid1(VALU_DEP_4)
	v_dual_cndmask_b32 v48, 0, v2 :: v_dual_add_nc_u32 v5, v46, v5
	v_cmp_gt_u32_e32 vcc_lo, s3, v32
	v_dual_sub_nc_u32 v45, v6, v45 :: v_dual_sub_nc_u32 v47, v4, v47
	s_add_co_i32 s3, s4, s3
	s_delay_alu instid0(VALU_DEP_3) | instskip(NEXT) | instid1(VALU_DEP_2)
	v_dual_cndmask_b32 v49, 0, v1 :: v_dual_sub_nc_u32 v48, v3, v48
	v_dual_add_nc_u32 v6, v45, v6 :: v_dual_add_nc_u32 v1, v34, v1
	s_and_b32 s3, s3, 0xfff
	s_delay_alu instid0(VALU_DEP_2) | instskip(NEXT) | instid1(VALU_DEP_3)
	v_dual_sub_nc_u32 v49, v2, v49 :: v_dual_add_nc_u32 v4, v47, v4
	v_add_nc_u32_e32 v3, v48, v3
	s_cmp_lg_u32 s2, 0
	s_delay_alu instid0(VALU_DEP_2)
	v_add_nc_u32_e32 v2, v49, v2
	s_cbranch_scc0 .LBB214_4
.LBB214_2:                              ; =>This Inner Loop Header: Depth=1
	s_wait_loadcnt 0x0
	v_mov_b32_e32 v34, v1
	s_mov_b32 s5, exec_lo
	ds_store_b32 v17, v16 offset:1024
	s_wait_dscnt 0x0
	s_barrier_signal -1
	s_barrier_wait -1
	s_wait_kmcnt 0x0
	v_cmpx_gt_u32_e64 s3, v33
	s_cbranch_execz .LBB214_1
; %bb.3:                                ;   in Loop: Header=BB214_2 Depth=1
	ds_load_b32 v34, v17 offset:1028
	s_wait_dscnt 0x0
	v_sub_nc_u32_e32 v34, v1, v34
	s_branch .LBB214_1
.LBB214_4:
	s_add_nc_u64 s[0:1], s[0:1], s[8:9]
	s_clause 0xf
	global_store_b32 v0, v16, s[0:1] scale_offset
	global_store_b32 v0, v15, s[0:1] offset:1024 scale_offset
	global_store_b32 v0, v14, s[0:1] offset:2048 scale_offset
	;; [unrolled: 1-line block ×15, first 2 shown]
	s_endpgm
	.section	.rodata,"a",@progbits
	.p2align	6, 0x0
	.amdhsa_kernel _Z6kernelI27subtract_right_partial_tileLj256ELj16ELb1EJPiS1_S1_jEEvDpT3_
		.amdhsa_group_segment_fixed_size 2048
		.amdhsa_private_segment_fixed_size 0
		.amdhsa_kernarg_size 28
		.amdhsa_user_sgpr_count 2
		.amdhsa_user_sgpr_dispatch_ptr 0
		.amdhsa_user_sgpr_queue_ptr 0
		.amdhsa_user_sgpr_kernarg_segment_ptr 1
		.amdhsa_user_sgpr_dispatch_id 0
		.amdhsa_user_sgpr_kernarg_preload_length 0
		.amdhsa_user_sgpr_kernarg_preload_offset 0
		.amdhsa_user_sgpr_private_segment_size 0
		.amdhsa_wavefront_size32 1
		.amdhsa_uses_dynamic_stack 0
		.amdhsa_enable_private_segment 0
		.amdhsa_system_sgpr_workgroup_id_x 1
		.amdhsa_system_sgpr_workgroup_id_y 0
		.amdhsa_system_sgpr_workgroup_id_z 0
		.amdhsa_system_sgpr_workgroup_info 0
		.amdhsa_system_vgpr_workitem_id 0
		.amdhsa_next_free_vgpr 50
		.amdhsa_next_free_sgpr 13
		.amdhsa_named_barrier_count 0
		.amdhsa_reserve_vcc 1
		.amdhsa_float_round_mode_32 0
		.amdhsa_float_round_mode_16_64 0
		.amdhsa_float_denorm_mode_32 3
		.amdhsa_float_denorm_mode_16_64 3
		.amdhsa_fp16_overflow 0
		.amdhsa_memory_ordered 1
		.amdhsa_forward_progress 1
		.amdhsa_inst_pref_size 9
		.amdhsa_round_robin_scheduling 0
		.amdhsa_exception_fp_ieee_invalid_op 0
		.amdhsa_exception_fp_denorm_src 0
		.amdhsa_exception_fp_ieee_div_zero 0
		.amdhsa_exception_fp_ieee_overflow 0
		.amdhsa_exception_fp_ieee_underflow 0
		.amdhsa_exception_fp_ieee_inexact 0
		.amdhsa_exception_int_div_zero 0
	.end_amdhsa_kernel
	.section	.text._Z6kernelI27subtract_right_partial_tileLj256ELj16ELb1EJPiS1_S1_jEEvDpT3_,"axG",@progbits,_Z6kernelI27subtract_right_partial_tileLj256ELj16ELb1EJPiS1_S1_jEEvDpT3_,comdat
.Lfunc_end214:
	.size	_Z6kernelI27subtract_right_partial_tileLj256ELj16ELb1EJPiS1_S1_jEEvDpT3_, .Lfunc_end214-_Z6kernelI27subtract_right_partial_tileLj256ELj16ELb1EJPiS1_S1_jEEvDpT3_
                                        ; -- End function
	.set _Z6kernelI27subtract_right_partial_tileLj256ELj16ELb1EJPiS1_S1_jEEvDpT3_.num_vgpr, 50
	.set _Z6kernelI27subtract_right_partial_tileLj256ELj16ELb1EJPiS1_S1_jEEvDpT3_.num_agpr, 0
	.set _Z6kernelI27subtract_right_partial_tileLj256ELj16ELb1EJPiS1_S1_jEEvDpT3_.numbered_sgpr, 13
	.set _Z6kernelI27subtract_right_partial_tileLj256ELj16ELb1EJPiS1_S1_jEEvDpT3_.num_named_barrier, 0
	.set _Z6kernelI27subtract_right_partial_tileLj256ELj16ELb1EJPiS1_S1_jEEvDpT3_.private_seg_size, 0
	.set _Z6kernelI27subtract_right_partial_tileLj256ELj16ELb1EJPiS1_S1_jEEvDpT3_.uses_vcc, 1
	.set _Z6kernelI27subtract_right_partial_tileLj256ELj16ELb1EJPiS1_S1_jEEvDpT3_.uses_flat_scratch, 0
	.set _Z6kernelI27subtract_right_partial_tileLj256ELj16ELb1EJPiS1_S1_jEEvDpT3_.has_dyn_sized_stack, 0
	.set _Z6kernelI27subtract_right_partial_tileLj256ELj16ELb1EJPiS1_S1_jEEvDpT3_.has_recursion, 0
	.set _Z6kernelI27subtract_right_partial_tileLj256ELj16ELb1EJPiS1_S1_jEEvDpT3_.has_indirect_call, 0
	.section	.AMDGPU.csdata,"",@progbits
; Kernel info:
; codeLenInByte = 1112
; TotalNumSgprs: 15
; NumVgprs: 50
; ScratchSize: 0
; MemoryBound: 0
; FloatMode: 240
; IeeeMode: 1
; LDSByteSize: 2048 bytes/workgroup (compile time only)
; SGPRBlocks: 0
; VGPRBlocks: 3
; NumSGPRsForWavesPerEU: 15
; NumVGPRsForWavesPerEU: 50
; NamedBarCnt: 0
; Occupancy: 16
; WaveLimiterHint : 1
; COMPUTE_PGM_RSRC2:SCRATCH_EN: 0
; COMPUTE_PGM_RSRC2:USER_SGPR: 2
; COMPUTE_PGM_RSRC2:TRAP_HANDLER: 0
; COMPUTE_PGM_RSRC2:TGID_X_EN: 1
; COMPUTE_PGM_RSRC2:TGID_Y_EN: 0
; COMPUTE_PGM_RSRC2:TGID_Z_EN: 0
; COMPUTE_PGM_RSRC2:TIDIG_COMP_CNT: 0
	.section	.text._Z6kernelI27subtract_right_partial_tileLj256ELj32ELb1EJPiS1_S1_jEEvDpT3_,"axG",@progbits,_Z6kernelI27subtract_right_partial_tileLj256ELj32ELb1EJPiS1_S1_jEEvDpT3_,comdat
	.protected	_Z6kernelI27subtract_right_partial_tileLj256ELj32ELb1EJPiS1_S1_jEEvDpT3_ ; -- Begin function _Z6kernelI27subtract_right_partial_tileLj256ELj32ELb1EJPiS1_S1_jEEvDpT3_
	.globl	_Z6kernelI27subtract_right_partial_tileLj256ELj32ELb1EJPiS1_S1_jEEvDpT3_
	.p2align	8
	.type	_Z6kernelI27subtract_right_partial_tileLj256ELj32ELb1EJPiS1_S1_jEEvDpT3_,@function
_Z6kernelI27subtract_right_partial_tileLj256ELj32ELb1EJPiS1_S1_jEEvDpT3_: ; @_Z6kernelI27subtract_right_partial_tileLj256ELj32ELb1EJPiS1_S1_jEEvDpT3_
; %bb.0:
	s_load_b128 s[4:7], s[0:1], 0x0
	s_bfe_u32 s2, ttmp6, 0x4000c
	s_and_b32 s3, ttmp6, 15
	s_add_co_i32 s2, s2, 1
	s_getreg_b32 s8, hwreg(HW_REG_IB_STS2, 6, 4)
	s_mul_i32 s2, ttmp9, s2
	v_dual_lshlrev_b32 v64, 5, v0 :: v_dual_lshlrev_b32 v65, 2, v0
	s_add_co_i32 s3, s3, s2
	s_cmp_eq_u32 s8, 0
	s_cselect_b32 s10, ttmp9, s3
	s_mov_b32 s3, 0
	s_lshl_b32 s2, s10, 13
	v_or_b32_e32 v34, 2, v64
	s_lshl_b64 s[8:9], s[2:3], 2
	v_or_b32_e32 v35, 3, v64
	v_or_b32_e32 v36, 4, v64
	;; [unrolled: 1-line block ×4, first 2 shown]
	s_wait_kmcnt 0x0
	s_add_nc_u64 s[2:3], s[4:5], s[8:9]
	v_or_b32_e32 v39, 7, v64
	s_clause 0x1f
	global_load_b32 v1, v0, s[2:3] scale_offset
	global_load_b32 v5, v0, s[2:3] offset:1024 scale_offset
	global_load_b32 v4, v0, s[2:3] offset:2048 scale_offset
	global_load_b32 v3, v0, s[2:3] offset:3072 scale_offset
	global_load_b32 v2, v0, s[2:3] offset:4096 scale_offset
	global_load_b32 v8, v0, s[2:3] offset:5120 scale_offset
	global_load_b32 v7, v0, s[2:3] offset:6144 scale_offset
	global_load_b32 v6, v0, s[2:3] offset:7168 scale_offset
	global_load_b32 v11, v0, s[2:3] offset:8192 scale_offset
	global_load_b32 v10, v0, s[2:3] offset:9216 scale_offset
	global_load_b32 v9, v0, s[2:3] offset:10240 scale_offset
	global_load_b32 v12, v0, s[2:3] offset:11264 scale_offset
	global_load_b32 v13, v0, s[2:3] offset:12288 scale_offset
	global_load_b32 v14, v0, s[2:3] offset:13312 scale_offset
	global_load_b32 v15, v0, s[2:3] offset:14336 scale_offset
	global_load_b32 v16, v0, s[2:3] offset:15360 scale_offset
	global_load_b32 v17, v0, s[2:3] offset:16384 scale_offset
	global_load_b32 v18, v0, s[2:3] offset:17408 scale_offset
	global_load_b32 v19, v0, s[2:3] offset:18432 scale_offset
	global_load_b32 v32, v0, s[2:3] offset:19456 scale_offset
	global_load_b32 v31, v0, s[2:3] offset:20480 scale_offset
	global_load_b32 v30, v0, s[2:3] offset:21504 scale_offset
	global_load_b32 v29, v0, s[2:3] offset:22528 scale_offset
	global_load_b32 v28, v0, s[2:3] offset:23552 scale_offset
	global_load_b32 v27, v0, s[2:3] offset:24576 scale_offset
	global_load_b32 v26, v0, s[2:3] offset:25600 scale_offset
	global_load_b32 v25, v0, s[2:3] offset:26624 scale_offset
	global_load_b32 v24, v0, s[2:3] offset:27648 scale_offset
	global_load_b32 v23, v0, s[2:3] offset:28672 scale_offset
	global_load_b32 v22, v0, s[2:3] offset:29696 scale_offset
	global_load_b32 v21, v0, s[2:3] offset:30720 scale_offset
	global_load_b32 v20, v0, s[2:3] offset:31744 scale_offset
	s_wait_xcnt 0x0
	s_load_b96 s[0:2], s[0:1], 0x10
	v_or_b32_e32 v40, 8, v64
	v_or_b32_e32 v41, 9, v64
	v_or_b32_e32 v42, 10, v64
	v_or_b32_e32 v43, 11, v64
	v_or_b32_e32 v44, 12, v64
	v_or_b32_e32 v45, 13, v64
	v_or_b32_e32 v46, 14, v64
	v_or_b32_e32 v47, 15, v64
	v_or_b32_e32 v48, 16, v64
	v_or_b32_e32 v49, 17, v64
	v_or_b32_e32 v50, 18, v64
	v_or_b32_e32 v51, 19, v64
	v_or_b32_e32 v52, 20, v64
	v_or_b32_e32 v53, 21, v64
	v_or_b32_e32 v54, 22, v64
	v_or_b32_e32 v55, 23, v64
	v_or_b32_e32 v56, 24, v64
	v_or_b32_e32 v57, 25, v64
	v_or_b32_e32 v58, 26, v64
	s_wait_kmcnt 0x0
	s_cvt_f32_u32 s3, s2
	s_sub_co_i32 s4, 0, s2
	v_or_b32_e32 v59, 27, v64
	v_or_b32_e32 v60, 28, v64
	v_rcp_iflag_f32_e32 v33, s3
	v_or_b32_e32 v61, 29, v64
	v_or_b32_e32 v62, 30, v64
	;; [unrolled: 1-line block ×3, first 2 shown]
	s_delay_alu instid0(TRANS32_DEP_1) | instskip(SKIP_2) | instid1(SALU_CYCLE_3)
	v_readfirstlane_b32 s3, v33
	v_dual_add_nc_u32 v64, 32, v64 :: v_dual_bitop2_b32 v33, 1, v64 bitop3:0x54
	s_mul_f32 s3, s3, 0x4f7ffffe
	s_cvt_u32_f32 s3, s3
	s_delay_alu instid0(SALU_CYCLE_3) | instskip(NEXT) | instid1(SALU_CYCLE_1)
	s_mul_i32 s4, s4, s3
	s_mul_hi_u32 s4, s3, s4
	s_delay_alu instid0(SALU_CYCLE_1) | instskip(NEXT) | instid1(SALU_CYCLE_1)
	s_add_co_i32 s3, s3, s4
	s_lshr_b32 s4, s3, 19
	s_delay_alu instid0(SALU_CYCLE_1)
	s_mul_i32 s3, s4, s2
	s_add_co_i32 s11, s4, 1
	s_sub_co_i32 s5, 0x2000, s3
	s_load_b32 s3, s[6:7], s10 offset:0x0 scale_offset
	s_sub_co_i32 s12, s5, s2
	s_cmp_ge_u32 s5, s2
	s_cselect_b32 s4, s11, s4
	s_cselect_b32 s5, s12, s5
	s_wait_xcnt 0x0
	s_add_co_i32 s6, s4, 1
	s_cmp_ge_u32 s5, s2
	s_cselect_b32 s4, s6, s4
	s_delay_alu instid0(SALU_CYCLE_1)
	s_add_co_i32 s4, s4, 1
	s_branch .LBB215_2
.LBB215_1:                              ;   in Loop: Header=BB215_2 Depth=1
	s_or_b32 exec_lo, exec_lo, s5
	v_cmp_gt_u32_e32 vcc_lo, s3, v33
	s_add_co_i32 s2, s2, -1
	s_barrier_signal -1
	s_barrier_wait -1
	v_cndmask_b32_e32 v67, 0, v5, vcc_lo
	v_cmp_gt_u32_e32 vcc_lo, s3, v34
	v_cndmask_b32_e32 v68, 0, v4, vcc_lo
	v_cmp_gt_u32_e32 vcc_lo, s3, v35
	s_delay_alu instid0(VALU_DEP_2) | instskip(SKIP_3) | instid1(VALU_DEP_2)
	v_dual_cndmask_b32 v69, 0, v3 :: v_dual_sub_nc_u32 v68, v5, v68
	v_cmp_gt_u32_e32 vcc_lo, s3, v36
	v_dual_cndmask_b32 v70, 0, v2 :: v_dual_sub_nc_u32 v67, v1, v67
	v_cmp_gt_u32_e32 vcc_lo, s3, v37
	v_add_nc_u32_e32 v1, v67, v1
	s_delay_alu instid0(VALU_DEP_3) | instskip(SKIP_2) | instid1(VALU_DEP_3)
	v_dual_cndmask_b32 v71, 0, v8 :: v_dual_sub_nc_u32 v70, v3, v70
	v_cmp_gt_u32_e32 vcc_lo, s3, v38
	v_sub_nc_u32_e32 v69, v4, v69
	v_dual_add_nc_u32 v5, v68, v5 :: v_dual_add_nc_u32 v3, v70, v3
	v_cndmask_b32_e32 v72, 0, v7, vcc_lo
	v_cmp_gt_u32_e32 vcc_lo, s3, v39
	s_delay_alu instid0(VALU_DEP_4) | instskip(NEXT) | instid1(VALU_DEP_3)
	v_dual_add_nc_u32 v4, v69, v4 :: v_dual_sub_nc_u32 v71, v2, v71
	v_dual_cndmask_b32 v73, 0, v6 :: v_dual_sub_nc_u32 v72, v8, v72
	v_cmp_gt_u32_e32 vcc_lo, s3, v40
	s_delay_alu instid0(VALU_DEP_2)
	v_dual_add_nc_u32 v2, v71, v2 :: v_dual_add_nc_u32 v8, v72, v8
	v_cndmask_b32_e32 v74, 0, v11, vcc_lo
	v_cmp_gt_u32_e32 vcc_lo, s3, v41
	v_dual_sub_nc_u32 v73, v7, v73 :: v_dual_cndmask_b32 v75, 0, v10, vcc_lo
	v_cmp_gt_u32_e32 vcc_lo, s3, v42
	v_cndmask_b32_e32 v76, 0, v9, vcc_lo
	v_cmp_gt_u32_e32 vcc_lo, s3, v43
	s_delay_alu instid0(VALU_DEP_4) | instskip(SKIP_2) | instid1(VALU_DEP_2)
	v_dual_sub_nc_u32 v74, v6, v74 :: v_dual_sub_nc_u32 v75, v11, v75
	v_cndmask_b32_e32 v77, 0, v12, vcc_lo
	v_cmp_gt_u32_e32 vcc_lo, s3, v44
	v_dual_sub_nc_u32 v76, v10, v76 :: v_dual_sub_nc_u32 v77, v9, v77
	v_cndmask_b32_e32 v78, 0, v13, vcc_lo
	v_cmp_gt_u32_e32 vcc_lo, s3, v45
	s_delay_alu instid0(VALU_DEP_3)
	v_add_nc_u32_e32 v10, v76, v10
	v_cndmask_b32_e32 v67, 0, v14, vcc_lo
	v_cmp_gt_u32_e32 vcc_lo, s3, v46
	v_dual_sub_nc_u32 v78, v12, v78 :: v_dual_add_nc_u32 v9, v77, v9
	v_cndmask_b32_e32 v68, 0, v15, vcc_lo
	v_cmp_gt_u32_e32 vcc_lo, s3, v47
	s_delay_alu instid0(VALU_DEP_3) | instskip(NEXT) | instid1(VALU_DEP_3)
	v_dual_sub_nc_u32 v67, v13, v67 :: v_dual_add_nc_u32 v12, v78, v12
	v_sub_nc_u32_e32 v68, v14, v68
	v_cndmask_b32_e32 v69, 0, v16, vcc_lo
	v_cmp_gt_u32_e32 vcc_lo, s3, v48
	s_delay_alu instid0(VALU_DEP_4) | instskip(SKIP_2) | instid1(VALU_DEP_2)
	v_add_nc_u32_e32 v13, v67, v13
	v_cndmask_b32_e32 v70, 0, v17, vcc_lo
	v_cmp_gt_u32_e32 vcc_lo, s3, v49
	v_dual_sub_nc_u32 v69, v15, v69 :: v_dual_sub_nc_u32 v70, v16, v70
	v_cndmask_b32_e32 v71, 0, v18, vcc_lo
	v_cmp_gt_u32_e32 vcc_lo, s3, v50
	v_cndmask_b32_e32 v72, 0, v19, vcc_lo
	v_cmp_gt_u32_e32 vcc_lo, s3, v51
	v_add_nc_u32_e32 v7, v73, v7
	s_delay_alu instid0(VALU_DEP_3)
	v_dual_sub_nc_u32 v71, v17, v71 :: v_dual_sub_nc_u32 v72, v18, v72
	v_cndmask_b32_e32 v73, 0, v32, vcc_lo
	v_cmp_gt_u32_e32 vcc_lo, s3, v52
	v_dual_add_nc_u32 v6, v74, v6 :: v_dual_cndmask_b32 v74, 0, v31, vcc_lo
	v_cmp_gt_u32_e32 vcc_lo, s3, v53
	v_add_nc_u32_e32 v11, v75, v11
	s_delay_alu instid0(VALU_DEP_3) | instskip(SKIP_2) | instid1(VALU_DEP_2)
	v_dual_sub_nc_u32 v73, v19, v73 :: v_dual_sub_nc_u32 v74, v32, v74
	v_cndmask_b32_e32 v75, 0, v30, vcc_lo
	v_cmp_gt_u32_e32 vcc_lo, s3, v54
	v_dual_add_nc_u32 v32, v74, v32 :: v_dual_sub_nc_u32 v75, v31, v75
	v_cndmask_b32_e32 v76, 0, v29, vcc_lo
	v_cmp_gt_u32_e32 vcc_lo, s3, v55
	v_cndmask_b32_e32 v77, 0, v28, vcc_lo
	v_cmp_gt_u32_e32 vcc_lo, s3, v56
	s_delay_alu instid0(VALU_DEP_4) | instskip(SKIP_3) | instid1(VALU_DEP_4)
	v_dual_add_nc_u32 v14, v68, v14 :: v_dual_sub_nc_u32 v76, v30, v76
	v_add_nc_u32_e32 v31, v75, v31
	v_cndmask_b32_e32 v78, 0, v27, vcc_lo
	v_cmp_gt_u32_e32 vcc_lo, s3, v57
	v_dual_sub_nc_u32 v77, v29, v77 :: v_dual_add_nc_u32 v30, v76, v30
	s_delay_alu instid0(VALU_DEP_3) | instskip(SKIP_2) | instid1(VALU_DEP_3)
	v_sub_nc_u32_e32 v78, v28, v78
	v_cndmask_b32_e32 v67, 0, v26, vcc_lo
	v_cmp_gt_u32_e32 vcc_lo, s3, v58
	v_dual_add_nc_u32 v29, v77, v29 :: v_dual_add_nc_u32 v28, v78, v28
	v_cndmask_b32_e32 v68, 0, v25, vcc_lo
	v_cmp_gt_u32_e32 vcc_lo, s3, v59
	v_add_nc_u32_e32 v15, v69, v15
	s_delay_alu instid0(VALU_DEP_3) | instskip(SKIP_2) | instid1(VALU_DEP_3)
	v_dual_sub_nc_u32 v67, v27, v67 :: v_dual_sub_nc_u32 v68, v26, v68
	v_cndmask_b32_e32 v69, 0, v24, vcc_lo
	v_cmp_gt_u32_e32 vcc_lo, s3, v60
	v_dual_add_nc_u32 v16, v70, v16 :: v_dual_add_nc_u32 v27, v67, v27
	s_delay_alu instid0(VALU_DEP_4) | instskip(SKIP_2) | instid1(VALU_DEP_3)
	v_dual_add_nc_u32 v26, v68, v26 :: v_dual_cndmask_b32 v70, 0, v23, vcc_lo
	v_cmp_gt_u32_e32 vcc_lo, s3, v61
	v_add_nc_u32_e32 v17, v71, v17
	v_dual_sub_nc_u32 v69, v25, v69 :: v_dual_sub_nc_u32 v70, v24, v70
	v_cndmask_b32_e32 v71, 0, v22, vcc_lo
	v_cmp_gt_u32_e32 vcc_lo, s3, v62
	s_delay_alu instid0(VALU_DEP_3) | instskip(NEXT) | instid1(VALU_DEP_4)
	v_dual_add_nc_u32 v18, v72, v18 :: v_dual_add_nc_u32 v25, v69, v25
	v_dual_add_nc_u32 v24, v70, v24 :: v_dual_cndmask_b32 v72, 0, v21, vcc_lo
	v_cmp_gt_u32_e32 vcc_lo, s3, v63
	v_add_nc_u32_e32 v19, v73, v19
	v_sub_nc_u32_e32 v71, v23, v71
	s_add_co_i32 s3, s4, s3
	v_sub_nc_u32_e32 v72, v22, v72
	v_dual_cndmask_b32 v73, 0, v20 :: v_dual_add_nc_u32 v20, v66, v20
	s_delay_alu instid0(VALU_DEP_3) | instskip(SKIP_1) | instid1(VALU_DEP_2)
	v_add_nc_u32_e32 v23, v71, v23
	s_and_b32 s3, s3, 0x1fff
	v_dual_add_nc_u32 v22, v72, v22 :: v_dual_sub_nc_u32 v73, v21, v73
	s_cmp_lg_u32 s2, 0
	s_delay_alu instid0(VALU_DEP_1)
	v_add_nc_u32_e32 v21, v73, v21
	s_cbranch_scc0 .LBB215_4
.LBB215_2:                              ; =>This Inner Loop Header: Depth=1
	s_wait_loadcnt 0x0
	v_mov_b32_e32 v66, v20
	s_mov_b32 s5, exec_lo
	ds_store_b32 v65, v1 offset:1024
	s_wait_dscnt 0x0
	s_barrier_signal -1
	s_barrier_wait -1
	s_wait_kmcnt 0x0
	v_cmpx_gt_u32_e64 s3, v64
	s_cbranch_execz .LBB215_1
; %bb.3:                                ;   in Loop: Header=BB215_2 Depth=1
	ds_load_b32 v66, v65 offset:1028
	s_wait_dscnt 0x0
	v_sub_nc_u32_e32 v66, v20, v66
	s_branch .LBB215_1
.LBB215_4:
	s_add_nc_u64 s[0:1], s[0:1], s[8:9]
	s_clause 0x1f
	global_store_b32 v0, v1, s[0:1] scale_offset
	global_store_b32 v0, v5, s[0:1] offset:1024 scale_offset
	global_store_b32 v0, v4, s[0:1] offset:2048 scale_offset
	global_store_b32 v0, v3, s[0:1] offset:3072 scale_offset
	global_store_b32 v0, v2, s[0:1] offset:4096 scale_offset
	global_store_b32 v0, v8, s[0:1] offset:5120 scale_offset
	global_store_b32 v0, v7, s[0:1] offset:6144 scale_offset
	global_store_b32 v0, v6, s[0:1] offset:7168 scale_offset
	global_store_b32 v0, v11, s[0:1] offset:8192 scale_offset
	global_store_b32 v0, v10, s[0:1] offset:9216 scale_offset
	global_store_b32 v0, v9, s[0:1] offset:10240 scale_offset
	global_store_b32 v0, v12, s[0:1] offset:11264 scale_offset
	global_store_b32 v0, v13, s[0:1] offset:12288 scale_offset
	global_store_b32 v0, v14, s[0:1] offset:13312 scale_offset
	global_store_b32 v0, v15, s[0:1] offset:14336 scale_offset
	global_store_b32 v0, v16, s[0:1] offset:15360 scale_offset
	global_store_b32 v0, v17, s[0:1] offset:16384 scale_offset
	global_store_b32 v0, v18, s[0:1] offset:17408 scale_offset
	global_store_b32 v0, v19, s[0:1] offset:18432 scale_offset
	global_store_b32 v0, v32, s[0:1] offset:19456 scale_offset
	global_store_b32 v0, v31, s[0:1] offset:20480 scale_offset
	global_store_b32 v0, v30, s[0:1] offset:21504 scale_offset
	global_store_b32 v0, v29, s[0:1] offset:22528 scale_offset
	global_store_b32 v0, v28, s[0:1] offset:23552 scale_offset
	global_store_b32 v0, v27, s[0:1] offset:24576 scale_offset
	global_store_b32 v0, v26, s[0:1] offset:25600 scale_offset
	global_store_b32 v0, v25, s[0:1] offset:26624 scale_offset
	global_store_b32 v0, v24, s[0:1] offset:27648 scale_offset
	global_store_b32 v0, v23, s[0:1] offset:28672 scale_offset
	global_store_b32 v0, v22, s[0:1] offset:29696 scale_offset
	global_store_b32 v0, v21, s[0:1] offset:30720 scale_offset
	global_store_b32 v0, v20, s[0:1] offset:31744 scale_offset
	s_sendmsg sendmsg(MSG_DEALLOC_VGPRS)
	s_endpgm
	.section	.rodata,"a",@progbits
	.p2align	6, 0x0
	.amdhsa_kernel _Z6kernelI27subtract_right_partial_tileLj256ELj32ELb1EJPiS1_S1_jEEvDpT3_
		.amdhsa_group_segment_fixed_size 2048
		.amdhsa_private_segment_fixed_size 0
		.amdhsa_kernarg_size 28
		.amdhsa_user_sgpr_count 2
		.amdhsa_user_sgpr_dispatch_ptr 0
		.amdhsa_user_sgpr_queue_ptr 0
		.amdhsa_user_sgpr_kernarg_segment_ptr 1
		.amdhsa_user_sgpr_dispatch_id 0
		.amdhsa_user_sgpr_kernarg_preload_length 0
		.amdhsa_user_sgpr_kernarg_preload_offset 0
		.amdhsa_user_sgpr_private_segment_size 0
		.amdhsa_wavefront_size32 1
		.amdhsa_uses_dynamic_stack 0
		.amdhsa_enable_private_segment 0
		.amdhsa_system_sgpr_workgroup_id_x 1
		.amdhsa_system_sgpr_workgroup_id_y 0
		.amdhsa_system_sgpr_workgroup_id_z 0
		.amdhsa_system_sgpr_workgroup_info 0
		.amdhsa_system_vgpr_workitem_id 0
		.amdhsa_next_free_vgpr 79
		.amdhsa_next_free_sgpr 13
		.amdhsa_named_barrier_count 0
		.amdhsa_reserve_vcc 1
		.amdhsa_float_round_mode_32 0
		.amdhsa_float_round_mode_16_64 0
		.amdhsa_float_denorm_mode_32 3
		.amdhsa_float_denorm_mode_16_64 3
		.amdhsa_fp16_overflow 0
		.amdhsa_memory_ordered 1
		.amdhsa_forward_progress 1
		.amdhsa_inst_pref_size 15
		.amdhsa_round_robin_scheduling 0
		.amdhsa_exception_fp_ieee_invalid_op 0
		.amdhsa_exception_fp_denorm_src 0
		.amdhsa_exception_fp_ieee_div_zero 0
		.amdhsa_exception_fp_ieee_overflow 0
		.amdhsa_exception_fp_ieee_underflow 0
		.amdhsa_exception_fp_ieee_inexact 0
		.amdhsa_exception_int_div_zero 0
	.end_amdhsa_kernel
	.section	.text._Z6kernelI27subtract_right_partial_tileLj256ELj32ELb1EJPiS1_S1_jEEvDpT3_,"axG",@progbits,_Z6kernelI27subtract_right_partial_tileLj256ELj32ELb1EJPiS1_S1_jEEvDpT3_,comdat
.Lfunc_end215:
	.size	_Z6kernelI27subtract_right_partial_tileLj256ELj32ELb1EJPiS1_S1_jEEvDpT3_, .Lfunc_end215-_Z6kernelI27subtract_right_partial_tileLj256ELj32ELb1EJPiS1_S1_jEEvDpT3_
                                        ; -- End function
	.set _Z6kernelI27subtract_right_partial_tileLj256ELj32ELb1EJPiS1_S1_jEEvDpT3_.num_vgpr, 79
	.set _Z6kernelI27subtract_right_partial_tileLj256ELj32ELb1EJPiS1_S1_jEEvDpT3_.num_agpr, 0
	.set _Z6kernelI27subtract_right_partial_tileLj256ELj32ELb1EJPiS1_S1_jEEvDpT3_.numbered_sgpr, 13
	.set _Z6kernelI27subtract_right_partial_tileLj256ELj32ELb1EJPiS1_S1_jEEvDpT3_.num_named_barrier, 0
	.set _Z6kernelI27subtract_right_partial_tileLj256ELj32ELb1EJPiS1_S1_jEEvDpT3_.private_seg_size, 0
	.set _Z6kernelI27subtract_right_partial_tileLj256ELj32ELb1EJPiS1_S1_jEEvDpT3_.uses_vcc, 1
	.set _Z6kernelI27subtract_right_partial_tileLj256ELj32ELb1EJPiS1_S1_jEEvDpT3_.uses_flat_scratch, 0
	.set _Z6kernelI27subtract_right_partial_tileLj256ELj32ELb1EJPiS1_S1_jEEvDpT3_.has_dyn_sized_stack, 0
	.set _Z6kernelI27subtract_right_partial_tileLj256ELj32ELb1EJPiS1_S1_jEEvDpT3_.has_recursion, 0
	.set _Z6kernelI27subtract_right_partial_tileLj256ELj32ELb1EJPiS1_S1_jEEvDpT3_.has_indirect_call, 0
	.section	.AMDGPU.csdata,"",@progbits
; Kernel info:
; codeLenInByte = 1904
; TotalNumSgprs: 15
; NumVgprs: 79
; ScratchSize: 0
; MemoryBound: 0
; FloatMode: 240
; IeeeMode: 1
; LDSByteSize: 2048 bytes/workgroup (compile time only)
; SGPRBlocks: 0
; VGPRBlocks: 4
; NumSGPRsForWavesPerEU: 15
; NumVGPRsForWavesPerEU: 79
; NamedBarCnt: 0
; Occupancy: 12
; WaveLimiterHint : 1
; COMPUTE_PGM_RSRC2:SCRATCH_EN: 0
; COMPUTE_PGM_RSRC2:USER_SGPR: 2
; COMPUTE_PGM_RSRC2:TRAP_HANDLER: 0
; COMPUTE_PGM_RSRC2:TGID_X_EN: 1
; COMPUTE_PGM_RSRC2:TGID_Y_EN: 0
; COMPUTE_PGM_RSRC2:TGID_Z_EN: 0
; COMPUTE_PGM_RSRC2:TIDIG_COMP_CNT: 0
	.section	.text._Z6kernelI27subtract_right_partial_tileLj256ELj1ELb1EJPfPiS1_jEEvDpT3_,"axG",@progbits,_Z6kernelI27subtract_right_partial_tileLj256ELj1ELb1EJPfPiS1_jEEvDpT3_,comdat
	.protected	_Z6kernelI27subtract_right_partial_tileLj256ELj1ELb1EJPfPiS1_jEEvDpT3_ ; -- Begin function _Z6kernelI27subtract_right_partial_tileLj256ELj1ELb1EJPfPiS1_jEEvDpT3_
	.globl	_Z6kernelI27subtract_right_partial_tileLj256ELj1ELb1EJPfPiS1_jEEvDpT3_
	.p2align	8
	.type	_Z6kernelI27subtract_right_partial_tileLj256ELj1ELb1EJPfPiS1_jEEvDpT3_,@function
_Z6kernelI27subtract_right_partial_tileLj256ELj1ELb1EJPfPiS1_jEEvDpT3_: ; @_Z6kernelI27subtract_right_partial_tileLj256ELj1ELb1EJPfPiS1_jEEvDpT3_
; %bb.0:
	s_load_b128 s[8:11], s[0:1], 0x0
	s_bfe_u32 s2, ttmp6, 0x4000c
	s_and_b32 s3, ttmp6, 15
	s_add_co_i32 s2, s2, 1
	s_getreg_b32 s4, hwreg(HW_REG_IB_STS2, 6, 4)
	s_mul_i32 s2, ttmp9, s2
	v_add_nc_u32_e32 v3, 1, v0
	s_add_co_i32 s3, s3, s2
	s_cmp_eq_u32 s4, 0
	s_cselect_b32 s12, ttmp9, s3
	s_mov_b32 s3, 0
	s_lshl_b32 s2, s12, 8
	s_delay_alu instid0(SALU_CYCLE_1)
	s_lshl_b64 s[4:5], s[2:3], 2
	s_wait_xcnt 0x0
	s_load_b96 s[0:2], s[0:1], 0x10
	s_wait_kmcnt 0x0
	s_add_nc_u64 s[6:7], s[8:9], s[4:5]
	global_load_b32 v1, v0, s[6:7] scale_offset
	s_cvt_f32_u32 s3, s2
	s_wait_xcnt 0x0
	s_sub_co_i32 s6, 0, s2
	s_delay_alu instid0(SALU_CYCLE_1) | instskip(SKIP_1) | instid1(TRANS32_DEP_1)
	v_rcp_iflag_f32_e32 v2, s3
	v_nop
	v_readfirstlane_b32 s3, v2
	v_lshlrev_b32_e32 v2, 2, v0
	s_mul_f32 s3, s3, 0x4f7ffffe
	s_delay_alu instid0(SALU_CYCLE_3) | instskip(NEXT) | instid1(SALU_CYCLE_3)
	s_cvt_u32_f32 s3, s3
	s_mul_i32 s6, s6, s3
	s_delay_alu instid0(SALU_CYCLE_1) | instskip(NEXT) | instid1(SALU_CYCLE_1)
	s_mul_hi_u32 s6, s3, s6
	s_add_co_i32 s6, s3, s6
	s_load_b32 s3, s[10:11], s12 offset:0x0 scale_offset
	s_lshr_b32 s6, s6, 24
	s_delay_alu instid0(SALU_CYCLE_1) | instskip(SKIP_2) | instid1(SALU_CYCLE_1)
	s_mul_i32 s7, s6, s2
	s_add_co_i32 s8, s6, 1
	s_sub_co_i32 s7, 0x100, s7
	s_sub_co_i32 s9, s7, s2
	s_cmp_ge_u32 s7, s2
	s_cselect_b32 s6, s8, s6
	s_cselect_b32 s7, s9, s7
	s_add_co_i32 s8, s6, 1
	s_cmp_ge_u32 s7, s2
	s_cselect_b32 s6, s8, s6
	s_delay_alu instid0(SALU_CYCLE_1)
	s_add_co_i32 s6, s6, 1
	s_branch .LBB216_2
.LBB216_1:                              ;   in Loop: Header=BB216_2 Depth=1
	s_or_b32 exec_lo, exec_lo, s7
	s_add_co_i32 s3, s6, s3
	s_delay_alu instid0(VALU_DEP_1)
	v_add_f32_e32 v1, v1, v4
	s_add_co_i32 s2, s2, -1
	s_and_b32 s3, s3, 0xff
	s_cmp_lg_u32 s2, 0
	s_barrier_signal -1
	s_barrier_wait -1
	s_cbranch_scc0 .LBB216_4
.LBB216_2:                              ; =>This Inner Loop Header: Depth=1
	s_wait_loadcnt 0x0
	v_mov_b32_e32 v4, v1
	s_mov_b32 s7, exec_lo
	ds_store_b32 v2, v1 offset:1024
	s_wait_dscnt 0x0
	s_barrier_signal -1
	s_barrier_wait -1
	s_wait_kmcnt 0x0
	v_cmpx_gt_u32_e64 s3, v3
	s_cbranch_execz .LBB216_1
; %bb.3:                                ;   in Loop: Header=BB216_2 Depth=1
	ds_load_b32 v4, v2 offset:1028
	s_wait_dscnt 0x0
	v_sub_f32_e32 v4, v1, v4
	s_branch .LBB216_1
.LBB216_4:
	s_add_nc_u64 s[0:1], s[0:1], s[4:5]
	global_store_b32 v0, v1, s[0:1] scale_offset
	s_endpgm
	.section	.rodata,"a",@progbits
	.p2align	6, 0x0
	.amdhsa_kernel _Z6kernelI27subtract_right_partial_tileLj256ELj1ELb1EJPfPiS1_jEEvDpT3_
		.amdhsa_group_segment_fixed_size 2048
		.amdhsa_private_segment_fixed_size 0
		.amdhsa_kernarg_size 28
		.amdhsa_user_sgpr_count 2
		.amdhsa_user_sgpr_dispatch_ptr 0
		.amdhsa_user_sgpr_queue_ptr 0
		.amdhsa_user_sgpr_kernarg_segment_ptr 1
		.amdhsa_user_sgpr_dispatch_id 0
		.amdhsa_user_sgpr_kernarg_preload_length 0
		.amdhsa_user_sgpr_kernarg_preload_offset 0
		.amdhsa_user_sgpr_private_segment_size 0
		.amdhsa_wavefront_size32 1
		.amdhsa_uses_dynamic_stack 0
		.amdhsa_enable_private_segment 0
		.amdhsa_system_sgpr_workgroup_id_x 1
		.amdhsa_system_sgpr_workgroup_id_y 0
		.amdhsa_system_sgpr_workgroup_id_z 0
		.amdhsa_system_sgpr_workgroup_info 0
		.amdhsa_system_vgpr_workitem_id 0
		.amdhsa_next_free_vgpr 5
		.amdhsa_next_free_sgpr 13
		.amdhsa_named_barrier_count 0
		.amdhsa_reserve_vcc 0
		.amdhsa_float_round_mode_32 0
		.amdhsa_float_round_mode_16_64 0
		.amdhsa_float_denorm_mode_32 3
		.amdhsa_float_denorm_mode_16_64 3
		.amdhsa_fp16_overflow 0
		.amdhsa_memory_ordered 1
		.amdhsa_forward_progress 1
		.amdhsa_inst_pref_size 3
		.amdhsa_round_robin_scheduling 0
		.amdhsa_exception_fp_ieee_invalid_op 0
		.amdhsa_exception_fp_denorm_src 0
		.amdhsa_exception_fp_ieee_div_zero 0
		.amdhsa_exception_fp_ieee_overflow 0
		.amdhsa_exception_fp_ieee_underflow 0
		.amdhsa_exception_fp_ieee_inexact 0
		.amdhsa_exception_int_div_zero 0
	.end_amdhsa_kernel
	.section	.text._Z6kernelI27subtract_right_partial_tileLj256ELj1ELb1EJPfPiS1_jEEvDpT3_,"axG",@progbits,_Z6kernelI27subtract_right_partial_tileLj256ELj1ELb1EJPfPiS1_jEEvDpT3_,comdat
.Lfunc_end216:
	.size	_Z6kernelI27subtract_right_partial_tileLj256ELj1ELb1EJPfPiS1_jEEvDpT3_, .Lfunc_end216-_Z6kernelI27subtract_right_partial_tileLj256ELj1ELb1EJPfPiS1_jEEvDpT3_
                                        ; -- End function
	.set _Z6kernelI27subtract_right_partial_tileLj256ELj1ELb1EJPfPiS1_jEEvDpT3_.num_vgpr, 5
	.set _Z6kernelI27subtract_right_partial_tileLj256ELj1ELb1EJPfPiS1_jEEvDpT3_.num_agpr, 0
	.set _Z6kernelI27subtract_right_partial_tileLj256ELj1ELb1EJPfPiS1_jEEvDpT3_.numbered_sgpr, 13
	.set _Z6kernelI27subtract_right_partial_tileLj256ELj1ELb1EJPfPiS1_jEEvDpT3_.num_named_barrier, 0
	.set _Z6kernelI27subtract_right_partial_tileLj256ELj1ELb1EJPfPiS1_jEEvDpT3_.private_seg_size, 0
	.set _Z6kernelI27subtract_right_partial_tileLj256ELj1ELb1EJPfPiS1_jEEvDpT3_.uses_vcc, 0
	.set _Z6kernelI27subtract_right_partial_tileLj256ELj1ELb1EJPfPiS1_jEEvDpT3_.uses_flat_scratch, 0
	.set _Z6kernelI27subtract_right_partial_tileLj256ELj1ELb1EJPfPiS1_jEEvDpT3_.has_dyn_sized_stack, 0
	.set _Z6kernelI27subtract_right_partial_tileLj256ELj1ELb1EJPfPiS1_jEEvDpT3_.has_recursion, 0
	.set _Z6kernelI27subtract_right_partial_tileLj256ELj1ELb1EJPfPiS1_jEEvDpT3_.has_indirect_call, 0
	.section	.AMDGPU.csdata,"",@progbits
; Kernel info:
; codeLenInByte = 364
; TotalNumSgprs: 13
; NumVgprs: 5
; ScratchSize: 0
; MemoryBound: 0
; FloatMode: 240
; IeeeMode: 1
; LDSByteSize: 2048 bytes/workgroup (compile time only)
; SGPRBlocks: 0
; VGPRBlocks: 0
; NumSGPRsForWavesPerEU: 13
; NumVGPRsForWavesPerEU: 5
; NamedBarCnt: 0
; Occupancy: 16
; WaveLimiterHint : 0
; COMPUTE_PGM_RSRC2:SCRATCH_EN: 0
; COMPUTE_PGM_RSRC2:USER_SGPR: 2
; COMPUTE_PGM_RSRC2:TRAP_HANDLER: 0
; COMPUTE_PGM_RSRC2:TGID_X_EN: 1
; COMPUTE_PGM_RSRC2:TGID_Y_EN: 0
; COMPUTE_PGM_RSRC2:TGID_Z_EN: 0
; COMPUTE_PGM_RSRC2:TIDIG_COMP_CNT: 0
	.section	.text._Z6kernelI27subtract_right_partial_tileLj256ELj3ELb1EJPfPiS1_jEEvDpT3_,"axG",@progbits,_Z6kernelI27subtract_right_partial_tileLj256ELj3ELb1EJPfPiS1_jEEvDpT3_,comdat
	.protected	_Z6kernelI27subtract_right_partial_tileLj256ELj3ELb1EJPfPiS1_jEEvDpT3_ ; -- Begin function _Z6kernelI27subtract_right_partial_tileLj256ELj3ELb1EJPfPiS1_jEEvDpT3_
	.globl	_Z6kernelI27subtract_right_partial_tileLj256ELj3ELb1EJPfPiS1_jEEvDpT3_
	.p2align	8
	.type	_Z6kernelI27subtract_right_partial_tileLj256ELj3ELb1EJPfPiS1_jEEvDpT3_,@function
_Z6kernelI27subtract_right_partial_tileLj256ELj3ELb1EJPfPiS1_jEEvDpT3_: ; @_Z6kernelI27subtract_right_partial_tileLj256ELj3ELb1EJPfPiS1_jEEvDpT3_
; %bb.0:
	s_load_b128 s[8:11], s[0:1], 0x0
	s_bfe_u32 s2, ttmp6, 0x4000c
	s_and_b32 s3, ttmp6, 15
	s_add_co_i32 s2, s2, 1
	s_getreg_b32 s4, hwreg(HW_REG_IB_STS2, 6, 4)
	s_mul_i32 s2, ttmp9, s2
	v_mad_u32_u24 v5, v0, 3, 1
	s_add_co_i32 s3, s3, s2
	s_cmp_eq_u32 s4, 0
	v_mad_u32_u24 v6, v0, 3, 2
	s_cselect_b32 s12, ttmp9, s3
	s_mov_b32 s3, 0
	s_mul_i32 s2, s12, 0x300
	v_mad_u32_u24 v7, v0, 3, 3
	s_lshl_b64 s[4:5], s[2:3], 2
	s_wait_xcnt 0x0
	s_load_b96 s[0:2], s[0:1], 0x10
	s_wait_kmcnt 0x0
	s_add_nc_u64 s[6:7], s[8:9], s[4:5]
	s_clause 0x2
	global_load_b32 v1, v0, s[6:7] scale_offset
	global_load_b32 v2, v0, s[6:7] offset:1024 scale_offset
	global_load_b32 v3, v0, s[6:7] offset:2048 scale_offset
	s_cvt_f32_u32 s3, s2
	s_wait_xcnt 0x0
	s_sub_co_i32 s6, 0, s2
	s_delay_alu instid0(SALU_CYCLE_1) | instskip(SKIP_1) | instid1(TRANS32_DEP_1)
	v_rcp_iflag_f32_e32 v4, s3
	v_nop
	v_readfirstlane_b32 s3, v4
	v_lshlrev_b32_e32 v4, 2, v0
	s_mul_f32 s3, s3, 0x4f7ffffe
	s_delay_alu instid0(SALU_CYCLE_3) | instskip(NEXT) | instid1(SALU_CYCLE_3)
	s_cvt_u32_f32 s3, s3
	s_mul_i32 s6, s6, s3
	s_delay_alu instid0(SALU_CYCLE_1) | instskip(NEXT) | instid1(SALU_CYCLE_1)
	s_mul_hi_u32 s6, s3, s6
	s_add_co_i32 s3, s3, s6
	s_delay_alu instid0(SALU_CYCLE_1)
	s_mul_hi_u32 s7, s3, 0x300
	s_load_b32 s3, s[10:11], s12 offset:0x0 scale_offset
	s_mul_i32 s6, s7, s2
	s_add_co_i32 s9, s7, 1
	s_sub_co_i32 s8, 0x300, s6
	s_mov_b32 s6, s0
	s_wait_xcnt 0x0
	s_sub_co_i32 s10, s8, s2
	s_cmp_ge_u32 s8, s2
	s_cselect_b32 s0, s9, s7
	s_cselect_b32 s7, s10, s8
	s_add_co_i32 s8, s0, 1
	s_cmp_ge_u32 s7, s2
	s_mov_b32 s7, s1
	s_cselect_b32 s0, s8, s0
	s_delay_alu instid0(SALU_CYCLE_1)
	s_add_co_i32 s1, s0, 1
	s_branch .LBB217_2
.LBB217_1:                              ;   in Loop: Header=BB217_2 Depth=1
	s_or_b32 exec_lo, exec_lo, s8
	s_add_co_i32 s0, s1, s3
	v_dual_add_f32 v2, v2, v9 :: v_dual_add_f32 v1, v1, v8
	s_mul_hi_u32 s3, s0, 0xaaaaaaab
	v_add_f32_e32 v3, v3, v10
	s_lshr_b32 s3, s3, 9
	s_add_co_i32 s2, s2, -1
	s_mulk_i32 s3, 0x300
	s_delay_alu instid0(SALU_CYCLE_1)
	s_sub_co_i32 s3, s0, s3
	s_cmp_lg_u32 s2, 0
	s_barrier_signal -1
	s_barrier_wait -1
	s_cbranch_scc0 .LBB217_4
.LBB217_2:                              ; =>This Inner Loop Header: Depth=1
	s_wait_loadcnt 0x0
	v_dual_sub_f32 v8, v1, v2 :: v_dual_sub_f32 v9, v2, v3
	s_wait_kmcnt 0x0
	v_cmp_gt_u32_e32 vcc_lo, s3, v5
	s_mov_b32 s8, exec_lo
	ds_store_b32 v4, v1 offset:1024
	s_wait_dscnt 0x0
	s_barrier_signal -1
	v_cndmask_b32_e32 v8, v1, v8, vcc_lo
	v_cmp_gt_u32_e32 vcc_lo, s3, v6
	s_barrier_wait -1
	v_mov_b32_e32 v10, v3
	s_delay_alu instid0(VALU_DEP_3)
	v_dual_cndmask_b32 v9, v2, v9 :: v_dual_cndmask_b32 v8, v8, v8
	v_cmpx_gt_u32_e64 s3, v7
	s_cbranch_execz .LBB217_1
; %bb.3:                                ;   in Loop: Header=BB217_2 Depth=1
	ds_load_b32 v10, v4 offset:1028
	s_wait_dscnt 0x0
	v_sub_f32_e32 v10, v3, v10
	s_branch .LBB217_1
.LBB217_4:
	s_add_nc_u64 s[0:1], s[6:7], s[4:5]
	s_clause 0x2
	global_store_b32 v0, v1, s[0:1] scale_offset
	global_store_b32 v0, v2, s[0:1] offset:1024 scale_offset
	global_store_b32 v0, v3, s[0:1] offset:2048 scale_offset
	s_endpgm
	.section	.rodata,"a",@progbits
	.p2align	6, 0x0
	.amdhsa_kernel _Z6kernelI27subtract_right_partial_tileLj256ELj3ELb1EJPfPiS1_jEEvDpT3_
		.amdhsa_group_segment_fixed_size 2048
		.amdhsa_private_segment_fixed_size 0
		.amdhsa_kernarg_size 28
		.amdhsa_user_sgpr_count 2
		.amdhsa_user_sgpr_dispatch_ptr 0
		.amdhsa_user_sgpr_queue_ptr 0
		.amdhsa_user_sgpr_kernarg_segment_ptr 1
		.amdhsa_user_sgpr_dispatch_id 0
		.amdhsa_user_sgpr_kernarg_preload_length 0
		.amdhsa_user_sgpr_kernarg_preload_offset 0
		.amdhsa_user_sgpr_private_segment_size 0
		.amdhsa_wavefront_size32 1
		.amdhsa_uses_dynamic_stack 0
		.amdhsa_enable_private_segment 0
		.amdhsa_system_sgpr_workgroup_id_x 1
		.amdhsa_system_sgpr_workgroup_id_y 0
		.amdhsa_system_sgpr_workgroup_id_z 0
		.amdhsa_system_sgpr_workgroup_info 0
		.amdhsa_system_vgpr_workitem_id 0
		.amdhsa_next_free_vgpr 11
		.amdhsa_next_free_sgpr 13
		.amdhsa_named_barrier_count 0
		.amdhsa_reserve_vcc 1
		.amdhsa_float_round_mode_32 0
		.amdhsa_float_round_mode_16_64 0
		.amdhsa_float_denorm_mode_32 3
		.amdhsa_float_denorm_mode_16_64 3
		.amdhsa_fp16_overflow 0
		.amdhsa_memory_ordered 1
		.amdhsa_forward_progress 1
		.amdhsa_inst_pref_size 4
		.amdhsa_round_robin_scheduling 0
		.amdhsa_exception_fp_ieee_invalid_op 0
		.amdhsa_exception_fp_denorm_src 0
		.amdhsa_exception_fp_ieee_div_zero 0
		.amdhsa_exception_fp_ieee_overflow 0
		.amdhsa_exception_fp_ieee_underflow 0
		.amdhsa_exception_fp_ieee_inexact 0
		.amdhsa_exception_int_div_zero 0
	.end_amdhsa_kernel
	.section	.text._Z6kernelI27subtract_right_partial_tileLj256ELj3ELb1EJPfPiS1_jEEvDpT3_,"axG",@progbits,_Z6kernelI27subtract_right_partial_tileLj256ELj3ELb1EJPfPiS1_jEEvDpT3_,comdat
.Lfunc_end217:
	.size	_Z6kernelI27subtract_right_partial_tileLj256ELj3ELb1EJPfPiS1_jEEvDpT3_, .Lfunc_end217-_Z6kernelI27subtract_right_partial_tileLj256ELj3ELb1EJPfPiS1_jEEvDpT3_
                                        ; -- End function
	.set _Z6kernelI27subtract_right_partial_tileLj256ELj3ELb1EJPfPiS1_jEEvDpT3_.num_vgpr, 11
	.set _Z6kernelI27subtract_right_partial_tileLj256ELj3ELb1EJPfPiS1_jEEvDpT3_.num_agpr, 0
	.set _Z6kernelI27subtract_right_partial_tileLj256ELj3ELb1EJPfPiS1_jEEvDpT3_.numbered_sgpr, 13
	.set _Z6kernelI27subtract_right_partial_tileLj256ELj3ELb1EJPfPiS1_jEEvDpT3_.num_named_barrier, 0
	.set _Z6kernelI27subtract_right_partial_tileLj256ELj3ELb1EJPfPiS1_jEEvDpT3_.private_seg_size, 0
	.set _Z6kernelI27subtract_right_partial_tileLj256ELj3ELb1EJPfPiS1_jEEvDpT3_.uses_vcc, 1
	.set _Z6kernelI27subtract_right_partial_tileLj256ELj3ELb1EJPfPiS1_jEEvDpT3_.uses_flat_scratch, 0
	.set _Z6kernelI27subtract_right_partial_tileLj256ELj3ELb1EJPfPiS1_jEEvDpT3_.has_dyn_sized_stack, 0
	.set _Z6kernelI27subtract_right_partial_tileLj256ELj3ELb1EJPfPiS1_jEEvDpT3_.has_recursion, 0
	.set _Z6kernelI27subtract_right_partial_tileLj256ELj3ELb1EJPfPiS1_jEEvDpT3_.has_indirect_call, 0
	.section	.AMDGPU.csdata,"",@progbits
; Kernel info:
; codeLenInByte = 508
; TotalNumSgprs: 15
; NumVgprs: 11
; ScratchSize: 0
; MemoryBound: 0
; FloatMode: 240
; IeeeMode: 1
; LDSByteSize: 2048 bytes/workgroup (compile time only)
; SGPRBlocks: 0
; VGPRBlocks: 0
; NumSGPRsForWavesPerEU: 15
; NumVGPRsForWavesPerEU: 11
; NamedBarCnt: 0
; Occupancy: 16
; WaveLimiterHint : 1
; COMPUTE_PGM_RSRC2:SCRATCH_EN: 0
; COMPUTE_PGM_RSRC2:USER_SGPR: 2
; COMPUTE_PGM_RSRC2:TRAP_HANDLER: 0
; COMPUTE_PGM_RSRC2:TGID_X_EN: 1
; COMPUTE_PGM_RSRC2:TGID_Y_EN: 0
; COMPUTE_PGM_RSRC2:TGID_Z_EN: 0
; COMPUTE_PGM_RSRC2:TIDIG_COMP_CNT: 0
	.section	.text._Z6kernelI27subtract_right_partial_tileLj256ELj4ELb1EJPfPiS1_jEEvDpT3_,"axG",@progbits,_Z6kernelI27subtract_right_partial_tileLj256ELj4ELb1EJPfPiS1_jEEvDpT3_,comdat
	.protected	_Z6kernelI27subtract_right_partial_tileLj256ELj4ELb1EJPfPiS1_jEEvDpT3_ ; -- Begin function _Z6kernelI27subtract_right_partial_tileLj256ELj4ELb1EJPfPiS1_jEEvDpT3_
	.globl	_Z6kernelI27subtract_right_partial_tileLj256ELj4ELb1EJPfPiS1_jEEvDpT3_
	.p2align	8
	.type	_Z6kernelI27subtract_right_partial_tileLj256ELj4ELb1EJPfPiS1_jEEvDpT3_,@function
_Z6kernelI27subtract_right_partial_tileLj256ELj4ELb1EJPfPiS1_jEEvDpT3_: ; @_Z6kernelI27subtract_right_partial_tileLj256ELj4ELb1EJPfPiS1_jEEvDpT3_
; %bb.0:
	s_load_b128 s[8:11], s[0:1], 0x0
	s_bfe_u32 s2, ttmp6, 0x4000c
	s_and_b32 s3, ttmp6, 15
	s_add_co_i32 s2, s2, 1
	s_getreg_b32 s4, hwreg(HW_REG_IB_STS2, 6, 4)
	s_mul_i32 s2, ttmp9, s2
	s_delay_alu instid0(SALU_CYCLE_1) | instskip(SKIP_4) | instid1(SALU_CYCLE_1)
	s_add_co_i32 s3, s3, s2
	s_cmp_eq_u32 s4, 0
	s_cselect_b32 s12, ttmp9, s3
	s_mov_b32 s3, 0
	s_lshl_b32 s2, s12, 10
	s_lshl_b64 s[4:5], s[2:3], 2
	s_wait_xcnt 0x0
	s_load_b96 s[0:2], s[0:1], 0x10
	s_wait_kmcnt 0x0
	s_add_nc_u64 s[6:7], s[8:9], s[4:5]
	s_clause 0x3
	global_load_b32 v4, v0, s[6:7] scale_offset
	global_load_b32 v5, v0, s[6:7] offset:1024 scale_offset
	global_load_b32 v2, v0, s[6:7] offset:2048 scale_offset
	;; [unrolled: 1-line block ×3, first 2 shown]
	s_cvt_f32_u32 s3, s2
	s_wait_xcnt 0x0
	s_sub_co_i32 s6, 0, s2
	s_delay_alu instid0(SALU_CYCLE_1) | instskip(SKIP_1) | instid1(TRANS32_DEP_1)
	v_rcp_iflag_f32_e32 v1, s3
	v_nop
	v_readfirstlane_b32 s3, v1
	v_lshlrev_b32_e32 v1, 2, v0
	s_mul_f32 s3, s3, 0x4f7ffffe
	s_delay_alu instid0(VALU_DEP_1) | instskip(SKIP_1) | instid1(SALU_CYCLE_1)
	v_dual_add_nc_u32 v13, 4, v1 :: v_dual_bitop2_b32 v10, 1, v1 bitop3:0x54
	v_or_b32_e32 v11, 2, v1
	s_cvt_u32_f32 s3, s3
	v_or_b32_e32 v12, 3, v1
	s_delay_alu instid0(SALU_CYCLE_2) | instskip(NEXT) | instid1(SALU_CYCLE_1)
	s_mul_i32 s6, s6, s3
	s_mul_hi_u32 s6, s3, s6
	s_delay_alu instid0(SALU_CYCLE_1) | instskip(SKIP_4) | instid1(SALU_CYCLE_1)
	s_add_co_i32 s3, s3, s6
	s_mov_b32 s6, s0
	s_lshr_b32 s7, s3, 22
	s_load_b32 s3, s[10:11], s12 offset:0x0 scale_offset
	s_mul_i32 s8, s7, s2
	s_sub_co_i32 s0, 0x400, s8
	s_add_co_i32 s8, s7, 1
	s_sub_co_i32 s9, s0, s2
	s_cmp_ge_u32 s0, s2
	s_cselect_b32 s7, s8, s7
	s_cselect_b32 s0, s9, s0
	s_add_co_i32 s8, s7, 1
	s_cmp_ge_u32 s0, s2
	s_cselect_b32 s0, s8, s7
	s_mov_b32 s7, s1
	s_add_co_i32 s1, s0, 1
	s_branch .LBB218_2
.LBB218_1:                              ;   in Loop: Header=BB218_2 Depth=1
	s_or_b32 exec_lo, exec_lo, s0
	s_delay_alu instid0(VALU_DEP_1)
	v_pk_add_f32 v[2:3], v[2:3], v[8:9]
	s_add_co_i32 s0, s1, s3
	v_pk_add_f32 v[4:5], v[4:5], v[6:7]
	s_add_co_i32 s2, s2, -1
	s_and_b32 s3, s0, 0x3ff
	s_cmp_lg_u32 s2, 0
	s_barrier_signal -1
	s_barrier_wait -1
	s_cbranch_scc0 .LBB218_4
.LBB218_2:                              ; =>This Inner Loop Header: Depth=1
	s_wait_loadcnt 0x1
	v_dual_sub_f32 v6, v5, v2 :: v_dual_sub_f32 v8, v4, v5
	s_wait_kmcnt 0x0
	v_cmp_gt_u32_e64 s0, s3, v11
	s_wait_loadcnt 0x0
	v_sub_f32_e32 v9, v2, v3
	v_cmp_gt_u32_e32 vcc_lo, s3, v12
	ds_store_b32 v1, v4 offset:1024
	s_wait_dscnt 0x0
	v_cndmask_b32_e64 v7, v5, v6, s0
	v_cmp_gt_u32_e64 s0, s3, v10
	s_barrier_signal -1
	s_barrier_wait -1
	s_delay_alu instid0(VALU_DEP_1) | instskip(SKIP_3) | instid1(VALU_DEP_3)
	v_dual_cndmask_b32 v6, v4, v8, s0 :: v_dual_cndmask_b32 v8, v2, v9, vcc_lo
	v_cndmask_b32_e32 v7, v7, v7, vcc_lo
	v_mov_b32_e32 v9, v3
	s_mov_b32 s0, exec_lo
	v_cndmask_b32_e32 v6, v6, v6, vcc_lo
	v_cmpx_gt_u32_e64 s3, v13
	s_cbranch_execz .LBB218_1
; %bb.3:                                ;   in Loop: Header=BB218_2 Depth=1
	ds_load_b32 v9, v1 offset:1028
	s_wait_dscnt 0x0
	v_sub_f32_e32 v9, v3, v9
	s_branch .LBB218_1
.LBB218_4:
	s_add_nc_u64 s[0:1], s[6:7], s[4:5]
	s_clause 0x3
	global_store_b32 v0, v4, s[0:1] scale_offset
	global_store_b32 v0, v5, s[0:1] offset:1024 scale_offset
	global_store_b32 v0, v2, s[0:1] offset:2048 scale_offset
	;; [unrolled: 1-line block ×3, first 2 shown]
	s_endpgm
	.section	.rodata,"a",@progbits
	.p2align	6, 0x0
	.amdhsa_kernel _Z6kernelI27subtract_right_partial_tileLj256ELj4ELb1EJPfPiS1_jEEvDpT3_
		.amdhsa_group_segment_fixed_size 2048
		.amdhsa_private_segment_fixed_size 0
		.amdhsa_kernarg_size 28
		.amdhsa_user_sgpr_count 2
		.amdhsa_user_sgpr_dispatch_ptr 0
		.amdhsa_user_sgpr_queue_ptr 0
		.amdhsa_user_sgpr_kernarg_segment_ptr 1
		.amdhsa_user_sgpr_dispatch_id 0
		.amdhsa_user_sgpr_kernarg_preload_length 0
		.amdhsa_user_sgpr_kernarg_preload_offset 0
		.amdhsa_user_sgpr_private_segment_size 0
		.amdhsa_wavefront_size32 1
		.amdhsa_uses_dynamic_stack 0
		.amdhsa_enable_private_segment 0
		.amdhsa_system_sgpr_workgroup_id_x 1
		.amdhsa_system_sgpr_workgroup_id_y 0
		.amdhsa_system_sgpr_workgroup_id_z 0
		.amdhsa_system_sgpr_workgroup_info 0
		.amdhsa_system_vgpr_workitem_id 0
		.amdhsa_next_free_vgpr 14
		.amdhsa_next_free_sgpr 13
		.amdhsa_named_barrier_count 0
		.amdhsa_reserve_vcc 1
		.amdhsa_float_round_mode_32 0
		.amdhsa_float_round_mode_16_64 0
		.amdhsa_float_denorm_mode_32 3
		.amdhsa_float_denorm_mode_16_64 3
		.amdhsa_fp16_overflow 0
		.amdhsa_memory_ordered 1
		.amdhsa_forward_progress 1
		.amdhsa_inst_pref_size 5
		.amdhsa_round_robin_scheduling 0
		.amdhsa_exception_fp_ieee_invalid_op 0
		.amdhsa_exception_fp_denorm_src 0
		.amdhsa_exception_fp_ieee_div_zero 0
		.amdhsa_exception_fp_ieee_overflow 0
		.amdhsa_exception_fp_ieee_underflow 0
		.amdhsa_exception_fp_ieee_inexact 0
		.amdhsa_exception_int_div_zero 0
	.end_amdhsa_kernel
	.section	.text._Z6kernelI27subtract_right_partial_tileLj256ELj4ELb1EJPfPiS1_jEEvDpT3_,"axG",@progbits,_Z6kernelI27subtract_right_partial_tileLj256ELj4ELb1EJPfPiS1_jEEvDpT3_,comdat
.Lfunc_end218:
	.size	_Z6kernelI27subtract_right_partial_tileLj256ELj4ELb1EJPfPiS1_jEEvDpT3_, .Lfunc_end218-_Z6kernelI27subtract_right_partial_tileLj256ELj4ELb1EJPfPiS1_jEEvDpT3_
                                        ; -- End function
	.set _Z6kernelI27subtract_right_partial_tileLj256ELj4ELb1EJPfPiS1_jEEvDpT3_.num_vgpr, 14
	.set _Z6kernelI27subtract_right_partial_tileLj256ELj4ELb1EJPfPiS1_jEEvDpT3_.num_agpr, 0
	.set _Z6kernelI27subtract_right_partial_tileLj256ELj4ELb1EJPfPiS1_jEEvDpT3_.numbered_sgpr, 13
	.set _Z6kernelI27subtract_right_partial_tileLj256ELj4ELb1EJPfPiS1_jEEvDpT3_.num_named_barrier, 0
	.set _Z6kernelI27subtract_right_partial_tileLj256ELj4ELb1EJPfPiS1_jEEvDpT3_.private_seg_size, 0
	.set _Z6kernelI27subtract_right_partial_tileLj256ELj4ELb1EJPfPiS1_jEEvDpT3_.uses_vcc, 1
	.set _Z6kernelI27subtract_right_partial_tileLj256ELj4ELb1EJPfPiS1_jEEvDpT3_.uses_flat_scratch, 0
	.set _Z6kernelI27subtract_right_partial_tileLj256ELj4ELb1EJPfPiS1_jEEvDpT3_.has_dyn_sized_stack, 0
	.set _Z6kernelI27subtract_right_partial_tileLj256ELj4ELb1EJPfPiS1_jEEvDpT3_.has_recursion, 0
	.set _Z6kernelI27subtract_right_partial_tileLj256ELj4ELb1EJPfPiS1_jEEvDpT3_.has_indirect_call, 0
	.section	.AMDGPU.csdata,"",@progbits
; Kernel info:
; codeLenInByte = 548
; TotalNumSgprs: 15
; NumVgprs: 14
; ScratchSize: 0
; MemoryBound: 0
; FloatMode: 240
; IeeeMode: 1
; LDSByteSize: 2048 bytes/workgroup (compile time only)
; SGPRBlocks: 0
; VGPRBlocks: 0
; NumSGPRsForWavesPerEU: 15
; NumVGPRsForWavesPerEU: 14
; NamedBarCnt: 0
; Occupancy: 16
; WaveLimiterHint : 1
; COMPUTE_PGM_RSRC2:SCRATCH_EN: 0
; COMPUTE_PGM_RSRC2:USER_SGPR: 2
; COMPUTE_PGM_RSRC2:TRAP_HANDLER: 0
; COMPUTE_PGM_RSRC2:TGID_X_EN: 1
; COMPUTE_PGM_RSRC2:TGID_Y_EN: 0
; COMPUTE_PGM_RSRC2:TGID_Z_EN: 0
; COMPUTE_PGM_RSRC2:TIDIG_COMP_CNT: 0
	.section	.text._Z6kernelI27subtract_right_partial_tileLj256ELj8ELb1EJPfPiS1_jEEvDpT3_,"axG",@progbits,_Z6kernelI27subtract_right_partial_tileLj256ELj8ELb1EJPfPiS1_jEEvDpT3_,comdat
	.protected	_Z6kernelI27subtract_right_partial_tileLj256ELj8ELb1EJPfPiS1_jEEvDpT3_ ; -- Begin function _Z6kernelI27subtract_right_partial_tileLj256ELj8ELb1EJPfPiS1_jEEvDpT3_
	.globl	_Z6kernelI27subtract_right_partial_tileLj256ELj8ELb1EJPfPiS1_jEEvDpT3_
	.p2align	8
	.type	_Z6kernelI27subtract_right_partial_tileLj256ELj8ELb1EJPfPiS1_jEEvDpT3_,@function
_Z6kernelI27subtract_right_partial_tileLj256ELj8ELb1EJPfPiS1_jEEvDpT3_: ; @_Z6kernelI27subtract_right_partial_tileLj256ELj8ELb1EJPfPiS1_jEEvDpT3_
; %bb.0:
	s_load_b128 s[4:7], s[0:1], 0x0
	s_bfe_u32 s2, ttmp6, 0x4000c
	s_and_b32 s3, ttmp6, 15
	s_add_co_i32 s2, s2, 1
	s_getreg_b32 s8, hwreg(HW_REG_IB_STS2, 6, 4)
	s_mul_i32 s2, ttmp9, s2
	v_dual_lshlrev_b32 v4, 3, v0 :: v_dual_lshlrev_b32 v21, 2, v0
	s_add_co_i32 s3, s3, s2
	s_cmp_eq_u32 s8, 0
	s_cselect_b32 s10, ttmp9, s3
	s_mov_b32 s3, 0
	s_lshl_b32 s2, s10, 11
	v_or_b32_e32 v12, 1, v4
	s_lshl_b64 s[8:9], s[2:3], 2
	s_wait_xcnt 0x0
	s_load_b96 s[0:2], s[0:1], 0x10
	v_or_b32_e32 v13, 4, v4
	v_or_b32_e32 v16, 3, v4
	;; [unrolled: 1-line block ×3, first 2 shown]
	s_wait_kmcnt 0x0
	s_add_nc_u64 s[4:5], s[4:5], s[8:9]
	v_or_b32_e32 v20, 5, v4
	s_clause 0x7
	global_load_b32 v2, v0, s[4:5] scale_offset
	global_load_b32 v3, v0, s[4:5] offset:1024 scale_offset
	global_load_b32 v19, v0, s[4:5] offset:2048 scale_offset
	;; [unrolled: 1-line block ×7, first 2 shown]
	v_dual_add_nc_u32 v25, 8, v4 :: v_dual_bitop2_b32 v24, 7, v4 bitop3:0x54
	s_cvt_f32_u32 s3, s2
	s_wait_xcnt 0x0
	s_sub_co_i32 s4, 0, s2
	s_delay_alu instid0(SALU_CYCLE_1) | instskip(SKIP_1) | instid1(TRANS32_DEP_1)
	v_rcp_iflag_f32_e32 v1, s3
	v_nop
	v_readfirstlane_b32 s3, v1
	v_or_b32_e32 v1, 2, v4
	s_mul_f32 s3, s3, 0x4f7ffffe
	s_delay_alu instid0(SALU_CYCLE_3) | instskip(NEXT) | instid1(SALU_CYCLE_3)
	s_cvt_u32_f32 s3, s3
	s_mul_i32 s4, s4, s3
	s_delay_alu instid0(SALU_CYCLE_1) | instskip(NEXT) | instid1(SALU_CYCLE_1)
	s_mul_hi_u32 s4, s3, s4
	s_add_co_i32 s3, s3, s4
	s_delay_alu instid0(SALU_CYCLE_1)
	s_lshr_b32 s4, s3, 21
	s_load_b32 s3, s[6:7], s10 offset:0x0 scale_offset
	s_mul_i32 s5, s4, s2
	s_wait_xcnt 0x0
	s_add_co_i32 s6, s4, 1
	s_sub_co_i32 s5, 0x800, s5
	s_delay_alu instid0(SALU_CYCLE_1)
	s_sub_co_i32 s7, s5, s2
	s_cmp_ge_u32 s5, s2
	s_cselect_b32 s4, s6, s4
	s_cselect_b32 s5, s7, s5
	s_add_co_i32 s6, s4, 1
	s_cmp_ge_u32 s5, s2
	s_cselect_b32 s4, s6, s4
	s_delay_alu instid0(SALU_CYCLE_1)
	s_add_co_i32 s4, s4, 1
	s_branch .LBB219_2
.LBB219_1:                              ;   in Loop: Header=BB219_2 Depth=1
	s_or_b32 exec_lo, exec_lo, s5
	v_dual_mov_b32 v18, v3 :: v_dual_mov_b32 v8, v19
	v_dual_mov_b32 v14, v9 :: v_dual_mov_b32 v6, v15
	v_cmp_gt_u32_e32 vcc_lo, s3, v1
	s_delay_alu instid0(VALU_DEP_3) | instskip(SKIP_1) | instid1(VALU_DEP_3)
	v_pk_add_f32 v[26:27], v[2:3], v[18:19] neg_lo:[0,1] neg_hi:[0,1]
	s_add_co_i32 s2, s2, -1
	v_pk_add_f32 v[28:29], v[8:9], v[14:15] neg_lo:[0,1] neg_hi:[0,1]
	s_barrier_signal -1
	s_delay_alu instid0(VALU_DEP_2)
	v_cndmask_b32_e32 v27, v3, v27, vcc_lo
	v_cmp_gt_u32_e32 vcc_lo, s3, v12
	v_mov_b32_e32 v10, v7
	s_barrier_wait -1
	v_cndmask_b32_e32 v26, v2, v26, vcc_lo
	v_cmp_gt_u32_e32 vcc_lo, s3, v13
	s_delay_alu instid0(VALU_DEP_3)
	v_pk_add_f32 v[30:31], v[6:7], v[10:11] neg_lo:[0,1] neg_hi:[0,1]
	v_cndmask_b32_e32 v29, v9, v29, vcc_lo
	v_cmp_gt_u32_e32 vcc_lo, s3, v16
	v_pk_add_f32 v[2:3], v[2:3], v[26:27]
	v_cndmask_b32_e32 v28, v19, v28, vcc_lo
	v_cmp_gt_u32_e32 vcc_lo, s3, v17
	s_delay_alu instid0(VALU_DEP_2)
	v_pk_add_f32 v[8:9], v[8:9], v[28:29]
	v_cndmask_b32_e32 v19, v7, v31, vcc_lo
	v_cmp_gt_u32_e32 vcc_lo, s3, v20
	v_cndmask_b32_e32 v18, v15, v30, vcc_lo
	v_cmp_gt_u32_e32 vcc_lo, s3, v24
	s_add_co_i32 s3, s4, s3
	s_delay_alu instid0(SALU_CYCLE_1) | instskip(NEXT) | instid1(VALU_DEP_2)
	s_and_b32 s3, s3, 0x7ff
	v_pk_add_f32 v[6:7], v[6:7], v[18:19]
	v_dual_sub_f32 v4, v11, v5 :: v_dual_mov_b32 v19, v8
	s_cmp_lg_u32 s2, 0
	s_delay_alu instid0(VALU_DEP_1) | instskip(SKIP_1) | instid1(VALU_DEP_1)
	v_dual_mov_b32 v15, v6 :: v_dual_cndmask_b32 v22, v11, v4
	v_mov_b32_e32 v4, v11
	v_pk_add_f32 v[4:5], v[4:5], v[22:23]
	s_delay_alu instid0(VALU_DEP_1)
	v_mov_b32_e32 v11, v4
	s_cbranch_scc0 .LBB219_4
.LBB219_2:                              ; =>This Inner Loop Header: Depth=1
	s_wait_loadcnt 0x0
	s_delay_alu instid0(VALU_DEP_2)
	v_mov_b32_e32 v23, v5
	s_mov_b32 s5, exec_lo
	ds_store_b32 v21, v2 offset:1024
	s_wait_dscnt 0x0
	s_barrier_signal -1
	s_barrier_wait -1
	s_wait_kmcnt 0x0
	v_cmpx_gt_u32_e64 s3, v25
	s_cbranch_execz .LBB219_1
; %bb.3:                                ;   in Loop: Header=BB219_2 Depth=1
	ds_load_b32 v4, v21 offset:1028
	s_wait_dscnt 0x0
	v_sub_f32_e32 v23, v5, v4
	s_branch .LBB219_1
.LBB219_4:
	s_add_nc_u64 s[0:1], s[0:1], s[8:9]
	s_clause 0x7
	global_store_b32 v0, v2, s[0:1] scale_offset
	global_store_b32 v0, v3, s[0:1] offset:1024 scale_offset
	global_store_b32 v0, v8, s[0:1] offset:2048 scale_offset
	;; [unrolled: 1-line block ×7, first 2 shown]
	s_endpgm
	.section	.rodata,"a",@progbits
	.p2align	6, 0x0
	.amdhsa_kernel _Z6kernelI27subtract_right_partial_tileLj256ELj8ELb1EJPfPiS1_jEEvDpT3_
		.amdhsa_group_segment_fixed_size 2048
		.amdhsa_private_segment_fixed_size 0
		.amdhsa_kernarg_size 28
		.amdhsa_user_sgpr_count 2
		.amdhsa_user_sgpr_dispatch_ptr 0
		.amdhsa_user_sgpr_queue_ptr 0
		.amdhsa_user_sgpr_kernarg_segment_ptr 1
		.amdhsa_user_sgpr_dispatch_id 0
		.amdhsa_user_sgpr_kernarg_preload_length 0
		.amdhsa_user_sgpr_kernarg_preload_offset 0
		.amdhsa_user_sgpr_private_segment_size 0
		.amdhsa_wavefront_size32 1
		.amdhsa_uses_dynamic_stack 0
		.amdhsa_enable_private_segment 0
		.amdhsa_system_sgpr_workgroup_id_x 1
		.amdhsa_system_sgpr_workgroup_id_y 0
		.amdhsa_system_sgpr_workgroup_id_z 0
		.amdhsa_system_sgpr_workgroup_info 0
		.amdhsa_system_vgpr_workitem_id 0
		.amdhsa_next_free_vgpr 32
		.amdhsa_next_free_sgpr 11
		.amdhsa_named_barrier_count 0
		.amdhsa_reserve_vcc 1
		.amdhsa_float_round_mode_32 0
		.amdhsa_float_round_mode_16_64 0
		.amdhsa_float_denorm_mode_32 3
		.amdhsa_float_denorm_mode_16_64 3
		.amdhsa_fp16_overflow 0
		.amdhsa_memory_ordered 1
		.amdhsa_forward_progress 1
		.amdhsa_inst_pref_size 6
		.amdhsa_round_robin_scheduling 0
		.amdhsa_exception_fp_ieee_invalid_op 0
		.amdhsa_exception_fp_denorm_src 0
		.amdhsa_exception_fp_ieee_div_zero 0
		.amdhsa_exception_fp_ieee_overflow 0
		.amdhsa_exception_fp_ieee_underflow 0
		.amdhsa_exception_fp_ieee_inexact 0
		.amdhsa_exception_int_div_zero 0
	.end_amdhsa_kernel
	.section	.text._Z6kernelI27subtract_right_partial_tileLj256ELj8ELb1EJPfPiS1_jEEvDpT3_,"axG",@progbits,_Z6kernelI27subtract_right_partial_tileLj256ELj8ELb1EJPfPiS1_jEEvDpT3_,comdat
.Lfunc_end219:
	.size	_Z6kernelI27subtract_right_partial_tileLj256ELj8ELb1EJPfPiS1_jEEvDpT3_, .Lfunc_end219-_Z6kernelI27subtract_right_partial_tileLj256ELj8ELb1EJPfPiS1_jEEvDpT3_
                                        ; -- End function
	.set _Z6kernelI27subtract_right_partial_tileLj256ELj8ELb1EJPfPiS1_jEEvDpT3_.num_vgpr, 32
	.set _Z6kernelI27subtract_right_partial_tileLj256ELj8ELb1EJPfPiS1_jEEvDpT3_.num_agpr, 0
	.set _Z6kernelI27subtract_right_partial_tileLj256ELj8ELb1EJPfPiS1_jEEvDpT3_.numbered_sgpr, 11
	.set _Z6kernelI27subtract_right_partial_tileLj256ELj8ELb1EJPfPiS1_jEEvDpT3_.num_named_barrier, 0
	.set _Z6kernelI27subtract_right_partial_tileLj256ELj8ELb1EJPfPiS1_jEEvDpT3_.private_seg_size, 0
	.set _Z6kernelI27subtract_right_partial_tileLj256ELj8ELb1EJPfPiS1_jEEvDpT3_.uses_vcc, 1
	.set _Z6kernelI27subtract_right_partial_tileLj256ELj8ELb1EJPfPiS1_jEEvDpT3_.uses_flat_scratch, 0
	.set _Z6kernelI27subtract_right_partial_tileLj256ELj8ELb1EJPfPiS1_jEEvDpT3_.has_dyn_sized_stack, 0
	.set _Z6kernelI27subtract_right_partial_tileLj256ELj8ELb1EJPfPiS1_jEEvDpT3_.has_recursion, 0
	.set _Z6kernelI27subtract_right_partial_tileLj256ELj8ELb1EJPfPiS1_jEEvDpT3_.has_indirect_call, 0
	.section	.AMDGPU.csdata,"",@progbits
; Kernel info:
; codeLenInByte = 768
; TotalNumSgprs: 13
; NumVgprs: 32
; ScratchSize: 0
; MemoryBound: 0
; FloatMode: 240
; IeeeMode: 1
; LDSByteSize: 2048 bytes/workgroup (compile time only)
; SGPRBlocks: 0
; VGPRBlocks: 1
; NumSGPRsForWavesPerEU: 13
; NumVGPRsForWavesPerEU: 32
; NamedBarCnt: 0
; Occupancy: 16
; WaveLimiterHint : 1
; COMPUTE_PGM_RSRC2:SCRATCH_EN: 0
; COMPUTE_PGM_RSRC2:USER_SGPR: 2
; COMPUTE_PGM_RSRC2:TRAP_HANDLER: 0
; COMPUTE_PGM_RSRC2:TGID_X_EN: 1
; COMPUTE_PGM_RSRC2:TGID_Y_EN: 0
; COMPUTE_PGM_RSRC2:TGID_Z_EN: 0
; COMPUTE_PGM_RSRC2:TIDIG_COMP_CNT: 0
	.section	.text._Z6kernelI27subtract_right_partial_tileLj256ELj16ELb1EJPfPiS1_jEEvDpT3_,"axG",@progbits,_Z6kernelI27subtract_right_partial_tileLj256ELj16ELb1EJPfPiS1_jEEvDpT3_,comdat
	.protected	_Z6kernelI27subtract_right_partial_tileLj256ELj16ELb1EJPfPiS1_jEEvDpT3_ ; -- Begin function _Z6kernelI27subtract_right_partial_tileLj256ELj16ELb1EJPfPiS1_jEEvDpT3_
	.globl	_Z6kernelI27subtract_right_partial_tileLj256ELj16ELb1EJPfPiS1_jEEvDpT3_
	.p2align	8
	.type	_Z6kernelI27subtract_right_partial_tileLj256ELj16ELb1EJPfPiS1_jEEvDpT3_,@function
_Z6kernelI27subtract_right_partial_tileLj256ELj16ELb1EJPfPiS1_jEEvDpT3_: ; @_Z6kernelI27subtract_right_partial_tileLj256ELj16ELb1EJPfPiS1_jEEvDpT3_
; %bb.0:
	s_load_b128 s[4:7], s[0:1], 0x0
	s_bfe_u32 s2, ttmp6, 0x4000c
	s_and_b32 s3, ttmp6, 15
	s_add_co_i32 s2, s2, 1
	s_getreg_b32 s8, hwreg(HW_REG_IB_STS2, 6, 4)
	s_mul_i32 s2, ttmp9, s2
	v_dual_lshlrev_b32 v32, 4, v0 :: v_dual_lshlrev_b32 v31, 2, v0
	s_add_co_i32 s3, s3, s2
	s_cmp_eq_u32 s8, 0
	s_cselect_b32 s10, ttmp9, s3
	s_mov_b32 s3, 0
	s_lshl_b32 s2, s10, 12
	v_or_b32_e32 v18, 2, v32
	s_lshl_b64 s[8:9], s[2:3], 2
	s_wait_xcnt 0x0
	s_load_b96 s[0:2], s[0:1], 0x10
	v_or_b32_e32 v19, 3, v32
	v_or_b32_e32 v20, 4, v32
	;; [unrolled: 1-line block ×3, first 2 shown]
	s_wait_kmcnt 0x0
	s_add_nc_u64 s[4:5], s[4:5], s[8:9]
	v_or_b32_e32 v22, 6, v32
	s_clause 0xf
	global_load_b32 v17, v0, s[4:5] scale_offset
	global_load_b32 v16, v0, s[4:5] offset:1024 scale_offset
	global_load_b32 v15, v0, s[4:5] offset:2048 scale_offset
	;; [unrolled: 1-line block ×15, first 2 shown]
	v_or_b32_e32 v23, 7, v32
	v_or_b32_e32 v24, 8, v32
	;; [unrolled: 1-line block ×8, first 2 shown]
	v_dual_add_nc_u32 v35, 16, v32 :: v_dual_bitop2_b32 v34, 15, v32 bitop3:0x54
	s_cvt_f32_u32 s3, s2
	s_wait_xcnt 0x0
	s_sub_co_i32 s4, 0, s2
	s_delay_alu instid0(SALU_CYCLE_1) | instskip(SKIP_1) | instid1(TRANS32_DEP_1)
	v_rcp_iflag_f32_e32 v1, s3
	v_nop
	v_readfirstlane_b32 s3, v1
	v_or_b32_e32 v1, 1, v32
	s_mul_f32 s3, s3, 0x4f7ffffe
	s_delay_alu instid0(SALU_CYCLE_3) | instskip(NEXT) | instid1(SALU_CYCLE_3)
	s_cvt_u32_f32 s3, s3
	s_mul_i32 s4, s4, s3
	s_delay_alu instid0(SALU_CYCLE_1) | instskip(NEXT) | instid1(SALU_CYCLE_1)
	s_mul_hi_u32 s4, s3, s4
	s_add_co_i32 s3, s3, s4
	s_mov_b32 s4, s0
	s_lshr_b32 s5, s3, 20
	s_delay_alu instid0(SALU_CYCLE_1)
	s_mul_i32 s3, s5, s2
	s_add_co_i32 s11, s5, 1
	s_sub_co_i32 s0, 0x1000, s3
	s_load_b32 s3, s[6:7], s10 offset:0x0 scale_offset
	s_sub_co_i32 s12, s0, s2
	s_cmp_ge_u32 s0, s2
	s_cselect_b32 s5, s11, s5
	s_cselect_b32 s0, s12, s0
	s_wait_xcnt 0x0
	s_add_co_i32 s6, s5, 1
	s_cmp_ge_u32 s0, s2
	s_cselect_b32 s0, s6, s5
	s_mov_b32 s5, s1
	s_add_co_i32 s1, s0, 1
	s_branch .LBB220_2
.LBB220_1:                              ;   in Loop: Header=BB220_2 Depth=1
	s_or_b32 exec_lo, exec_lo, s0
	v_dual_mov_b32 v36, v15 :: v_dual_mov_b32 v37, v16
	v_cmp_gt_u32_e32 vcc_lo, s3, v1
	v_dual_mov_b32 v38, v13 :: v_dual_mov_b32 v39, v14
	v_dual_mov_b32 v42, v9 :: v_dual_mov_b32 v43, v10
	s_delay_alu instid0(VALU_DEP_4) | instskip(SKIP_1) | instid1(VALU_DEP_4)
	v_pk_add_f32 v[36:37], v[16:17], v[36:37] neg_lo:[0,1] neg_hi:[0,1]
	v_mov_b32_e32 v40, v11
	v_pk_add_f32 v[38:39], v[14:15], v[38:39] neg_lo:[0,1] neg_hi:[0,1]
	v_dual_mov_b32 v44, v7 :: v_dual_mov_b32 v45, v8
	s_delay_alu instid0(VALU_DEP_4)
	v_cndmask_b32_e32 v37, v17, v37, vcc_lo
	v_cmp_gt_u32_e32 vcc_lo, s3, v18
	v_pk_add_f32 v[42:43], v[10:11], v[42:43] neg_lo:[0,1] neg_hi:[0,1]
	v_dual_mov_b32 v46, v5 :: v_dual_mov_b32 v47, v6
	v_pk_add_f32 v[44:45], v[8:9], v[44:45] neg_lo:[0,1] neg_hi:[0,1]
	v_cndmask_b32_e32 v36, v16, v36, vcc_lo
	v_cmp_gt_u32_e32 vcc_lo, s3, v19
	v_cmp_gt_u32_e64 s0, s3, v27
	v_pk_add_f32 v[46:47], v[6:7], v[46:47] neg_lo:[0,1] neg_hi:[0,1]
	v_dual_mov_b32 v48, v3 :: v_dual_mov_b32 v49, v4
	v_cndmask_b32_e32 v39, v15, v39, vcc_lo
	v_cmp_gt_u32_e32 vcc_lo, s3, v20
	v_dual_mov_b32 v41, v12 :: v_dual_sub_f32 v33, v3, v2
	s_delay_alu instid0(VALU_DEP_4) | instskip(SKIP_2) | instid1(VALU_DEP_4)
	v_pk_add_f32 v[48:49], v[4:5], v[48:49] neg_lo:[0,1] neg_hi:[0,1]
	v_pk_add_f32 v[16:17], v[16:17], v[36:37]
	v_cndmask_b32_e32 v38, v14, v38, vcc_lo
	v_pk_add_f32 v[40:41], v[12:13], v[40:41] neg_lo:[0,1] neg_hi:[0,1]
	v_cmp_gt_u32_e32 vcc_lo, s3, v21
	s_add_co_i32 s2, s2, -1
	s_delay_alu instid0(VALU_DEP_3)
	v_pk_add_f32 v[14:15], v[14:15], v[38:39]
	s_barrier_signal -1
	v_cndmask_b32_e32 v41, v13, v41, vcc_lo
	v_cmp_gt_u32_e32 vcc_lo, s3, v22
	s_barrier_wait -1
	v_cndmask_b32_e32 v40, v12, v40, vcc_lo
	v_cmp_gt_u32_e32 vcc_lo, s3, v23
	s_delay_alu instid0(VALU_DEP_2) | instskip(SKIP_4) | instid1(VALU_DEP_2)
	v_pk_add_f32 v[12:13], v[12:13], v[40:41]
	v_cndmask_b32_e32 v43, v11, v43, vcc_lo
	v_cmp_gt_u32_e32 vcc_lo, s3, v24
	v_cndmask_b32_e32 v42, v10, v42, vcc_lo
	v_cmp_gt_u32_e32 vcc_lo, s3, v25
	v_pk_add_f32 v[10:11], v[10:11], v[42:43]
	v_cndmask_b32_e32 v45, v9, v45, vcc_lo
	v_cmp_gt_u32_e32 vcc_lo, s3, v26
	v_cndmask_b32_e32 v44, v8, v44, vcc_lo
	v_cmp_gt_u32_e32 vcc_lo, s3, v28
	v_cndmask_b32_e64 v47, v7, v47, s0
	v_cmp_gt_u32_e64 s0, s3, v29
	s_delay_alu instid0(VALU_DEP_4) | instskip(SKIP_2) | instid1(VALU_DEP_4)
	v_pk_add_f32 v[8:9], v[8:9], v[44:45]
	v_cndmask_b32_e32 v46, v6, v46, vcc_lo
	v_cmp_gt_u32_e32 vcc_lo, s3, v30
	v_cndmask_b32_e64 v49, v5, v49, s0
	s_add_co_i32 s0, s1, s3
	s_delay_alu instid0(VALU_DEP_3) | instskip(SKIP_4) | instid1(VALU_DEP_2)
	v_pk_add_f32 v[6:7], v[6:7], v[46:47]
	v_cndmask_b32_e32 v48, v4, v48, vcc_lo
	v_cmp_gt_u32_e32 vcc_lo, s3, v34
	s_and_b32 s3, s0, 0xfff
	s_cmp_lg_u32 s2, 0
	v_pk_add_f32 v[4:5], v[4:5], v[48:49]
	v_cndmask_b32_e32 v33, v3, v33, vcc_lo
	s_delay_alu instid0(VALU_DEP_1)
	v_pk_add_f32 v[2:3], v[2:3], v[32:33]
	s_cbranch_scc0 .LBB220_4
.LBB220_2:                              ; =>This Inner Loop Header: Depth=1
	s_wait_loadcnt 0x0
	s_delay_alu instid0(VALU_DEP_1)
	v_mov_b64_e32 v[32:33], v[2:3]
	s_mov_b32 s0, exec_lo
	ds_store_b32 v31, v17 offset:1024
	s_wait_dscnt 0x0
	s_barrier_signal -1
	s_barrier_wait -1
	s_wait_kmcnt 0x0
	v_cmpx_gt_u32_e64 s3, v35
	s_cbranch_execz .LBB220_1
; %bb.3:                                ;   in Loop: Header=BB220_2 Depth=1
	ds_load_b32 v32, v31 offset:1028
	s_wait_dscnt 0x0
	v_sub_f32_e32 v32, v2, v32
	s_branch .LBB220_1
.LBB220_4:
	s_add_nc_u64 s[0:1], s[4:5], s[8:9]
	s_clause 0xf
	global_store_b32 v0, v17, s[0:1] scale_offset
	global_store_b32 v0, v16, s[0:1] offset:1024 scale_offset
	global_store_b32 v0, v15, s[0:1] offset:2048 scale_offset
	;; [unrolled: 1-line block ×15, first 2 shown]
	s_endpgm
	.section	.rodata,"a",@progbits
	.p2align	6, 0x0
	.amdhsa_kernel _Z6kernelI27subtract_right_partial_tileLj256ELj16ELb1EJPfPiS1_jEEvDpT3_
		.amdhsa_group_segment_fixed_size 2048
		.amdhsa_private_segment_fixed_size 0
		.amdhsa_kernarg_size 28
		.amdhsa_user_sgpr_count 2
		.amdhsa_user_sgpr_dispatch_ptr 0
		.amdhsa_user_sgpr_queue_ptr 0
		.amdhsa_user_sgpr_kernarg_segment_ptr 1
		.amdhsa_user_sgpr_dispatch_id 0
		.amdhsa_user_sgpr_kernarg_preload_length 0
		.amdhsa_user_sgpr_kernarg_preload_offset 0
		.amdhsa_user_sgpr_private_segment_size 0
		.amdhsa_wavefront_size32 1
		.amdhsa_uses_dynamic_stack 0
		.amdhsa_enable_private_segment 0
		.amdhsa_system_sgpr_workgroup_id_x 1
		.amdhsa_system_sgpr_workgroup_id_y 0
		.amdhsa_system_sgpr_workgroup_id_z 0
		.amdhsa_system_sgpr_workgroup_info 0
		.amdhsa_system_vgpr_workitem_id 0
		.amdhsa_next_free_vgpr 50
		.amdhsa_next_free_sgpr 13
		.amdhsa_named_barrier_count 0
		.amdhsa_reserve_vcc 1
		.amdhsa_float_round_mode_32 0
		.amdhsa_float_round_mode_16_64 0
		.amdhsa_float_denorm_mode_32 3
		.amdhsa_float_denorm_mode_16_64 3
		.amdhsa_fp16_overflow 0
		.amdhsa_memory_ordered 1
		.amdhsa_forward_progress 1
		.amdhsa_inst_pref_size 10
		.amdhsa_round_robin_scheduling 0
		.amdhsa_exception_fp_ieee_invalid_op 0
		.amdhsa_exception_fp_denorm_src 0
		.amdhsa_exception_fp_ieee_div_zero 0
		.amdhsa_exception_fp_ieee_overflow 0
		.amdhsa_exception_fp_ieee_underflow 0
		.amdhsa_exception_fp_ieee_inexact 0
		.amdhsa_exception_int_div_zero 0
	.end_amdhsa_kernel
	.section	.text._Z6kernelI27subtract_right_partial_tileLj256ELj16ELb1EJPfPiS1_jEEvDpT3_,"axG",@progbits,_Z6kernelI27subtract_right_partial_tileLj256ELj16ELb1EJPfPiS1_jEEvDpT3_,comdat
.Lfunc_end220:
	.size	_Z6kernelI27subtract_right_partial_tileLj256ELj16ELb1EJPfPiS1_jEEvDpT3_, .Lfunc_end220-_Z6kernelI27subtract_right_partial_tileLj256ELj16ELb1EJPfPiS1_jEEvDpT3_
                                        ; -- End function
	.set _Z6kernelI27subtract_right_partial_tileLj256ELj16ELb1EJPfPiS1_jEEvDpT3_.num_vgpr, 50
	.set _Z6kernelI27subtract_right_partial_tileLj256ELj16ELb1EJPfPiS1_jEEvDpT3_.num_agpr, 0
	.set _Z6kernelI27subtract_right_partial_tileLj256ELj16ELb1EJPfPiS1_jEEvDpT3_.numbered_sgpr, 13
	.set _Z6kernelI27subtract_right_partial_tileLj256ELj16ELb1EJPfPiS1_jEEvDpT3_.num_named_barrier, 0
	.set _Z6kernelI27subtract_right_partial_tileLj256ELj16ELb1EJPfPiS1_jEEvDpT3_.private_seg_size, 0
	.set _Z6kernelI27subtract_right_partial_tileLj256ELj16ELb1EJPfPiS1_jEEvDpT3_.uses_vcc, 1
	.set _Z6kernelI27subtract_right_partial_tileLj256ELj16ELb1EJPfPiS1_jEEvDpT3_.uses_flat_scratch, 0
	.set _Z6kernelI27subtract_right_partial_tileLj256ELj16ELb1EJPfPiS1_jEEvDpT3_.has_dyn_sized_stack, 0
	.set _Z6kernelI27subtract_right_partial_tileLj256ELj16ELb1EJPfPiS1_jEEvDpT3_.has_recursion, 0
	.set _Z6kernelI27subtract_right_partial_tileLj256ELj16ELb1EJPfPiS1_jEEvDpT3_.has_indirect_call, 0
	.section	.AMDGPU.csdata,"",@progbits
; Kernel info:
; codeLenInByte = 1156
; TotalNumSgprs: 15
; NumVgprs: 50
; ScratchSize: 0
; MemoryBound: 0
; FloatMode: 240
; IeeeMode: 1
; LDSByteSize: 2048 bytes/workgroup (compile time only)
; SGPRBlocks: 0
; VGPRBlocks: 3
; NumSGPRsForWavesPerEU: 15
; NumVGPRsForWavesPerEU: 50
; NamedBarCnt: 0
; Occupancy: 16
; WaveLimiterHint : 1
; COMPUTE_PGM_RSRC2:SCRATCH_EN: 0
; COMPUTE_PGM_RSRC2:USER_SGPR: 2
; COMPUTE_PGM_RSRC2:TRAP_HANDLER: 0
; COMPUTE_PGM_RSRC2:TGID_X_EN: 1
; COMPUTE_PGM_RSRC2:TGID_Y_EN: 0
; COMPUTE_PGM_RSRC2:TGID_Z_EN: 0
; COMPUTE_PGM_RSRC2:TIDIG_COMP_CNT: 0
	.section	.text._Z6kernelI27subtract_right_partial_tileLj256ELj32ELb1EJPfPiS1_jEEvDpT3_,"axG",@progbits,_Z6kernelI27subtract_right_partial_tileLj256ELj32ELb1EJPfPiS1_jEEvDpT3_,comdat
	.protected	_Z6kernelI27subtract_right_partial_tileLj256ELj32ELb1EJPfPiS1_jEEvDpT3_ ; -- Begin function _Z6kernelI27subtract_right_partial_tileLj256ELj32ELb1EJPfPiS1_jEEvDpT3_
	.globl	_Z6kernelI27subtract_right_partial_tileLj256ELj32ELb1EJPfPiS1_jEEvDpT3_
	.p2align	8
	.type	_Z6kernelI27subtract_right_partial_tileLj256ELj32ELb1EJPfPiS1_jEEvDpT3_,@function
_Z6kernelI27subtract_right_partial_tileLj256ELj32ELb1EJPfPiS1_jEEvDpT3_: ; @_Z6kernelI27subtract_right_partial_tileLj256ELj32ELb1EJPfPiS1_jEEvDpT3_
; %bb.0:
	s_load_b128 s[4:7], s[0:1], 0x0
	s_bfe_u32 s2, ttmp6, 0x4000c
	s_and_b32 s3, ttmp6, 15
	s_add_co_i32 s2, s2, 1
	s_getreg_b32 s8, hwreg(HW_REG_IB_STS2, 6, 4)
	s_mul_i32 s2, ttmp9, s2
	v_dual_lshlrev_b32 v62, 5, v0 :: v_dual_lshlrev_b32 v63, 2, v0
	s_add_co_i32 s3, s3, s2
	s_cmp_eq_u32 s8, 0
	s_cselect_b32 s10, ttmp9, s3
	s_mov_b32 s3, 0
	s_lshl_b32 s2, s10, 13
	v_or_b32_e32 v34, 2, v62
	s_lshl_b64 s[8:9], s[2:3], 2
	s_wait_xcnt 0x0
	s_load_b96 s[0:2], s[0:1], 0x10
	v_or_b32_e32 v35, 3, v62
	v_or_b32_e32 v36, 4, v62
	;; [unrolled: 1-line block ×3, first 2 shown]
	s_wait_kmcnt 0x0
	s_add_nc_u64 s[4:5], s[4:5], s[8:9]
	v_or_b32_e32 v38, 6, v62
	s_clause 0x1f
	global_load_b32 v33, v0, s[4:5] scale_offset
	global_load_b32 v32, v0, s[4:5] offset:1024 scale_offset
	global_load_b32 v31, v0, s[4:5] offset:2048 scale_offset
	global_load_b32 v30, v0, s[4:5] offset:3072 scale_offset
	global_load_b32 v29, v0, s[4:5] offset:4096 scale_offset
	global_load_b32 v28, v0, s[4:5] offset:5120 scale_offset
	global_load_b32 v27, v0, s[4:5] offset:6144 scale_offset
	global_load_b32 v26, v0, s[4:5] offset:7168 scale_offset
	global_load_b32 v25, v0, s[4:5] offset:8192 scale_offset
	global_load_b32 v24, v0, s[4:5] offset:9216 scale_offset
	global_load_b32 v23, v0, s[4:5] offset:10240 scale_offset
	global_load_b32 v22, v0, s[4:5] offset:11264 scale_offset
	global_load_b32 v21, v0, s[4:5] offset:12288 scale_offset
	global_load_b32 v20, v0, s[4:5] offset:13312 scale_offset
	global_load_b32 v19, v0, s[4:5] offset:14336 scale_offset
	global_load_b32 v18, v0, s[4:5] offset:15360 scale_offset
	global_load_b32 v17, v0, s[4:5] offset:16384 scale_offset
	global_load_b32 v16, v0, s[4:5] offset:17408 scale_offset
	global_load_b32 v15, v0, s[4:5] offset:18432 scale_offset
	global_load_b32 v14, v0, s[4:5] offset:19456 scale_offset
	global_load_b32 v13, v0, s[4:5] offset:20480 scale_offset
	global_load_b32 v12, v0, s[4:5] offset:21504 scale_offset
	global_load_b32 v11, v0, s[4:5] offset:22528 scale_offset
	global_load_b32 v10, v0, s[4:5] offset:23552 scale_offset
	global_load_b32 v9, v0, s[4:5] offset:24576 scale_offset
	global_load_b32 v8, v0, s[4:5] offset:25600 scale_offset
	global_load_b32 v7, v0, s[4:5] offset:26624 scale_offset
	global_load_b32 v6, v0, s[4:5] offset:27648 scale_offset
	global_load_b32 v5, v0, s[4:5] offset:28672 scale_offset
	global_load_b32 v4, v0, s[4:5] offset:29696 scale_offset
	global_load_b32 v3, v0, s[4:5] offset:30720 scale_offset
	global_load_b32 v2, v0, s[4:5] offset:31744 scale_offset
	v_or_b32_e32 v39, 7, v62
	v_or_b32_e32 v40, 8, v62
	;; [unrolled: 1-line block ×13, first 2 shown]
	s_cvt_f32_u32 s3, s2
	s_wait_xcnt 0x0
	s_sub_co_i32 s4, 0, s2
	v_or_b32_e32 v51, 19, v62
	v_or_b32_e32 v52, 20, v62
	v_rcp_iflag_f32_e32 v1, s3
	v_or_b32_e32 v53, 21, v62
	v_or_b32_e32 v54, 22, v62
	v_dual_add_nc_u32 v67, 32, v62 :: v_dual_bitop2_b32 v55, 23, v62 bitop3:0x54
	v_or_b32_e32 v56, 24, v62
	v_or_b32_e32 v57, 25, v62
	s_delay_alu instid0(TRANS32_DEP_1)
	v_readfirstlane_b32 s3, v1
	v_or_b32_e32 v1, 1, v62
	v_or_b32_e32 v58, 26, v62
	;; [unrolled: 1-line block ×4, first 2 shown]
	s_mul_f32 s3, s3, 0x4f7ffffe
	v_or_b32_e32 v61, 29, v62
	v_or_b32_e32 v62, 30, v62
	s_delay_alu instid0(SALU_CYCLE_1) | instskip(NEXT) | instid1(SALU_CYCLE_3)
	s_cvt_u32_f32 s3, s3
	s_mul_i32 s4, s4, s3
	s_delay_alu instid0(SALU_CYCLE_1) | instskip(NEXT) | instid1(SALU_CYCLE_1)
	s_mul_hi_u32 s4, s3, s4
	s_add_co_i32 s3, s3, s4
	s_delay_alu instid0(SALU_CYCLE_1) | instskip(NEXT) | instid1(SALU_CYCLE_1)
	s_lshr_b32 s3, s3, 19
	s_mul_i32 s4, s3, s2
	s_add_co_i32 s11, s3, 1
	s_sub_co_i32 s5, 0x2000, s4
	s_mov_b32 s4, s0
	s_sub_co_i32 s12, s5, s2
	s_cmp_ge_u32 s5, s2
	s_cselect_b32 s0, s11, s3
	s_cselect_b32 s3, s12, s5
	s_add_co_i32 s5, s0, 1
	s_cmp_ge_u32 s3, s2
	s_load_b32 s3, s[6:7], s10 offset:0x0 scale_offset
	s_cselect_b32 s0, s5, s0
	s_mov_b32 s5, s1
	s_add_co_i32 s1, s0, 1
	s_branch .LBB221_2
.LBB221_1:                              ;   in Loop: Header=BB221_2 Depth=1
	s_or_b32 exec_lo, exec_lo, s0
	v_dual_mov_b32 v68, v31 :: v_dual_mov_b32 v69, v32
	v_cmp_gt_u32_e32 vcc_lo, s3, v1
	v_dual_mov_b32 v70, v29 :: v_dual_mov_b32 v71, v30
	v_dual_mov_b32 v74, v25 :: v_dual_mov_b32 v75, v26
	s_delay_alu instid0(VALU_DEP_4) | instskip(SKIP_1) | instid1(VALU_DEP_4)
	v_pk_add_f32 v[68:69], v[32:33], v[68:69] neg_lo:[0,1] neg_hi:[0,1]
	v_mov_b32_e32 v72, v27
	v_pk_add_f32 v[70:71], v[30:31], v[70:71] neg_lo:[0,1] neg_hi:[0,1]
	v_dual_mov_b32 v76, v23 :: v_dual_mov_b32 v77, v24
	s_delay_alu instid0(VALU_DEP_4)
	v_cndmask_b32_e32 v69, v33, v69, vcc_lo
	v_cmp_gt_u32_e32 vcc_lo, s3, v34
	v_pk_add_f32 v[74:75], v[26:27], v[74:75] neg_lo:[0,1] neg_hi:[0,1]
	v_dual_mov_b32 v78, v21 :: v_dual_mov_b32 v79, v22
	v_pk_add_f32 v[76:77], v[24:25], v[76:77] neg_lo:[0,1] neg_hi:[0,1]
	v_cndmask_b32_e32 v68, v32, v68, vcc_lo
	v_cmp_gt_u32_e32 vcc_lo, s3, v35
	v_cmp_gt_u32_e64 s0, s3, v43
	v_pk_add_f32 v[78:79], v[22:23], v[78:79] neg_lo:[0,1] neg_hi:[0,1]
	v_dual_mov_b32 v80, v19 :: v_dual_mov_b32 v81, v20
	v_cndmask_b32_e32 v71, v31, v71, vcc_lo
	v_cmp_gt_u32_e32 vcc_lo, s3, v36
	v_dual_mov_b32 v73, v28 :: v_dual_mov_b32 v82, v17
	v_mov_b32_e32 v83, v18
	v_pk_add_f32 v[80:81], v[20:21], v[80:81] neg_lo:[0,1] neg_hi:[0,1]
	v_cndmask_b32_e32 v70, v30, v70, vcc_lo
	s_delay_alu instid0(VALU_DEP_4)
	v_pk_add_f32 v[72:73], v[28:29], v[72:73] neg_lo:[0,1] neg_hi:[0,1]
	v_cmp_gt_u32_e32 vcc_lo, s3, v37
	v_pk_add_f32 v[82:83], v[18:19], v[82:83] neg_lo:[0,1] neg_hi:[0,1]
	v_dual_mov_b32 v84, v15 :: v_dual_mov_b32 v85, v16
	v_dual_mov_b32 v86, v13 :: v_dual_mov_b32 v87, v14
	v_cndmask_b32_e32 v73, v29, v73, vcc_lo
	v_cmp_gt_u32_e32 vcc_lo, s3, v38
	s_delay_alu instid0(VALU_DEP_4)
	v_pk_add_f32 v[84:85], v[16:17], v[84:85] neg_lo:[0,1] neg_hi:[0,1]
	v_dual_mov_b32 v88, v11 :: v_dual_mov_b32 v89, v12
	v_pk_add_f32 v[86:87], v[14:15], v[86:87] neg_lo:[0,1] neg_hi:[0,1]
	v_cndmask_b32_e32 v72, v28, v72, vcc_lo
	v_cmp_gt_u32_e32 vcc_lo, s3, v39
	v_dual_mov_b32 v90, v9 :: v_dual_mov_b32 v91, v10
	v_pk_add_f32 v[88:89], v[12:13], v[88:89] neg_lo:[0,1] neg_hi:[0,1]
	v_dual_mov_b32 v92, v7 :: v_dual_mov_b32 v93, v8
	v_cndmask_b32_e32 v75, v27, v75, vcc_lo
	v_cmp_gt_u32_e32 vcc_lo, s3, v40
	v_pk_add_f32 v[90:91], v[10:11], v[90:91] neg_lo:[0,1] neg_hi:[0,1]
	v_dual_mov_b32 v94, v5 :: v_dual_mov_b32 v95, v6
	v_pk_add_f32 v[92:93], v[8:9], v[92:93] neg_lo:[0,1] neg_hi:[0,1]
	v_cndmask_b32_e32 v74, v26, v74, vcc_lo
	v_cmp_gt_u32_e32 vcc_lo, s3, v41
	v_dual_mov_b32 v96, v3 :: v_dual_mov_b32 v97, v4
	v_pk_add_f32 v[94:95], v[6:7], v[94:95] neg_lo:[0,1] neg_hi:[0,1]
	v_dual_sub_f32 v65, v3, v2 :: v_dual_cndmask_b32 v77, v25, v77, vcc_lo
	v_cmp_gt_u32_e32 vcc_lo, s3, v42
	s_delay_alu instid0(VALU_DEP_4)
	v_pk_add_f32 v[96:97], v[4:5], v[96:97] neg_lo:[0,1] neg_hi:[0,1]
	v_pk_add_f32 v[32:33], v[32:33], v[68:69]
	v_pk_add_f32 v[30:31], v[30:31], v[70:71]
	;; [unrolled: 1-line block ×3, first 2 shown]
	v_cndmask_b32_e32 v76, v24, v76, vcc_lo
	v_cmp_gt_u32_e32 vcc_lo, s3, v44
	v_cndmask_b32_e64 v79, v23, v79, s0
	v_cmp_gt_u32_e64 s0, s3, v45
	v_pk_add_f32 v[26:27], v[26:27], v[74:75]
	v_pk_add_f32 v[24:25], v[24:25], v[76:77]
	v_cndmask_b32_e32 v78, v22, v78, vcc_lo
	v_cmp_gt_u32_e32 vcc_lo, s3, v46
	v_cndmask_b32_e64 v81, v21, v81, s0
	v_cmp_gt_u32_e64 s0, s3, v47
	s_add_co_i32 s2, s2, -1
	v_pk_add_f32 v[22:23], v[22:23], v[78:79]
	v_cndmask_b32_e32 v80, v20, v80, vcc_lo
	v_cmp_gt_u32_e32 vcc_lo, s3, v48
	v_cndmask_b32_e64 v83, v19, v83, s0
	v_cmp_gt_u32_e64 s0, s3, v49
	s_delay_alu instid0(VALU_DEP_4) | instskip(SKIP_2) | instid1(VALU_DEP_4)
	v_pk_add_f32 v[20:21], v[20:21], v[80:81]
	v_cndmask_b32_e32 v82, v18, v82, vcc_lo
	v_cmp_gt_u32_e32 vcc_lo, s3, v50
	v_cndmask_b32_e64 v85, v17, v85, s0
	v_cmp_gt_u32_e64 s0, s3, v51
	s_barrier_signal -1
	v_pk_add_f32 v[18:19], v[18:19], v[82:83]
	v_cndmask_b32_e32 v84, v16, v84, vcc_lo
	v_cmp_gt_u32_e32 vcc_lo, s3, v52
	v_cndmask_b32_e64 v87, v15, v87, s0
	v_cmp_gt_u32_e64 s0, s3, v53
	s_barrier_wait -1
	v_pk_add_f32 v[16:17], v[16:17], v[84:85]
	v_cndmask_b32_e32 v86, v14, v86, vcc_lo
	v_cmp_gt_u32_e32 vcc_lo, s3, v54
	v_cndmask_b32_e64 v89, v13, v89, s0
	v_cmp_gt_u32_e64 s0, s3, v55
	s_delay_alu instid0(VALU_DEP_4) | instskip(SKIP_2) | instid1(VALU_DEP_4)
	v_pk_add_f32 v[14:15], v[14:15], v[86:87]
	v_cndmask_b32_e32 v88, v12, v88, vcc_lo
	v_cmp_gt_u32_e32 vcc_lo, s3, v56
	v_cndmask_b32_e64 v91, v11, v91, s0
	v_cmp_gt_u32_e64 s0, s3, v57
	s_delay_alu instid0(VALU_DEP_4) | instskip(SKIP_2) | instid1(VALU_DEP_4)
	;; [unrolled: 6-line block ×4, first 2 shown]
	v_pk_add_f32 v[8:9], v[8:9], v[92:93]
	v_cndmask_b32_e32 v94, v6, v94, vcc_lo
	v_cmp_gt_u32_e32 vcc_lo, s3, v62
	v_cndmask_b32_e64 v97, v5, v97, s0
	s_add_co_i32 s0, s1, s3
	s_delay_alu instid0(VALU_DEP_3) | instskip(SKIP_4) | instid1(VALU_DEP_2)
	v_pk_add_f32 v[6:7], v[6:7], v[94:95]
	v_cndmask_b32_e32 v96, v4, v96, vcc_lo
	v_cmp_gt_u32_e32 vcc_lo, s3, v66
	s_and_b32 s3, s0, 0x1fff
	s_cmp_lg_u32 s2, 0
	v_pk_add_f32 v[4:5], v[4:5], v[96:97]
	v_cndmask_b32_e32 v65, v3, v65, vcc_lo
	s_delay_alu instid0(VALU_DEP_1)
	v_pk_add_f32 v[2:3], v[2:3], v[64:65]
	s_cbranch_scc0 .LBB221_4
.LBB221_2:                              ; =>This Inner Loop Header: Depth=1
	s_wait_loadcnt 0x0
	s_delay_alu instid0(VALU_DEP_1)
	v_mov_b64_e32 v[64:65], v[2:3]
	s_mov_b32 s0, exec_lo
	ds_store_b32 v63, v33 offset:1024
	s_wait_dscnt 0x0
	s_barrier_signal -1
	s_barrier_wait -1
	s_wait_kmcnt 0x0
	v_cmpx_gt_u32_e64 s3, v67
	s_cbranch_execz .LBB221_1
; %bb.3:                                ;   in Loop: Header=BB221_2 Depth=1
	ds_load_b32 v64, v63 offset:1028
	s_wait_dscnt 0x0
	v_sub_f32_e32 v64, v2, v64
	s_branch .LBB221_1
.LBB221_4:
	s_add_nc_u64 s[0:1], s[4:5], s[8:9]
	s_clause 0x1f
	global_store_b32 v0, v33, s[0:1] scale_offset
	global_store_b32 v0, v32, s[0:1] offset:1024 scale_offset
	global_store_b32 v0, v31, s[0:1] offset:2048 scale_offset
	;; [unrolled: 1-line block ×31, first 2 shown]
	s_sendmsg sendmsg(MSG_DEALLOC_VGPRS)
	s_endpgm
	.section	.rodata,"a",@progbits
	.p2align	6, 0x0
	.amdhsa_kernel _Z6kernelI27subtract_right_partial_tileLj256ELj32ELb1EJPfPiS1_jEEvDpT3_
		.amdhsa_group_segment_fixed_size 2048
		.amdhsa_private_segment_fixed_size 0
		.amdhsa_kernarg_size 28
		.amdhsa_user_sgpr_count 2
		.amdhsa_user_sgpr_dispatch_ptr 0
		.amdhsa_user_sgpr_queue_ptr 0
		.amdhsa_user_sgpr_kernarg_segment_ptr 1
		.amdhsa_user_sgpr_dispatch_id 0
		.amdhsa_user_sgpr_kernarg_preload_length 0
		.amdhsa_user_sgpr_kernarg_preload_offset 0
		.amdhsa_user_sgpr_private_segment_size 0
		.amdhsa_wavefront_size32 1
		.amdhsa_uses_dynamic_stack 0
		.amdhsa_enable_private_segment 0
		.amdhsa_system_sgpr_workgroup_id_x 1
		.amdhsa_system_sgpr_workgroup_id_y 0
		.amdhsa_system_sgpr_workgroup_id_z 0
		.amdhsa_system_sgpr_workgroup_info 0
		.amdhsa_system_vgpr_workitem_id 0
		.amdhsa_next_free_vgpr 98
		.amdhsa_next_free_sgpr 13
		.amdhsa_named_barrier_count 0
		.amdhsa_reserve_vcc 1
		.amdhsa_float_round_mode_32 0
		.amdhsa_float_round_mode_16_64 0
		.amdhsa_float_denorm_mode_32 3
		.amdhsa_float_denorm_mode_16_64 3
		.amdhsa_fp16_overflow 0
		.amdhsa_memory_ordered 1
		.amdhsa_forward_progress 1
		.amdhsa_inst_pref_size 16
		.amdhsa_round_robin_scheduling 0
		.amdhsa_exception_fp_ieee_invalid_op 0
		.amdhsa_exception_fp_denorm_src 0
		.amdhsa_exception_fp_ieee_div_zero 0
		.amdhsa_exception_fp_ieee_overflow 0
		.amdhsa_exception_fp_ieee_underflow 0
		.amdhsa_exception_fp_ieee_inexact 0
		.amdhsa_exception_int_div_zero 0
	.end_amdhsa_kernel
	.section	.text._Z6kernelI27subtract_right_partial_tileLj256ELj32ELb1EJPfPiS1_jEEvDpT3_,"axG",@progbits,_Z6kernelI27subtract_right_partial_tileLj256ELj32ELb1EJPfPiS1_jEEvDpT3_,comdat
.Lfunc_end221:
	.size	_Z6kernelI27subtract_right_partial_tileLj256ELj32ELb1EJPfPiS1_jEEvDpT3_, .Lfunc_end221-_Z6kernelI27subtract_right_partial_tileLj256ELj32ELb1EJPfPiS1_jEEvDpT3_
                                        ; -- End function
	.set _Z6kernelI27subtract_right_partial_tileLj256ELj32ELb1EJPfPiS1_jEEvDpT3_.num_vgpr, 98
	.set _Z6kernelI27subtract_right_partial_tileLj256ELj32ELb1EJPfPiS1_jEEvDpT3_.num_agpr, 0
	.set _Z6kernelI27subtract_right_partial_tileLj256ELj32ELb1EJPfPiS1_jEEvDpT3_.numbered_sgpr, 13
	.set _Z6kernelI27subtract_right_partial_tileLj256ELj32ELb1EJPfPiS1_jEEvDpT3_.num_named_barrier, 0
	.set _Z6kernelI27subtract_right_partial_tileLj256ELj32ELb1EJPfPiS1_jEEvDpT3_.private_seg_size, 0
	.set _Z6kernelI27subtract_right_partial_tileLj256ELj32ELb1EJPfPiS1_jEEvDpT3_.uses_vcc, 1
	.set _Z6kernelI27subtract_right_partial_tileLj256ELj32ELb1EJPfPiS1_jEEvDpT3_.uses_flat_scratch, 0
	.set _Z6kernelI27subtract_right_partial_tileLj256ELj32ELb1EJPfPiS1_jEEvDpT3_.has_dyn_sized_stack, 0
	.set _Z6kernelI27subtract_right_partial_tileLj256ELj32ELb1EJPfPiS1_jEEvDpT3_.has_recursion, 0
	.set _Z6kernelI27subtract_right_partial_tileLj256ELj32ELb1EJPfPiS1_jEEvDpT3_.has_indirect_call, 0
	.section	.AMDGPU.csdata,"",@progbits
; Kernel info:
; codeLenInByte = 2000
; TotalNumSgprs: 15
; NumVgprs: 98
; ScratchSize: 0
; MemoryBound: 0
; FloatMode: 240
; IeeeMode: 1
; LDSByteSize: 2048 bytes/workgroup (compile time only)
; SGPRBlocks: 0
; VGPRBlocks: 6
; NumSGPRsForWavesPerEU: 15
; NumVGPRsForWavesPerEU: 98
; NamedBarCnt: 0
; Occupancy: 9
; WaveLimiterHint : 1
; COMPUTE_PGM_RSRC2:SCRATCH_EN: 0
; COMPUTE_PGM_RSRC2:USER_SGPR: 2
; COMPUTE_PGM_RSRC2:TRAP_HANDLER: 0
; COMPUTE_PGM_RSRC2:TGID_X_EN: 1
; COMPUTE_PGM_RSRC2:TGID_Y_EN: 0
; COMPUTE_PGM_RSRC2:TGID_Z_EN: 0
; COMPUTE_PGM_RSRC2:TIDIG_COMP_CNT: 0
	.section	.text._Z6kernelI27subtract_right_partial_tileLj256ELj1ELb1EJPaPiS1_jEEvDpT3_,"axG",@progbits,_Z6kernelI27subtract_right_partial_tileLj256ELj1ELb1EJPaPiS1_jEEvDpT3_,comdat
	.protected	_Z6kernelI27subtract_right_partial_tileLj256ELj1ELb1EJPaPiS1_jEEvDpT3_ ; -- Begin function _Z6kernelI27subtract_right_partial_tileLj256ELj1ELb1EJPaPiS1_jEEvDpT3_
	.globl	_Z6kernelI27subtract_right_partial_tileLj256ELj1ELb1EJPaPiS1_jEEvDpT3_
	.p2align	8
	.type	_Z6kernelI27subtract_right_partial_tileLj256ELj1ELb1EJPaPiS1_jEEvDpT3_,@function
_Z6kernelI27subtract_right_partial_tileLj256ELj1ELb1EJPaPiS1_jEEvDpT3_: ; @_Z6kernelI27subtract_right_partial_tileLj256ELj1ELb1EJPaPiS1_jEEvDpT3_
; %bb.0:
	s_load_b128 s[8:11], s[0:1], 0x0
	s_bfe_u32 s2, ttmp6, 0x4000c
	s_and_b32 s3, ttmp6, 15
	s_add_co_i32 s2, s2, 1
	s_getreg_b32 s4, hwreg(HW_REG_IB_STS2, 6, 4)
	s_mul_i32 s2, ttmp9, s2
	s_mov_b32 s5, 0
	s_add_co_i32 s3, s3, s2
	s_cmp_eq_u32 s4, 0
	s_wait_xcnt 0x0
	s_load_b96 s[0:2], s[0:1], 0x10
	s_cselect_b32 s3, ttmp9, s3
	v_add_nc_u32_e32 v3, 1, v0
	s_lshl_b32 s4, s3, 8
	s_wait_kmcnt 0x0
	s_add_nc_u64 s[6:7], s[8:9], s[4:5]
	s_load_b32 s3, s[10:11], s3 offset:0x0 scale_offset
	global_load_u8 v2, v0, s[6:7]
	s_wait_xcnt 0x0
	s_cvt_f32_u32 s6, s2
	s_sub_co_i32 s7, 0, s2
	s_delay_alu instid0(SALU_CYCLE_2) | instskip(SKIP_1) | instid1(TRANS32_DEP_1)
	v_rcp_iflag_f32_e32 v1, s6
	v_nop
	v_readfirstlane_b32 s6, v1
	v_mov_b32_e32 v1, 0
	s_mul_f32 s6, s6, 0x4f7ffffe
	s_delay_alu instid0(SALU_CYCLE_3) | instskip(NEXT) | instid1(SALU_CYCLE_3)
	s_cvt_u32_f32 s6, s6
	s_mul_i32 s7, s7, s6
	s_delay_alu instid0(SALU_CYCLE_1) | instskip(NEXT) | instid1(SALU_CYCLE_1)
	s_mul_hi_u32 s7, s6, s7
	s_add_co_i32 s6, s6, s7
	s_delay_alu instid0(SALU_CYCLE_1) | instskip(NEXT) | instid1(SALU_CYCLE_1)
	s_lshr_b32 s6, s6, 24
	s_mul_i32 s7, s6, s2
	s_add_co_i32 s8, s6, 1
	s_sub_co_i32 s7, 0x100, s7
	s_delay_alu instid0(SALU_CYCLE_1)
	s_sub_co_i32 s9, s7, s2
	s_cmp_ge_u32 s7, s2
	s_cselect_b32 s6, s8, s6
	s_cselect_b32 s7, s9, s7
	s_add_co_i32 s8, s6, 1
	s_cmp_ge_u32 s7, s2
	s_cselect_b32 s6, s8, s6
	s_delay_alu instid0(SALU_CYCLE_1)
	s_add_co_i32 s6, s6, 1
	s_branch .LBB222_2
.LBB222_1:                              ;   in Loop: Header=BB222_2 Depth=1
	s_or_b32 exec_lo, exec_lo, s7
	s_add_co_i32 s3, s6, s3
	s_delay_alu instid0(VALU_DEP_1)
	v_add_nc_u16 v2, v4, v2
	s_add_co_i32 s2, s2, -1
	s_and_b32 s3, s3, 0xff
	s_cmp_lg_u32 s2, 0
	s_barrier_signal -1
	s_barrier_wait -1
	s_cbranch_scc0 .LBB222_4
.LBB222_2:                              ; =>This Inner Loop Header: Depth=1
	s_wait_loadcnt 0x0
	v_mov_b32_e32 v4, v2
	s_mov_b32 s7, exec_lo
	ds_store_b8 v0, v2 offset:256
	s_wait_dscnt 0x0
	s_barrier_signal -1
	s_barrier_wait -1
	s_wait_kmcnt 0x0
	v_cmpx_gt_u32_e64 s3, v3
	s_cbranch_execz .LBB222_1
; %bb.3:                                ;   in Loop: Header=BB222_2 Depth=1
	ds_load_u8 v4, v0 offset:257
	s_wait_dscnt 0x0
	v_sub_nc_u16 v4, v2, v4
	s_branch .LBB222_1
.LBB222_4:
	s_add_nc_u64 s[0:1], s[0:1], s[4:5]
	s_delay_alu instid0(SALU_CYCLE_1)
	v_add_nc_u64_e32 v[0:1], s[0:1], v[0:1]
	global_store_b8 v[0:1], v2, off
	s_endpgm
	.section	.rodata,"a",@progbits
	.p2align	6, 0x0
	.amdhsa_kernel _Z6kernelI27subtract_right_partial_tileLj256ELj1ELb1EJPaPiS1_jEEvDpT3_
		.amdhsa_group_segment_fixed_size 512
		.amdhsa_private_segment_fixed_size 0
		.amdhsa_kernarg_size 28
		.amdhsa_user_sgpr_count 2
		.amdhsa_user_sgpr_dispatch_ptr 0
		.amdhsa_user_sgpr_queue_ptr 0
		.amdhsa_user_sgpr_kernarg_segment_ptr 1
		.amdhsa_user_sgpr_dispatch_id 0
		.amdhsa_user_sgpr_kernarg_preload_length 0
		.amdhsa_user_sgpr_kernarg_preload_offset 0
		.amdhsa_user_sgpr_private_segment_size 0
		.amdhsa_wavefront_size32 1
		.amdhsa_uses_dynamic_stack 0
		.amdhsa_enable_private_segment 0
		.amdhsa_system_sgpr_workgroup_id_x 1
		.amdhsa_system_sgpr_workgroup_id_y 0
		.amdhsa_system_sgpr_workgroup_id_z 0
		.amdhsa_system_sgpr_workgroup_info 0
		.amdhsa_system_vgpr_workitem_id 0
		.amdhsa_next_free_vgpr 5
		.amdhsa_next_free_sgpr 12
		.amdhsa_named_barrier_count 0
		.amdhsa_reserve_vcc 0
		.amdhsa_float_round_mode_32 0
		.amdhsa_float_round_mode_16_64 0
		.amdhsa_float_denorm_mode_32 3
		.amdhsa_float_denorm_mode_16_64 3
		.amdhsa_fp16_overflow 0
		.amdhsa_memory_ordered 1
		.amdhsa_forward_progress 1
		.amdhsa_inst_pref_size 3
		.amdhsa_round_robin_scheduling 0
		.amdhsa_exception_fp_ieee_invalid_op 0
		.amdhsa_exception_fp_denorm_src 0
		.amdhsa_exception_fp_ieee_div_zero 0
		.amdhsa_exception_fp_ieee_overflow 0
		.amdhsa_exception_fp_ieee_underflow 0
		.amdhsa_exception_fp_ieee_inexact 0
		.amdhsa_exception_int_div_zero 0
	.end_amdhsa_kernel
	.section	.text._Z6kernelI27subtract_right_partial_tileLj256ELj1ELb1EJPaPiS1_jEEvDpT3_,"axG",@progbits,_Z6kernelI27subtract_right_partial_tileLj256ELj1ELb1EJPaPiS1_jEEvDpT3_,comdat
.Lfunc_end222:
	.size	_Z6kernelI27subtract_right_partial_tileLj256ELj1ELb1EJPaPiS1_jEEvDpT3_, .Lfunc_end222-_Z6kernelI27subtract_right_partial_tileLj256ELj1ELb1EJPaPiS1_jEEvDpT3_
                                        ; -- End function
	.set _Z6kernelI27subtract_right_partial_tileLj256ELj1ELb1EJPaPiS1_jEEvDpT3_.num_vgpr, 5
	.set _Z6kernelI27subtract_right_partial_tileLj256ELj1ELb1EJPaPiS1_jEEvDpT3_.num_agpr, 0
	.set _Z6kernelI27subtract_right_partial_tileLj256ELj1ELb1EJPaPiS1_jEEvDpT3_.numbered_sgpr, 12
	.set _Z6kernelI27subtract_right_partial_tileLj256ELj1ELb1EJPaPiS1_jEEvDpT3_.num_named_barrier, 0
	.set _Z6kernelI27subtract_right_partial_tileLj256ELj1ELb1EJPaPiS1_jEEvDpT3_.private_seg_size, 0
	.set _Z6kernelI27subtract_right_partial_tileLj256ELj1ELb1EJPaPiS1_jEEvDpT3_.uses_vcc, 0
	.set _Z6kernelI27subtract_right_partial_tileLj256ELj1ELb1EJPaPiS1_jEEvDpT3_.uses_flat_scratch, 0
	.set _Z6kernelI27subtract_right_partial_tileLj256ELj1ELb1EJPaPiS1_jEEvDpT3_.has_dyn_sized_stack, 0
	.set _Z6kernelI27subtract_right_partial_tileLj256ELj1ELb1EJPaPiS1_jEEvDpT3_.has_recursion, 0
	.set _Z6kernelI27subtract_right_partial_tileLj256ELj1ELb1EJPaPiS1_jEEvDpT3_.has_indirect_call, 0
	.section	.AMDGPU.csdata,"",@progbits
; Kernel info:
; codeLenInByte = 376
; TotalNumSgprs: 12
; NumVgprs: 5
; ScratchSize: 0
; MemoryBound: 0
; FloatMode: 240
; IeeeMode: 1
; LDSByteSize: 512 bytes/workgroup (compile time only)
; SGPRBlocks: 0
; VGPRBlocks: 0
; NumSGPRsForWavesPerEU: 12
; NumVGPRsForWavesPerEU: 5
; NamedBarCnt: 0
; Occupancy: 16
; WaveLimiterHint : 0
; COMPUTE_PGM_RSRC2:SCRATCH_EN: 0
; COMPUTE_PGM_RSRC2:USER_SGPR: 2
; COMPUTE_PGM_RSRC2:TRAP_HANDLER: 0
; COMPUTE_PGM_RSRC2:TGID_X_EN: 1
; COMPUTE_PGM_RSRC2:TGID_Y_EN: 0
; COMPUTE_PGM_RSRC2:TGID_Z_EN: 0
; COMPUTE_PGM_RSRC2:TIDIG_COMP_CNT: 0
	.section	.text._Z6kernelI27subtract_right_partial_tileLj256ELj3ELb1EJPaPiS1_jEEvDpT3_,"axG",@progbits,_Z6kernelI27subtract_right_partial_tileLj256ELj3ELb1EJPaPiS1_jEEvDpT3_,comdat
	.protected	_Z6kernelI27subtract_right_partial_tileLj256ELj3ELb1EJPaPiS1_jEEvDpT3_ ; -- Begin function _Z6kernelI27subtract_right_partial_tileLj256ELj3ELb1EJPaPiS1_jEEvDpT3_
	.globl	_Z6kernelI27subtract_right_partial_tileLj256ELj3ELb1EJPaPiS1_jEEvDpT3_
	.p2align	8
	.type	_Z6kernelI27subtract_right_partial_tileLj256ELj3ELb1EJPaPiS1_jEEvDpT3_,@function
_Z6kernelI27subtract_right_partial_tileLj256ELj3ELb1EJPaPiS1_jEEvDpT3_: ; @_Z6kernelI27subtract_right_partial_tileLj256ELj3ELb1EJPaPiS1_jEEvDpT3_
; %bb.0:
	s_load_b128 s[4:7], s[0:1], 0x0
	s_bfe_u32 s2, ttmp6, 0x4000c
	s_and_b32 s3, ttmp6, 15
	s_add_co_i32 s2, s2, 1
	s_getreg_b32 s8, hwreg(HW_REG_IB_STS2, 6, 4)
	s_mul_i32 s2, ttmp9, s2
	s_mov_b32 s9, 0
	s_add_co_i32 s3, s3, s2
	s_cmp_eq_u32 s8, 0
	s_wait_xcnt 0x0
	s_load_b96 s[0:2], s[0:1], 0x10
	s_cselect_b32 s3, ttmp9, s3
	v_mad_u32_u24 v2, v0, 3, 1
	s_mul_i32 s8, s3, 0x300
	v_mad_u32_u24 v3, v0, 3, 2
	v_mad_u32_u24 v4, v0, 3, 3
	s_wait_kmcnt 0x0
	s_add_nc_u64 s[4:5], s[4:5], s[8:9]
	s_clause 0x2
	global_load_u8 v5, v0, s[4:5] offset:256
	global_load_u8 v7, v0, s[4:5] offset:512
	global_load_u8 v8, v0, s[4:5]
	s_load_b32 s3, s[6:7], s3 offset:0x0 scale_offset
	s_cvt_f32_u32 s4, s2
	s_sub_co_i32 s5, 0, s2
	s_delay_alu instid0(SALU_CYCLE_2) | instskip(SKIP_1) | instid1(TRANS32_DEP_1)
	v_rcp_iflag_f32_e32 v1, s4
	v_nop
	v_readfirstlane_b32 s4, v1
	v_mov_b32_e32 v1, 0
	s_mul_f32 s4, s4, 0x4f7ffffe
	s_delay_alu instid0(VALU_DEP_1) | instskip(NEXT) | instid1(SALU_CYCLE_2)
	v_mov_b32_e32 v6, v1
	s_cvt_u32_f32 s4, s4
	s_delay_alu instid0(SALU_CYCLE_3) | instskip(NEXT) | instid1(SALU_CYCLE_1)
	s_mul_i32 s5, s5, s4
	s_mul_hi_u32 s5, s4, s5
	s_delay_alu instid0(SALU_CYCLE_1) | instskip(NEXT) | instid1(SALU_CYCLE_1)
	s_add_co_i32 s4, s4, s5
	s_mul_hi_u32 s4, s4, 0x300
	s_delay_alu instid0(SALU_CYCLE_1) | instskip(SKIP_3) | instid1(SALU_CYCLE_1)
	s_mul_i32 s5, s4, s2
	s_wait_xcnt 0x0
	s_add_co_i32 s6, s4, 1
	s_sub_co_i32 s5, 0x300, s5
	s_sub_co_i32 s7, s5, s2
	s_cmp_ge_u32 s5, s2
	s_cselect_b32 s4, s6, s4
	s_cselect_b32 s5, s7, s5
	s_add_co_i32 s6, s4, 1
	s_cmp_ge_u32 s5, s2
	s_cselect_b32 s4, s6, s4
	s_delay_alu instid0(SALU_CYCLE_1) | instskip(SKIP_2) | instid1(VALU_DEP_1)
	s_add_co_i32 s4, s4, 1
	s_wait_loadcnt 0x0
	v_perm_b32 v5, v8, v5, 0xc0c0004
	v_lshl_or_b32 v5, v7, 16, v5
	v_mov_b32_e32 v7, v1
	s_branch .LBB223_2
.LBB223_1:                              ;   in Loop: Header=BB223_2 Depth=1
	s_or_b32 exec_lo, exec_lo, s5
	v_lshrrev_b16 v10, 8, v5
	s_delay_alu instid0(VALU_DEP_2)
	v_add_nc_u16 v8, v7, v8
	v_add_nc_u16 v5, v9, v5
	s_add_co_i32 s3, s4, s3
	s_add_co_i32 s2, s2, -1
	v_add_nc_u16 v10, v6, v10
	v_and_b32_e32 v9, 0xff, v8
	s_mul_hi_u32 s5, s3, 0xaaaaaaab
	s_delay_alu instid0(SALU_CYCLE_1) | instskip(NEXT) | instid1(VALU_DEP_2)
	s_lshr_b32 s5, s5, 9
	v_lshlrev_b16 v10, 8, v10
	s_delay_alu instid0(VALU_DEP_2)
	v_lshlrev_b32_e32 v9, 16, v9
	s_mulk_i32 s5, 0x300
	s_barrier_signal -1
	s_sub_co_i32 s3, s3, s5
	v_perm_b32 v5, v5, v10, 0xc0c0104
	s_cmp_lg_u32 s2, 0
	s_barrier_wait -1
	s_delay_alu instid0(VALU_DEP_1)
	v_or_b32_e32 v5, v5, v9
	s_cbranch_scc0 .LBB223_4
.LBB223_2:                              ; =>This Inner Loop Header: Depth=1
	s_delay_alu instid0(VALU_DEP_1) | instskip(NEXT) | instid1(VALU_DEP_2)
	v_dual_lshrrev_b32 v9, 8, v5 :: v_dual_lshrrev_b32 v8, 16, v5
	v_and_b32_e32 v7, 0xff, v7
	v_perm_b32 v11, v5, v6, 0xc0c0004
	s_wait_kmcnt 0x0
	v_cmp_gt_u32_e32 vcc_lo, s3, v2
	v_sub_nc_u16 v10, v5, v9
	v_sub_nc_u16 v9, v9, v8
	s_mov_b32 s5, exec_lo
	ds_store_b8 v0, v5 offset:256
	s_wait_dscnt 0x0
	v_perm_b32 v6, v10, v6, 0xc0c0004
	v_lshlrev_b32_e32 v7, 16, v7
	v_lshlrev_b16 v9, 8, v9
	s_barrier_signal -1
	s_barrier_wait -1
	v_cndmask_b32_e32 v6, v11, v6, vcc_lo
	v_cmp_gt_u32_e32 vcc_lo, s3, v3
	s_delay_alu instid0(VALU_DEP_2) | instskip(SKIP_1) | instid1(VALU_DEP_2)
	v_or_b32_e32 v7, v6, v7
	v_bitop3_b16 v6, v6, v9, 0xff bitop3:0xec
	v_perm_b32 v9, v7, v5, 0xc0c0104
	s_delay_alu instid0(VALU_DEP_2) | instskip(NEXT) | instid1(VALU_DEP_1)
	v_and_b32_e32 v6, 0xffff, v6
	v_cndmask_b32_e32 v9, v9, v6, vcc_lo
	s_delay_alu instid0(VALU_DEP_1) | instskip(NEXT) | instid1(VALU_DEP_1)
	v_and_or_b32 v6, 0xff0000, v7, v9
	v_dual_mov_b32 v7, v8 :: v_dual_lshrrev_b32 v6, 8, v6
	v_cmpx_gt_u32_e64 s3, v4
	s_cbranch_execz .LBB223_1
; %bb.3:                                ;   in Loop: Header=BB223_2 Depth=1
	ds_load_u8 v7, v0 offset:257
	s_wait_dscnt 0x0
	v_sub_nc_u16 v7, v8, v7
	s_branch .LBB223_1
.LBB223_4:
	s_add_nc_u64 s[0:1], s[0:1], s[8:9]
	s_delay_alu instid0(VALU_DEP_1)
	v_lshrrev_b32_e32 v2, 8, v5
	v_add_nc_u64_e32 v[0:1], s[0:1], v[0:1]
	s_clause 0x2
	global_store_b8 v[0:1], v5, off
	global_store_b8 v[0:1], v2, off offset:256
	global_store_b8 v[0:1], v8, off offset:512
	s_endpgm
	.section	.rodata,"a",@progbits
	.p2align	6, 0x0
	.amdhsa_kernel _Z6kernelI27subtract_right_partial_tileLj256ELj3ELb1EJPaPiS1_jEEvDpT3_
		.amdhsa_group_segment_fixed_size 512
		.amdhsa_private_segment_fixed_size 0
		.amdhsa_kernarg_size 28
		.amdhsa_user_sgpr_count 2
		.amdhsa_user_sgpr_dispatch_ptr 0
		.amdhsa_user_sgpr_queue_ptr 0
		.amdhsa_user_sgpr_kernarg_segment_ptr 1
		.amdhsa_user_sgpr_dispatch_id 0
		.amdhsa_user_sgpr_kernarg_preload_length 0
		.amdhsa_user_sgpr_kernarg_preload_offset 0
		.amdhsa_user_sgpr_private_segment_size 0
		.amdhsa_wavefront_size32 1
		.amdhsa_uses_dynamic_stack 0
		.amdhsa_enable_private_segment 0
		.amdhsa_system_sgpr_workgroup_id_x 1
		.amdhsa_system_sgpr_workgroup_id_y 0
		.amdhsa_system_sgpr_workgroup_id_z 0
		.amdhsa_system_sgpr_workgroup_info 0
		.amdhsa_system_vgpr_workitem_id 0
		.amdhsa_next_free_vgpr 12
		.amdhsa_next_free_sgpr 10
		.amdhsa_named_barrier_count 0
		.amdhsa_reserve_vcc 1
		.amdhsa_float_round_mode_32 0
		.amdhsa_float_round_mode_16_64 0
		.amdhsa_float_denorm_mode_32 3
		.amdhsa_float_denorm_mode_16_64 3
		.amdhsa_fp16_overflow 0
		.amdhsa_memory_ordered 1
		.amdhsa_forward_progress 1
		.amdhsa_inst_pref_size 6
		.amdhsa_round_robin_scheduling 0
		.amdhsa_exception_fp_ieee_invalid_op 0
		.amdhsa_exception_fp_denorm_src 0
		.amdhsa_exception_fp_ieee_div_zero 0
		.amdhsa_exception_fp_ieee_overflow 0
		.amdhsa_exception_fp_ieee_underflow 0
		.amdhsa_exception_fp_ieee_inexact 0
		.amdhsa_exception_int_div_zero 0
	.end_amdhsa_kernel
	.section	.text._Z6kernelI27subtract_right_partial_tileLj256ELj3ELb1EJPaPiS1_jEEvDpT3_,"axG",@progbits,_Z6kernelI27subtract_right_partial_tileLj256ELj3ELb1EJPaPiS1_jEEvDpT3_,comdat
.Lfunc_end223:
	.size	_Z6kernelI27subtract_right_partial_tileLj256ELj3ELb1EJPaPiS1_jEEvDpT3_, .Lfunc_end223-_Z6kernelI27subtract_right_partial_tileLj256ELj3ELb1EJPaPiS1_jEEvDpT3_
                                        ; -- End function
	.set _Z6kernelI27subtract_right_partial_tileLj256ELj3ELb1EJPaPiS1_jEEvDpT3_.num_vgpr, 12
	.set _Z6kernelI27subtract_right_partial_tileLj256ELj3ELb1EJPaPiS1_jEEvDpT3_.num_agpr, 0
	.set _Z6kernelI27subtract_right_partial_tileLj256ELj3ELb1EJPaPiS1_jEEvDpT3_.numbered_sgpr, 10
	.set _Z6kernelI27subtract_right_partial_tileLj256ELj3ELb1EJPaPiS1_jEEvDpT3_.num_named_barrier, 0
	.set _Z6kernelI27subtract_right_partial_tileLj256ELj3ELb1EJPaPiS1_jEEvDpT3_.private_seg_size, 0
	.set _Z6kernelI27subtract_right_partial_tileLj256ELj3ELb1EJPaPiS1_jEEvDpT3_.uses_vcc, 1
	.set _Z6kernelI27subtract_right_partial_tileLj256ELj3ELb1EJPaPiS1_jEEvDpT3_.uses_flat_scratch, 0
	.set _Z6kernelI27subtract_right_partial_tileLj256ELj3ELb1EJPaPiS1_jEEvDpT3_.has_dyn_sized_stack, 0
	.set _Z6kernelI27subtract_right_partial_tileLj256ELj3ELb1EJPaPiS1_jEEvDpT3_.has_recursion, 0
	.set _Z6kernelI27subtract_right_partial_tileLj256ELj3ELb1EJPaPiS1_jEEvDpT3_.has_indirect_call, 0
	.section	.AMDGPU.csdata,"",@progbits
; Kernel info:
; codeLenInByte = 732
; TotalNumSgprs: 12
; NumVgprs: 12
; ScratchSize: 0
; MemoryBound: 0
; FloatMode: 240
; IeeeMode: 1
; LDSByteSize: 512 bytes/workgroup (compile time only)
; SGPRBlocks: 0
; VGPRBlocks: 0
; NumSGPRsForWavesPerEU: 12
; NumVGPRsForWavesPerEU: 12
; NamedBarCnt: 0
; Occupancy: 16
; WaveLimiterHint : 1
; COMPUTE_PGM_RSRC2:SCRATCH_EN: 0
; COMPUTE_PGM_RSRC2:USER_SGPR: 2
; COMPUTE_PGM_RSRC2:TRAP_HANDLER: 0
; COMPUTE_PGM_RSRC2:TGID_X_EN: 1
; COMPUTE_PGM_RSRC2:TGID_Y_EN: 0
; COMPUTE_PGM_RSRC2:TGID_Z_EN: 0
; COMPUTE_PGM_RSRC2:TIDIG_COMP_CNT: 0
	.section	.text._Z6kernelI27subtract_right_partial_tileLj256ELj4ELb1EJPaPiS1_jEEvDpT3_,"axG",@progbits,_Z6kernelI27subtract_right_partial_tileLj256ELj4ELb1EJPaPiS1_jEEvDpT3_,comdat
	.protected	_Z6kernelI27subtract_right_partial_tileLj256ELj4ELb1EJPaPiS1_jEEvDpT3_ ; -- Begin function _Z6kernelI27subtract_right_partial_tileLj256ELj4ELb1EJPaPiS1_jEEvDpT3_
	.globl	_Z6kernelI27subtract_right_partial_tileLj256ELj4ELb1EJPaPiS1_jEEvDpT3_
	.p2align	8
	.type	_Z6kernelI27subtract_right_partial_tileLj256ELj4ELb1EJPaPiS1_jEEvDpT3_,@function
_Z6kernelI27subtract_right_partial_tileLj256ELj4ELb1EJPaPiS1_jEEvDpT3_: ; @_Z6kernelI27subtract_right_partial_tileLj256ELj4ELb1EJPaPiS1_jEEvDpT3_
; %bb.0:
	s_load_b128 s[4:7], s[0:1], 0x0
	s_bfe_u32 s2, ttmp6, 0x4000c
	s_and_b32 s3, ttmp6, 15
	s_add_co_i32 s2, s2, 1
	s_getreg_b32 s8, hwreg(HW_REG_IB_STS2, 6, 4)
	s_mul_i32 s2, ttmp9, s2
	s_mov_b32 s9, 0
	s_add_co_i32 s3, s3, s2
	s_cmp_eq_u32 s8, 0
	s_wait_xcnt 0x0
	s_load_b96 s[0:2], s[0:1], 0x10
	s_cselect_b32 s3, ttmp9, s3
	v_lshlrev_b32_e32 v5, 2, v0
	s_lshl_b32 s8, s3, 10
	s_delay_alu instid0(VALU_DEP_1)
	v_or_b32_e32 v2, 1, v5
	v_or_b32_e32 v4, 3, v5
	s_wait_kmcnt 0x0
	s_add_nc_u64 s[4:5], s[4:5], s[8:9]
	s_clause 0x3
	global_load_u8 v7, v0, s[4:5] offset:256
	global_load_u8 v9, v0, s[4:5] offset:512
	global_load_u8 v10, v0, s[4:5]
	global_load_u8 v11, v0, s[4:5] offset:768
	s_load_b32 s3, s[6:7], s3 offset:0x0 scale_offset
	s_cvt_f32_u32 s4, s2
	s_sub_co_i32 s5, 0, s2
	s_delay_alu instid0(SALU_CYCLE_2) | instskip(SKIP_1) | instid1(TRANS32_DEP_1)
	v_rcp_iflag_f32_e32 v1, s4
	v_nop
	v_readfirstlane_b32 s4, v1
	v_dual_mov_b32 v1, 0 :: v_dual_bitop2_b32 v3, 2, v5 bitop3:0x54
	v_add_nc_u32_e32 v5, 4, v5
	s_mul_f32 s4, s4, 0x4f7ffffe
	s_delay_alu instid0(VALU_DEP_2) | instskip(NEXT) | instid1(SALU_CYCLE_2)
	v_dual_mov_b32 v8, v1 :: v_dual_mov_b32 v6, v1
	s_cvt_u32_f32 s4, s4
	s_delay_alu instid0(SALU_CYCLE_3) | instskip(NEXT) | instid1(SALU_CYCLE_1)
	s_mul_i32 s5, s5, s4
	s_mul_hi_u32 s5, s4, s5
	s_delay_alu instid0(SALU_CYCLE_1) | instskip(NEXT) | instid1(SALU_CYCLE_1)
	s_add_co_i32 s4, s4, s5
	s_lshr_b32 s4, s4, 22
	s_delay_alu instid0(SALU_CYCLE_1) | instskip(SKIP_3) | instid1(SALU_CYCLE_1)
	s_mul_i32 s5, s4, s2
	s_wait_xcnt 0x0
	s_add_co_i32 s6, s4, 1
	s_sub_co_i32 s5, 0x400, s5
	s_sub_co_i32 s7, s5, s2
	s_cmp_ge_u32 s5, s2
	s_cselect_b32 s4, s6, s4
	s_cselect_b32 s5, s7, s5
	s_add_co_i32 s6, s4, 1
	s_cmp_ge_u32 s5, s2
	s_cselect_b32 s4, s6, s4
	s_delay_alu instid0(SALU_CYCLE_1) | instskip(SKIP_4) | instid1(VALU_DEP_1)
	s_add_co_i32 s4, s4, 1
	s_wait_loadcnt 0x1
	v_perm_b32 v7, v10, v7, 0xc0c0004
	s_wait_loadcnt 0x0
	v_perm_b32 v9, v9, v11, 0xc0c0004
	v_lshl_or_b32 v7, v9, 16, v7
	v_mov_b32_e32 v9, v1
	s_branch .LBB224_2
.LBB224_1:                              ;   in Loop: Header=BB224_2 Depth=1
	s_or_b32 exec_lo, exec_lo, s5
	v_lshrrev_b16 v13, 8, v7
	s_delay_alu instid0(VALU_DEP_2)
	v_add_nc_u16 v12, v9, v12
	v_add_nc_u16 v7, v11, v7
	;; [unrolled: 1-line block ×3, first 2 shown]
	s_add_co_i32 s3, s4, s3
	v_add_nc_u16 v13, v8, v13
	v_lshlrev_b16 v11, 8, v12
	s_add_co_i32 s2, s2, -1
	s_and_b32 s3, s3, 0x3ff
	s_cmp_lg_u32 s2, 0
	v_lshlrev_b16 v12, 8, v13
	v_bitop3_b16 v10, v10, v11, 0xff bitop3:0xec
	s_barrier_signal -1
	s_barrier_wait -1
	s_delay_alu instid0(VALU_DEP_2) | instskip(NEXT) | instid1(VALU_DEP_2)
	v_bitop3_b16 v7, v7, v12, 0xff bitop3:0xec
	v_lshlrev_b32_e32 v10, 16, v10
	s_delay_alu instid0(VALU_DEP_2) | instskip(NEXT) | instid1(VALU_DEP_1)
	v_and_b32_e32 v7, 0xffff, v7
	v_or_b32_e32 v7, v7, v10
	s_cbranch_scc0 .LBB224_4
.LBB224_2:                              ; =>This Inner Loop Header: Depth=1
	s_delay_alu instid0(VALU_DEP_1)
	v_dual_lshrrev_b32 v11, 8, v7 :: v_dual_lshrrev_b32 v10, 16, v7
	v_perm_b32 v13, v7, v8, 0xc0c0004
	s_wait_kmcnt 0x0
	v_cmp_gt_u32_e32 vcc_lo, s3, v2
	v_perm_b32 v6, v6, v9, 0xc0c0004
	v_sub_nc_u16 v12, v7, v11
	v_sub_nc_u16 v11, v11, v10
	s_mov_b32 s5, exec_lo
	ds_store_b8 v0, v7 offset:256
	s_wait_dscnt 0x0
	v_perm_b32 v8, v12, v8, 0xc0c0004
	v_lshlrev_b16 v9, 8, v11
	s_barrier_signal -1
	s_barrier_wait -1
	s_delay_alu instid0(VALU_DEP_2) | instskip(SKIP_1) | instid1(VALU_DEP_2)
	v_dual_cndmask_b32 v8, v13, v8, vcc_lo :: v_dual_lshrrev_b32 v12, 24, v7
	v_cmp_gt_u32_e32 vcc_lo, s3, v3
	v_lshl_or_b32 v6, v6, 16, v8
	v_bitop3_b16 v8, v8, v9, 0xff bitop3:0xec
	s_delay_alu instid0(VALU_DEP_2) | instskip(NEXT) | instid1(VALU_DEP_2)
	v_perm_b32 v9, v6, v7, 0xc0c0104
	v_and_b32_e32 v8, 0xffff, v8
	s_delay_alu instid0(VALU_DEP_1) | instskip(SKIP_1) | instid1(VALU_DEP_2)
	v_cndmask_b32_e32 v11, v9, v8, vcc_lo
	v_cmp_gt_u32_e32 vcc_lo, s3, v4
	v_and_or_b32 v8, 0xffff0000, v6, v11
	v_sub_nc_u16 v6, v10, v12
	s_delay_alu instid0(VALU_DEP_2) | instskip(NEXT) | instid1(VALU_DEP_2)
	v_perm_b32 v9, v7, v8, 0xc0c0306
	v_perm_b32 v6, v6, v8, 0xc0c0304
	s_delay_alu instid0(VALU_DEP_1) | instskip(NEXT) | instid1(VALU_DEP_1)
	v_dual_cndmask_b32 v6, v9, v6 :: v_dual_mov_b32 v9, v12
	v_perm_b32 v8, v6, v8, 0x504010c
	s_delay_alu instid0(VALU_DEP_1)
	v_lshrrev_b32_e32 v8, 8, v8
	v_cmpx_gt_u32_e64 s3, v5
	s_cbranch_execz .LBB224_1
; %bb.3:                                ;   in Loop: Header=BB224_2 Depth=1
	ds_load_u8 v9, v0 offset:257
	s_wait_dscnt 0x0
	v_sub_nc_u16 v9, v12, v9
	s_branch .LBB224_1
.LBB224_4:
	s_add_nc_u64 s[0:1], s[0:1], s[8:9]
	s_delay_alu instid0(VALU_DEP_1)
	v_dual_lshrrev_b32 v2, 8, v7 :: v_dual_lshrrev_b32 v3, 24, v7
	v_add_nc_u64_e32 v[0:1], s[0:1], v[0:1]
	s_clause 0x3
	global_store_b8 v[0:1], v7, off
	global_store_b8 v[0:1], v2, off offset:256
	global_store_d16_hi_b8 v[0:1], v7, off offset:512
	global_store_b8 v[0:1], v3, off offset:768
	s_endpgm
	.section	.rodata,"a",@progbits
	.p2align	6, 0x0
	.amdhsa_kernel _Z6kernelI27subtract_right_partial_tileLj256ELj4ELb1EJPaPiS1_jEEvDpT3_
		.amdhsa_group_segment_fixed_size 512
		.amdhsa_private_segment_fixed_size 0
		.amdhsa_kernarg_size 28
		.amdhsa_user_sgpr_count 2
		.amdhsa_user_sgpr_dispatch_ptr 0
		.amdhsa_user_sgpr_queue_ptr 0
		.amdhsa_user_sgpr_kernarg_segment_ptr 1
		.amdhsa_user_sgpr_dispatch_id 0
		.amdhsa_user_sgpr_kernarg_preload_length 0
		.amdhsa_user_sgpr_kernarg_preload_offset 0
		.amdhsa_user_sgpr_private_segment_size 0
		.amdhsa_wavefront_size32 1
		.amdhsa_uses_dynamic_stack 0
		.amdhsa_enable_private_segment 0
		.amdhsa_system_sgpr_workgroup_id_x 1
		.amdhsa_system_sgpr_workgroup_id_y 0
		.amdhsa_system_sgpr_workgroup_id_z 0
		.amdhsa_system_sgpr_workgroup_info 0
		.amdhsa_system_vgpr_workitem_id 0
		.amdhsa_next_free_vgpr 14
		.amdhsa_next_free_sgpr 10
		.amdhsa_named_barrier_count 0
		.amdhsa_reserve_vcc 1
		.amdhsa_float_round_mode_32 0
		.amdhsa_float_round_mode_16_64 0
		.amdhsa_float_denorm_mode_32 3
		.amdhsa_float_denorm_mode_16_64 3
		.amdhsa_fp16_overflow 0
		.amdhsa_memory_ordered 1
		.amdhsa_forward_progress 1
		.amdhsa_inst_pref_size 7
		.amdhsa_round_robin_scheduling 0
		.amdhsa_exception_fp_ieee_invalid_op 0
		.amdhsa_exception_fp_denorm_src 0
		.amdhsa_exception_fp_ieee_div_zero 0
		.amdhsa_exception_fp_ieee_overflow 0
		.amdhsa_exception_fp_ieee_underflow 0
		.amdhsa_exception_fp_ieee_inexact 0
		.amdhsa_exception_int_div_zero 0
	.end_amdhsa_kernel
	.section	.text._Z6kernelI27subtract_right_partial_tileLj256ELj4ELb1EJPaPiS1_jEEvDpT3_,"axG",@progbits,_Z6kernelI27subtract_right_partial_tileLj256ELj4ELb1EJPaPiS1_jEEvDpT3_,comdat
.Lfunc_end224:
	.size	_Z6kernelI27subtract_right_partial_tileLj256ELj4ELb1EJPaPiS1_jEEvDpT3_, .Lfunc_end224-_Z6kernelI27subtract_right_partial_tileLj256ELj4ELb1EJPaPiS1_jEEvDpT3_
                                        ; -- End function
	.set _Z6kernelI27subtract_right_partial_tileLj256ELj4ELb1EJPaPiS1_jEEvDpT3_.num_vgpr, 14
	.set _Z6kernelI27subtract_right_partial_tileLj256ELj4ELb1EJPaPiS1_jEEvDpT3_.num_agpr, 0
	.set _Z6kernelI27subtract_right_partial_tileLj256ELj4ELb1EJPaPiS1_jEEvDpT3_.numbered_sgpr, 10
	.set _Z6kernelI27subtract_right_partial_tileLj256ELj4ELb1EJPaPiS1_jEEvDpT3_.num_named_barrier, 0
	.set _Z6kernelI27subtract_right_partial_tileLj256ELj4ELb1EJPaPiS1_jEEvDpT3_.private_seg_size, 0
	.set _Z6kernelI27subtract_right_partial_tileLj256ELj4ELb1EJPaPiS1_jEEvDpT3_.uses_vcc, 1
	.set _Z6kernelI27subtract_right_partial_tileLj256ELj4ELb1EJPaPiS1_jEEvDpT3_.uses_flat_scratch, 0
	.set _Z6kernelI27subtract_right_partial_tileLj256ELj4ELb1EJPaPiS1_jEEvDpT3_.has_dyn_sized_stack, 0
	.set _Z6kernelI27subtract_right_partial_tileLj256ELj4ELb1EJPaPiS1_jEEvDpT3_.has_recursion, 0
	.set _Z6kernelI27subtract_right_partial_tileLj256ELj4ELb1EJPaPiS1_jEEvDpT3_.has_indirect_call, 0
	.section	.AMDGPU.csdata,"",@progbits
; Kernel info:
; codeLenInByte = 872
; TotalNumSgprs: 12
; NumVgprs: 14
; ScratchSize: 0
; MemoryBound: 0
; FloatMode: 240
; IeeeMode: 1
; LDSByteSize: 512 bytes/workgroup (compile time only)
; SGPRBlocks: 0
; VGPRBlocks: 0
; NumSGPRsForWavesPerEU: 12
; NumVGPRsForWavesPerEU: 14
; NamedBarCnt: 0
; Occupancy: 16
; WaveLimiterHint : 1
; COMPUTE_PGM_RSRC2:SCRATCH_EN: 0
; COMPUTE_PGM_RSRC2:USER_SGPR: 2
; COMPUTE_PGM_RSRC2:TRAP_HANDLER: 0
; COMPUTE_PGM_RSRC2:TGID_X_EN: 1
; COMPUTE_PGM_RSRC2:TGID_Y_EN: 0
; COMPUTE_PGM_RSRC2:TGID_Z_EN: 0
; COMPUTE_PGM_RSRC2:TIDIG_COMP_CNT: 0
	.section	.text._Z6kernelI27subtract_right_partial_tileLj256ELj8ELb1EJPaPiS1_jEEvDpT3_,"axG",@progbits,_Z6kernelI27subtract_right_partial_tileLj256ELj8ELb1EJPaPiS1_jEEvDpT3_,comdat
	.protected	_Z6kernelI27subtract_right_partial_tileLj256ELj8ELb1EJPaPiS1_jEEvDpT3_ ; -- Begin function _Z6kernelI27subtract_right_partial_tileLj256ELj8ELb1EJPaPiS1_jEEvDpT3_
	.globl	_Z6kernelI27subtract_right_partial_tileLj256ELj8ELb1EJPaPiS1_jEEvDpT3_
	.p2align	8
	.type	_Z6kernelI27subtract_right_partial_tileLj256ELj8ELb1EJPaPiS1_jEEvDpT3_,@function
_Z6kernelI27subtract_right_partial_tileLj256ELj8ELb1EJPaPiS1_jEEvDpT3_: ; @_Z6kernelI27subtract_right_partial_tileLj256ELj8ELb1EJPaPiS1_jEEvDpT3_
; %bb.0:
	s_load_b128 s[4:7], s[0:1], 0x0
	s_bfe_u32 s2, ttmp6, 0x4000c
	s_and_b32 s3, ttmp6, 15
	s_add_co_i32 s2, s2, 1
	s_getreg_b32 s8, hwreg(HW_REG_IB_STS2, 6, 4)
	s_mul_i32 s2, ttmp9, s2
	s_mov_b32 s9, 0
	s_add_co_i32 s3, s3, s2
	s_cmp_eq_u32 s8, 0
	s_wait_xcnt 0x0
	s_load_b96 s[0:2], s[0:1], 0x10
	s_cselect_b32 s3, ttmp9, s3
	v_lshlrev_b32_e32 v9, 3, v0
	s_lshl_b32 s8, s3, 11
	s_delay_alu instid0(VALU_DEP_1)
	v_or_b32_e32 v2, 1, v9
	v_or_b32_e32 v3, 2, v9
	;; [unrolled: 1-line block ×4, first 2 shown]
	s_wait_kmcnt 0x0
	s_add_nc_u64 s[4:5], s[4:5], s[8:9]
	s_clause 0x7
	global_load_u8 v11, v0, s[4:5] offset:256
	global_load_u8 v12, v0, s[4:5] offset:1536
	;; [unrolled: 1-line block ×4, first 2 shown]
	global_load_u8 v15, v0, s[4:5]
	global_load_u8 v16, v0, s[4:5] offset:768
	global_load_u8 v17, v0, s[4:5] offset:1280
	;; [unrolled: 1-line block ×3, first 2 shown]
	s_load_b32 s3, s[6:7], s3 offset:0x0 scale_offset
	v_or_b32_e32 v7, 6, v9
	v_or_b32_e32 v8, 7, v9
	s_cvt_f32_u32 s4, s2
	s_sub_co_i32 s5, 0, s2
	s_delay_alu instid0(SALU_CYCLE_2) | instskip(SKIP_1) | instid1(TRANS32_DEP_1)
	v_rcp_iflag_f32_e32 v1, s4
	v_nop
	v_readfirstlane_b32 s4, v1
	v_dual_mov_b32 v1, 0 :: v_dual_bitop2_b32 v4, 3, v9 bitop3:0x54
	v_add_nc_u32_e32 v9, 8, v9
	s_mul_f32 s4, s4, 0x4f7ffffe
	s_delay_alu instid0(VALU_DEP_2) | instskip(NEXT) | instid1(SALU_CYCLE_2)
	v_mov_b32_e32 v10, v1
	s_cvt_u32_f32 s4, s4
	s_delay_alu instid0(SALU_CYCLE_3) | instskip(NEXT) | instid1(SALU_CYCLE_1)
	s_mul_i32 s5, s5, s4
	s_mul_hi_u32 s5, s4, s5
	s_delay_alu instid0(SALU_CYCLE_1) | instskip(NEXT) | instid1(SALU_CYCLE_1)
	s_add_co_i32 s4, s4, s5
	s_lshr_b32 s4, s4, 21
	s_delay_alu instid0(SALU_CYCLE_1) | instskip(SKIP_3) | instid1(SALU_CYCLE_1)
	s_mul_i32 s5, s4, s2
	s_wait_xcnt 0x0
	s_add_co_i32 s6, s4, 1
	s_sub_co_i32 s5, 0x800, s5
	s_sub_co_i32 s7, s5, s2
	s_cmp_ge_u32 s5, s2
	s_cselect_b32 s4, s6, s4
	s_cselect_b32 s5, s7, s5
	s_add_co_i32 s6, s4, 1
	s_cmp_ge_u32 s5, s2
	s_cselect_b32 s4, s6, s4
	s_delay_alu instid0(SALU_CYCLE_1)
	s_add_co_i32 s4, s4, 1
	s_wait_loadcnt 0x3
	v_perm_b32 v11, v15, v11, 0xc0c0004
	s_wait_loadcnt 0x2
	v_perm_b32 v14, v14, v16, 0xc0c0004
	;; [unrolled: 2-line block ×4, first 2 shown]
	v_lshl_or_b32 v11, v14, 16, v11
	v_mov_b32_e32 v14, v1
	s_delay_alu instid0(VALU_DEP_3)
	v_lshl_or_b32 v12, v12, 16, v13
	s_branch .LBB225_2
.LBB225_1:                              ;   in Loop: Header=BB225_2 Depth=1
	s_or_b32 exec_lo, exec_lo, s5
	v_lshrrev_b16 v18, 8, v11
	v_lshrrev_b16 v19, 8, v12
	;; [unrolled: 1-line block ×4, first 2 shown]
	v_lshrrev_b32_e32 v22, 24, v14
	v_add_nc_u16 v11, v10, v11
	v_add_nc_u16 v12, v14, v12
	;; [unrolled: 1-line block ×4, first 2 shown]
	v_lshrrev_b32_e32 v20, 24, v10
	v_lshrrev_b32_e32 v21, 16, v14
	v_add_nc_u16 v17, v22, v17
	v_lshlrev_b16 v19, 8, v19
	v_lshlrev_b16 v18, 8, v18
	s_add_co_i32 s3, s4, s3
	v_add_nc_u16 v15, v21, v15
	s_add_co_i32 s2, s2, -1
	v_bitop3_b16 v12, v12, v19, 0xff bitop3:0xec
	v_bitop3_b16 v11, v11, v18, 0xff bitop3:0xec
	v_lshrrev_b32_e32 v18, 16, v10
	v_add_nc_u16 v16, v20, v16
	v_lshlrev_b16 v20, 8, v17
	s_and_b32 s3, s3, 0x7ff
	s_cmp_lg_u32 s2, 0
	v_add_nc_u16 v13, v18, v13
	v_lshlrev_b16 v19, 8, v16
	v_bitop3_b16 v17, v15, v20, 0xff bitop3:0xec
	v_and_b32_e32 v16, 0xffff, v11
	v_and_b32_e32 v15, 0xffff, v12
	s_delay_alu instid0(VALU_DEP_4) | instskip(SKIP_1) | instid1(VALU_DEP_3)
	v_dual_lshrrev_b32 v20, 8, v20 :: v_dual_lshrrev_b32 v18, 8, v19
	v_bitop3_b16 v13, v13, v19, 0xff bitop3:0xec
	v_dual_lshrrev_b32 v21, 8, v16 :: v_dual_lshrrev_b32 v22, 8, v15
	s_delay_alu instid0(VALU_DEP_3) | instskip(NEXT) | instid1(VALU_DEP_4)
	v_lshlrev_b16 v19, 8, v20
	v_lshlrev_b16 v18, 8, v18
	s_delay_alu instid0(VALU_DEP_3) | instskip(NEXT) | instid1(VALU_DEP_4)
	v_lshlrev_b16 v20, 8, v21
	v_lshlrev_b16 v21, 8, v22
	s_delay_alu instid0(VALU_DEP_4) | instskip(NEXT) | instid1(VALU_DEP_4)
	v_bitop3_b16 v19, v17, v19, 0xff bitop3:0xec
	v_bitop3_b16 v18, v13, v18, 0xff bitop3:0xec
	s_barrier_signal -1
	v_bitop3_b16 v11, v11, v20, 0xff bitop3:0xec
	v_bitop3_b16 v12, v12, v21, 0xff bitop3:0xec
	s_delay_alu instid0(VALU_DEP_3) | instskip(SKIP_1) | instid1(VALU_DEP_3)
	v_dual_lshlrev_b32 v19, 16, v19 :: v_dual_lshlrev_b32 v18, 16, v18
	s_barrier_wait -1
	v_and_b32_e32 v11, 0xffff, v11
	s_delay_alu instid0(VALU_DEP_3) | instskip(NEXT) | instid1(VALU_DEP_2)
	v_and_b32_e32 v12, 0xffff, v12
	v_or_b32_e32 v11, v11, v18
	s_delay_alu instid0(VALU_DEP_2)
	v_or_b32_e32 v12, v12, v19
	s_cbranch_scc0 .LBB225_4
.LBB225_2:                              ; =>This Inner Loop Header: Depth=1
	s_delay_alu instid0(VALU_DEP_1) | instskip(SKIP_2) | instid1(VALU_DEP_3)
	v_dual_lshrrev_b32 v16, 8, v12 :: v_dual_lshrrev_b32 v13, 16, v11
	v_dual_lshrrev_b32 v17, 8, v11 :: v_dual_lshrrev_b32 v15, 16, v12
	v_and_b32_e32 v19, 0xffffff00, v14
	v_sub_nc_u16 v20, v12, v16
	v_perm_b32 v18, v11, v10, 0xc0c0104
	s_delay_alu instid0(VALU_DEP_4)
	v_sub_nc_u16 v21, v11, v17
	v_sub_nc_u16 v17, v17, v13
	v_bitop3_b16 v22, v12, v19, 0xff bitop3:0xec
	v_bitop3_b16 v19, v20, v19, 0xff bitop3:0xec
	s_wait_kmcnt 0x0
	v_cmp_gt_u32_e32 vcc_lo, s3, v2
	v_perm_b32 v20, v21, v10, 0xc0c0104
	v_and_b32_e32 v14, 0xffff0000, v14
	v_sub_nc_u16 v16, v16, v15
	v_and_b32_e32 v21, 0xffff, v22
	v_and_b32_e32 v19, 0xffff, v19
	v_cndmask_b32_e32 v18, v18, v20, vcc_lo
	v_lshlrev_b16 v17, 8, v17
	v_cmp_gt_u32_e32 vcc_lo, s3, v6
	v_or_b32_e32 v20, v21, v14
	v_or_b32_e32 v14, v19, v14
	v_lshlrev_b16 v19, 8, v16
	v_and_or_b32 v10, 0xffff0000, v10, v18
	v_bitop3_b16 v16, v18, v17, 0xff bitop3:0xec
	v_and_b32_e32 v17, 0xffffff00, v12
	s_mov_b32 s5, exec_lo
	ds_store_b8 v0, v11 offset:256
	v_perm_b32 v18, v10, v11, 0xc0c0104
	v_cndmask_b32_e32 v14, v20, v14, vcc_lo
	v_and_b32_e32 v20, 0xffff, v16
	v_cmp_gt_u32_e32 vcc_lo, s3, v3
	v_lshrrev_b32_e32 v16, 24, v11
	s_wait_dscnt 0x0
	s_barrier_signal -1
	s_barrier_wait -1
	v_cndmask_b32_e32 v18, v18, v20, vcc_lo
	v_bitop3_b16 v19, v14, v19, 0xff bitop3:0xec
	v_bitop3_b16 v17, v14, v17, 0xff bitop3:0xec
	v_and_b32_e32 v14, 0xffff0000, v14
	v_cmp_gt_u32_e32 vcc_lo, s3, v7
	v_and_or_b32 v10, 0xffff0000, v10, v18
	v_and_b32_e32 v19, 0xffff, v19
	v_and_b32_e32 v17, 0xffff, v17
	v_sub_nc_u16 v18, v13, v16
	v_sub_nc_u16 v20, v16, v12
	s_delay_alu instid0(VALU_DEP_4) | instskip(NEXT) | instid1(VALU_DEP_4)
	v_or_b32_e32 v19, v19, v14
	v_or_b32_e32 v14, v17, v14
	v_perm_b32 v17, v11, v10, 0xc0c0306
	v_perm_b32 v18, v18, v10, 0xc0c0304
	v_lshlrev_b16 v20, 8, v20
	s_delay_alu instid0(VALU_DEP_4) | instskip(SKIP_1) | instid1(VALU_DEP_4)
	v_cndmask_b32_e32 v14, v14, v19, vcc_lo
	v_cmp_gt_u32_e32 vcc_lo, s3, v4
	v_cndmask_b32_e32 v18, v17, v18, vcc_lo
	s_delay_alu instid0(VALU_DEP_3) | instskip(SKIP_2) | instid1(VALU_DEP_4)
	v_dual_lshrrev_b32 v19, 16, v14 :: v_dual_lshrrev_b32 v17, 24, v12
	v_and_b32_e32 v14, 0xffff, v14
	v_cmp_gt_u32_e32 vcc_lo, s3, v5
	v_lshlrev_b32_e32 v21, 16, v18
	s_delay_alu instid0(VALU_DEP_4) | instskip(SKIP_2) | instid1(VALU_DEP_4)
	v_and_b32_e32 v19, 0xffffff00, v19
	v_sub_nc_u16 v22, v15, v17
	v_bitop3_b16 v18, v18, v20, 0xff bitop3:0xec
	v_and_or_b32 v10, 0xffff, v10, v21
	s_delay_alu instid0(VALU_DEP_4) | instskip(NEXT) | instid1(VALU_DEP_4)
	v_bitop3_b16 v21, v15, v19, 0xff bitop3:0xec
	v_bitop3_b16 v19, v22, v19, 0xff bitop3:0xec
	s_delay_alu instid0(VALU_DEP_3) | instskip(NEXT) | instid1(VALU_DEP_2)
	v_perm_b32 v20, v10, v11, 0xc0c0306
	v_dual_lshlrev_b32 v21, 16, v21 :: v_dual_lshlrev_b32 v19, 16, v19
	s_delay_alu instid0(VALU_DEP_1) | instskip(NEXT) | instid1(VALU_DEP_2)
	v_dual_cndmask_b32 v18, v20, v18, vcc_lo :: v_dual_bitop2_b32 v20, v14, v21 bitop3:0x54
	v_or_b32_e32 v14, v14, v19
	v_cmp_gt_u32_e32 vcc_lo, s3, v8
	s_delay_alu instid0(VALU_DEP_3) | instskip(NEXT) | instid1(VALU_DEP_3)
	v_lshlrev_b32_e32 v18, 16, v18
	v_cndmask_b32_e32 v14, v20, v14, vcc_lo
	s_delay_alu instid0(VALU_DEP_2) | instskip(NEXT) | instid1(VALU_DEP_2)
	v_and_or_b32 v10, 0xffff, v10, v18
	v_perm_b32 v14, v14, v12, 0x3060504
	v_cmpx_gt_u32_e64 s3, v9
	s_cbranch_execz .LBB225_1
; %bb.3:                                ;   in Loop: Header=BB225_2 Depth=1
	ds_load_u8 v18, v0 offset:257
	v_dual_lshrrev_b32 v19, 8, v14 :: v_dual_lshrrev_b32 v20, 16, v14
	v_perm_b32 v10, v10, v10, 0x3020104
	s_delay_alu instid0(VALU_DEP_2) | instskip(NEXT) | instid1(VALU_DEP_1)
	v_lshlrev_b16 v19, 8, v19
	v_bitop3_b16 v14, v14, v19, 0xff bitop3:0xec
	s_delay_alu instid0(VALU_DEP_1) | instskip(SKIP_2) | instid1(VALU_DEP_1)
	v_and_b32_e32 v14, 0xffff, v14
	s_wait_dscnt 0x0
	v_sub_nc_u16 v18, v17, v18
	v_lshlrev_b16 v18, 8, v18
	s_delay_alu instid0(VALU_DEP_1) | instskip(NEXT) | instid1(VALU_DEP_1)
	v_bitop3_b16 v18, v20, v18, 0xff bitop3:0xec
	v_lshlrev_b32_e32 v18, 16, v18
	s_delay_alu instid0(VALU_DEP_1)
	v_or_b32_e32 v14, v14, v18
	s_branch .LBB225_1
.LBB225_4:
	v_lshlrev_b32_e32 v3, 16, v17
	v_lshlrev_b32_e32 v2, 16, v13
	s_add_nc_u64 s[0:1], s[0:1], s[8:9]
	s_delay_alu instid0(SALU_CYCLE_1) | instskip(NEXT) | instid1(VALU_DEP_3)
	v_add_nc_u64_e32 v[0:1], s[0:1], v[0:1]
	v_or_b32_e32 v3, v15, v3
	s_delay_alu instid0(VALU_DEP_1) | instskip(NEXT) | instid1(VALU_DEP_1)
	v_dual_lshrrev_b32 v6, 8, v3 :: v_dual_bitop2_b32 v2, v16, v2 bitop3:0x54
	v_dual_lshrrev_b32 v7, 24, v3 :: v_dual_lshrrev_b32 v4, 8, v2
	v_lshrrev_b32_e32 v5, 24, v2
	s_clause 0x7
	global_store_b8 v[0:1], v2, off
	global_store_b8 v[0:1], v4, off offset:256
	global_store_d16_hi_b8 v[0:1], v2, off offset:512
	global_store_b8 v[0:1], v5, off offset:768
	global_store_b8 v[0:1], v3, off offset:1024
	;; [unrolled: 1-line block ×3, first 2 shown]
	global_store_d16_hi_b8 v[0:1], v3, off offset:1536
	global_store_b8 v[0:1], v7, off offset:1792
	s_endpgm
	.section	.rodata,"a",@progbits
	.p2align	6, 0x0
	.amdhsa_kernel _Z6kernelI27subtract_right_partial_tileLj256ELj8ELb1EJPaPiS1_jEEvDpT3_
		.amdhsa_group_segment_fixed_size 512
		.amdhsa_private_segment_fixed_size 0
		.amdhsa_kernarg_size 28
		.amdhsa_user_sgpr_count 2
		.amdhsa_user_sgpr_dispatch_ptr 0
		.amdhsa_user_sgpr_queue_ptr 0
		.amdhsa_user_sgpr_kernarg_segment_ptr 1
		.amdhsa_user_sgpr_dispatch_id 0
		.amdhsa_user_sgpr_kernarg_preload_length 0
		.amdhsa_user_sgpr_kernarg_preload_offset 0
		.amdhsa_user_sgpr_private_segment_size 0
		.amdhsa_wavefront_size32 1
		.amdhsa_uses_dynamic_stack 0
		.amdhsa_enable_private_segment 0
		.amdhsa_system_sgpr_workgroup_id_x 1
		.amdhsa_system_sgpr_workgroup_id_y 0
		.amdhsa_system_sgpr_workgroup_id_z 0
		.amdhsa_system_sgpr_workgroup_info 0
		.amdhsa_system_vgpr_workitem_id 0
		.amdhsa_next_free_vgpr 23
		.amdhsa_next_free_sgpr 10
		.amdhsa_named_barrier_count 0
		.amdhsa_reserve_vcc 1
		.amdhsa_float_round_mode_32 0
		.amdhsa_float_round_mode_16_64 0
		.amdhsa_float_denorm_mode_32 3
		.amdhsa_float_denorm_mode_16_64 3
		.amdhsa_fp16_overflow 0
		.amdhsa_memory_ordered 1
		.amdhsa_forward_progress 1
		.amdhsa_inst_pref_size 14
		.amdhsa_round_robin_scheduling 0
		.amdhsa_exception_fp_ieee_invalid_op 0
		.amdhsa_exception_fp_denorm_src 0
		.amdhsa_exception_fp_ieee_div_zero 0
		.amdhsa_exception_fp_ieee_overflow 0
		.amdhsa_exception_fp_ieee_underflow 0
		.amdhsa_exception_fp_ieee_inexact 0
		.amdhsa_exception_int_div_zero 0
	.end_amdhsa_kernel
	.section	.text._Z6kernelI27subtract_right_partial_tileLj256ELj8ELb1EJPaPiS1_jEEvDpT3_,"axG",@progbits,_Z6kernelI27subtract_right_partial_tileLj256ELj8ELb1EJPaPiS1_jEEvDpT3_,comdat
.Lfunc_end225:
	.size	_Z6kernelI27subtract_right_partial_tileLj256ELj8ELb1EJPaPiS1_jEEvDpT3_, .Lfunc_end225-_Z6kernelI27subtract_right_partial_tileLj256ELj8ELb1EJPaPiS1_jEEvDpT3_
                                        ; -- End function
	.set _Z6kernelI27subtract_right_partial_tileLj256ELj8ELb1EJPaPiS1_jEEvDpT3_.num_vgpr, 23
	.set _Z6kernelI27subtract_right_partial_tileLj256ELj8ELb1EJPaPiS1_jEEvDpT3_.num_agpr, 0
	.set _Z6kernelI27subtract_right_partial_tileLj256ELj8ELb1EJPaPiS1_jEEvDpT3_.numbered_sgpr, 10
	.set _Z6kernelI27subtract_right_partial_tileLj256ELj8ELb1EJPaPiS1_jEEvDpT3_.num_named_barrier, 0
	.set _Z6kernelI27subtract_right_partial_tileLj256ELj8ELb1EJPaPiS1_jEEvDpT3_.private_seg_size, 0
	.set _Z6kernelI27subtract_right_partial_tileLj256ELj8ELb1EJPaPiS1_jEEvDpT3_.uses_vcc, 1
	.set _Z6kernelI27subtract_right_partial_tileLj256ELj8ELb1EJPaPiS1_jEEvDpT3_.uses_flat_scratch, 0
	.set _Z6kernelI27subtract_right_partial_tileLj256ELj8ELb1EJPaPiS1_jEEvDpT3_.has_dyn_sized_stack, 0
	.set _Z6kernelI27subtract_right_partial_tileLj256ELj8ELb1EJPaPiS1_jEEvDpT3_.has_recursion, 0
	.set _Z6kernelI27subtract_right_partial_tileLj256ELj8ELb1EJPaPiS1_jEEvDpT3_.has_indirect_call, 0
	.section	.AMDGPU.csdata,"",@progbits
; Kernel info:
; codeLenInByte = 1764
; TotalNumSgprs: 12
; NumVgprs: 23
; ScratchSize: 0
; MemoryBound: 0
; FloatMode: 240
; IeeeMode: 1
; LDSByteSize: 512 bytes/workgroup (compile time only)
; SGPRBlocks: 0
; VGPRBlocks: 1
; NumSGPRsForWavesPerEU: 12
; NumVGPRsForWavesPerEU: 23
; NamedBarCnt: 0
; Occupancy: 16
; WaveLimiterHint : 1
; COMPUTE_PGM_RSRC2:SCRATCH_EN: 0
; COMPUTE_PGM_RSRC2:USER_SGPR: 2
; COMPUTE_PGM_RSRC2:TRAP_HANDLER: 0
; COMPUTE_PGM_RSRC2:TGID_X_EN: 1
; COMPUTE_PGM_RSRC2:TGID_Y_EN: 0
; COMPUTE_PGM_RSRC2:TGID_Z_EN: 0
; COMPUTE_PGM_RSRC2:TIDIG_COMP_CNT: 0
	.section	.text._Z6kernelI27subtract_right_partial_tileLj256ELj16ELb1EJPaPiS1_jEEvDpT3_,"axG",@progbits,_Z6kernelI27subtract_right_partial_tileLj256ELj16ELb1EJPaPiS1_jEEvDpT3_,comdat
	.protected	_Z6kernelI27subtract_right_partial_tileLj256ELj16ELb1EJPaPiS1_jEEvDpT3_ ; -- Begin function _Z6kernelI27subtract_right_partial_tileLj256ELj16ELb1EJPaPiS1_jEEvDpT3_
	.globl	_Z6kernelI27subtract_right_partial_tileLj256ELj16ELb1EJPaPiS1_jEEvDpT3_
	.p2align	8
	.type	_Z6kernelI27subtract_right_partial_tileLj256ELj16ELb1EJPaPiS1_jEEvDpT3_,@function
_Z6kernelI27subtract_right_partial_tileLj256ELj16ELb1EJPaPiS1_jEEvDpT3_: ; @_Z6kernelI27subtract_right_partial_tileLj256ELj16ELb1EJPaPiS1_jEEvDpT3_
; %bb.0:
	s_load_b128 s[4:7], s[0:1], 0x0
	s_bfe_u32 s2, ttmp6, 0x4000c
	s_and_b32 s3, ttmp6, 15
	s_add_co_i32 s2, s2, 1
	s_getreg_b32 s8, hwreg(HW_REG_IB_STS2, 6, 4)
	s_mul_i32 s2, ttmp9, s2
	s_mov_b32 s9, 0
	s_add_co_i32 s3, s3, s2
	s_cmp_eq_u32 s8, 0
	s_wait_xcnt 0x0
	s_load_b96 s[0:2], s[0:1], 0x10
	s_cselect_b32 s3, ttmp9, s3
	v_dual_mov_b32 v1, 0 :: v_dual_lshlrev_b32 v17, 4, v0
	s_lshl_b32 s8, s3, 12
	s_delay_alu instid0(VALU_DEP_1) | instskip(NEXT) | instid1(VALU_DEP_2)
	v_dual_mov_b32 v27, v1 :: v_dual_mov_b32 v25, v1
	v_dual_mov_b32 v18, v1 :: v_dual_bitop2_b32 v2, 1, v17 bitop3:0x54
	s_wait_kmcnt 0x0
	s_add_nc_u64 s[4:5], s[4:5], s[8:9]
	v_or_b32_e32 v3, 2, v17
	s_clause 0xf
	global_load_u8 v19, v0, s[4:5] offset:256
	global_load_u8 v20, v0, s[4:5] offset:768
	;; [unrolled: 1-line block ×7, first 2 shown]
	global_load_u8 v28, v0, s[4:5]
	global_load_u8 v29, v0, s[4:5] offset:2304
	global_load_u8 v30, v0, s[4:5] offset:3584
	;; [unrolled: 1-line block ×8, first 2 shown]
	s_load_b32 s3, s[6:7], s3 offset:0x0 scale_offset
	v_or_b32_e32 v4, 3, v17
	v_or_b32_e32 v6, 5, v17
	;; [unrolled: 1-line block ×5, first 2 shown]
	s_cvt_f32_u32 s4, s2
	s_sub_co_i32 s5, 0, s2
	v_or_b32_e32 v10, 9, v17
	v_or_b32_e32 v11, 10, v17
	v_rcp_iflag_f32_e32 v5, s4
	v_or_b32_e32 v12, 11, v17
	v_or_b32_e32 v13, 12, v17
	;; [unrolled: 1-line block ×5, first 2 shown]
	s_delay_alu instid0(TRANS32_DEP_1) | instskip(SKIP_2) | instid1(SALU_CYCLE_3)
	v_readfirstlane_b32 s4, v5
	v_dual_add_nc_u32 v17, 16, v17 :: v_dual_bitop2_b32 v5, 4, v17 bitop3:0x54
	s_mul_f32 s4, s4, 0x4f7ffffe
	s_cvt_u32_f32 s4, s4
	s_delay_alu instid0(SALU_CYCLE_3) | instskip(NEXT) | instid1(SALU_CYCLE_1)
	s_mul_i32 s5, s5, s4
	s_mul_hi_u32 s5, s4, s5
	s_delay_alu instid0(SALU_CYCLE_1) | instskip(NEXT) | instid1(SALU_CYCLE_1)
	s_add_co_i32 s4, s4, s5
	s_lshr_b32 s4, s4, 20
	s_delay_alu instid0(SALU_CYCLE_1) | instskip(SKIP_2) | instid1(SALU_CYCLE_1)
	s_mul_i32 s5, s4, s2
	s_add_co_i32 s10, s4, 1
	s_sub_co_i32 s5, 0x1000, s5
	s_sub_co_i32 s11, s5, s2
	s_cmp_ge_u32 s5, s2
	s_cselect_b32 s4, s10, s4
	s_cselect_b32 s5, s11, s5
	s_wait_xcnt 0x0
	s_add_co_i32 s6, s4, 1
	s_cmp_ge_u32 s5, s2
	s_cselect_b32 s4, s6, s4
	s_delay_alu instid0(SALU_CYCLE_1)
	s_add_co_i32 s4, s4, 1
	s_wait_loadcnt 0xb
	v_perm_b32 v22, v23, v22, 0xc0c0004
	s_wait_loadcnt 0xa
	v_perm_b32 v21, v24, v21, 0xc0c0004
	;; [unrolled: 2-line block ×8, first 2 shown]
	v_lshl_or_b32 v19, v20, 16, v19
	v_lshl_or_b32 v20, v22, 16, v21
	;; [unrolled: 1-line block ×3, first 2 shown]
	v_mov_b32_e32 v21, v1
	v_lshl_or_b32 v23, v28, 16, v26
	s_branch .LBB226_2
.LBB226_1:                              ;   in Loop: Header=BB226_2 Depth=1
	s_or_b32 exec_lo, exec_lo, s5
	v_lshrrev_b16 v37, 8, v23
	s_delay_alu instid0(VALU_DEP_2)
	v_lshrrev_b16 v46, 8, v21
	v_lshrrev_b16 v36, 8, v22
	v_lshrrev_b16 v45, 8, v18
	v_lshrrev_b16 v32, 8, v20
	v_lshrrev_b16 v41, 8, v25
	v_add_nc_u16 v37, v46, v37
	v_add_nc_u16 v23, v21, v23
	v_add_nc_u16 v36, v45, v36
	v_lshrrev_b16 v35, 8, v19
	v_lshrrev_b16 v38, 8, v27
	v_lshlrev_b16 v37, 8, v37
	v_dual_lshrrev_b32 v42, 24, v25 :: v_dual_lshrrev_b32 v43, 24, v18
	v_dual_lshrrev_b32 v44, 16, v25 :: v_dual_lshrrev_b32 v47, 16, v18
	v_lshlrev_b16 v36, 8, v36
	v_add_nc_u16 v22, v18, v22
	v_bitop3_b16 v23, v23, v37, 0xff bitop3:0xec
	v_add_nc_u16 v37, v41, v32
	v_add_nc_u16 v33, v43, v33
	v_dual_lshrrev_b32 v43, 24, v21 :: v_dual_lshrrev_b32 v48, 16, v21
	v_bitop3_b16 v22, v22, v36, 0xff bitop3:0xec
	s_delay_alu instid0(VALU_DEP_4)
	v_lshlrev_b16 v36, 8, v37
	v_add_nc_u16 v20, v25, v20
	v_add_nc_u16 v35, v38, v35
	;; [unrolled: 1-line block ×4, first 2 shown]
	v_dual_lshrrev_b32 v39, 24, v27 :: v_dual_lshrrev_b32 v40, 16, v27
	v_add_nc_u16 v34, v43, v34
	v_bitop3_b16 v20, v20, v36, 0xff bitop3:0xec
	v_lshlrev_b16 v29, 8, v35
	v_lshlrev_b16 v35, 8, v26
	v_add_nc_u16 v30, v47, v30
	v_lshlrev_b16 v33, 8, v33
	v_add_nc_u16 v31, v48, v31
	;; [unrolled: 2-line block ×3, first 2 shown]
	v_and_b32_e32 v26, 0xffff, v20
	v_lshrrev_b32_e32 v38, 8, v35
	v_bitop3_b16 v32, v30, v33, 0xff bitop3:0xec
	v_bitop3_b16 v33, v31, v34, 0xff bitop3:0xec
	v_and_b32_e32 v30, 0xffff, v23
	v_and_b32_e32 v31, 0xffff, v22
	v_add_nc_u16 v19, v27, v19
	v_add_nc_u16 v24, v40, v24
	v_lshlrev_b16 v36, 8, v28
	v_lshrrev_b32_e32 v39, 8, v26
	v_bitop3_b16 v28, v37, v35, 0xff bitop3:0xec
	v_lshlrev_b16 v35, 8, v38
	v_bitop3_b16 v19, v19, v29, 0xff bitop3:0xec
	v_bitop3_b16 v29, v24, v36, 0xff bitop3:0xec
	v_lshlrev_b16 v37, 8, v39
	v_dual_lshrrev_b32 v38, 8, v30 :: v_dual_lshrrev_b32 v39, 8, v32
	v_dual_lshrrev_b32 v34, 8, v34 :: v_dual_lshrrev_b32 v35, 8, v35
	;; [unrolled: 1-line block ×3, first 2 shown]
	v_and_b32_e32 v24, 0xffff, v19
	v_lshrrev_b32_e32 v37, 8, v37
	s_delay_alu instid0(VALU_DEP_4)
	v_lshlrev_b16 v34, 8, v34
	v_lshlrev_b16 v38, 8, v38
	;; [unrolled: 1-line block ×4, first 2 shown]
	v_lshrrev_b32_e32 v40, 8, v24
	v_lshlrev_b16 v37, 8, v37
	v_lshlrev_b16 v39, 8, v39
	v_bitop3_b16 v36, v29, v36, 0xff bitop3:0xec
	v_lshrrev_b32_e32 v34, 8, v34
	v_bitop3_b16 v35, v28, v35, 0xff bitop3:0xec
	v_lshrrev_b32_e32 v38, 8, v38
	v_lshlrev_b16 v40, 8, v40
	v_bitop3_b16 v20, v20, v37, 0xff bitop3:0xec
	v_lshlrev_b32_e32 v36, 16, v36
	v_lshlrev_b16 v34, 8, v34
	v_lshlrev_b32_e32 v35, 16, v35
	v_lshlrev_b16 v37, 8, v38
	v_lshlrev_b16 v41, 8, v41
	v_bitop3_b16 v19, v19, v40, 0xff bitop3:0xec
	v_bitop3_b16 v34, v33, v34, 0xff bitop3:0xec
	v_and_b32_e32 v20, 0xffff, v20
	v_bitop3_b16 v23, v23, v37, 0xff bitop3:0xec
	v_perm_b32 v37, v32, v39, 0xc0c0104
	v_and_b32_e32 v19, 0xffff, v19
	v_perm_b32 v22, v22, v41, 0xc0c0104
	v_lshlrev_b32_e32 v34, 16, v34
	v_and_b32_e32 v23, 0xffff, v23
	s_add_co_i32 s3, s4, s3
	v_or_b32_e32 v19, v19, v36
	v_or_b32_e32 v20, v20, v35
	v_lshl_or_b32 v22, v37, 16, v22
	v_or_b32_e32 v23, v23, v34
	s_add_co_i32 s2, s2, -1
	s_and_b32 s3, s3, 0xfff
	s_cmp_lg_u32 s2, 0
	s_barrier_signal -1
	s_barrier_wait -1
	s_cbranch_scc0 .LBB226_4
.LBB226_2:                              ; =>This Inner Loop Header: Depth=1
	v_dual_lshrrev_b32 v26, 8, v19 :: v_dual_lshrrev_b32 v24, 16, v19
	v_perm_b32 v31, v19, v27, 0xc0c0104
	s_wait_kmcnt 0x0
	v_cmp_gt_u32_e32 vcc_lo, s3, v2
	v_and_b32_e32 v32, 0xffffff00, v25
	v_sub_nc_u16 v30, v19, v26
	v_sub_nc_u16 v26, v26, v24
	v_and_b32_e32 v25, 0xffff0000, v25
	v_and_b32_e32 v29, 0xffffff00, v20
	v_bitop3_b16 v34, v20, v32, 0xff bitop3:0xec
	v_perm_b32 v30, v30, v27, 0xc0c0104
	v_lshrrev_b32_e32 v28, 8, v20
	v_and_b32_e32 v38, 0xffffff00, v21
	v_and_b32_e32 v21, 0xffff0000, v21
	s_mov_b32 s5, exec_lo
	v_cndmask_b32_e32 v30, v31, v30, vcc_lo
	v_sub_nc_u16 v33, v20, v28
	v_lshlrev_b16 v31, 8, v26
	v_cmp_gt_u32_e32 vcc_lo, s3, v6
	ds_store_b8 v0, v19 offset:256
	v_and_or_b32 v27, 0xffff0000, v27, v30
	v_bitop3_b16 v32, v33, v32, 0xff bitop3:0xec
	v_and_b32_e32 v33, 0xffff, v34
	v_bitop3_b16 v30, v30, v31, 0xff bitop3:0xec
	v_lshrrev_b32_e32 v26, 16, v20
	v_and_b32_e32 v34, 0xffffff00, v23
	v_and_b32_e32 v32, 0xffff, v32
	v_or_b32_e32 v31, v33, v25
	v_and_b32_e32 v30, 0xffff, v30
	v_sub_nc_u16 v28, v28, v26
	s_wait_dscnt 0x0
	v_or_b32_e32 v25, v32, v25
	v_perm_b32 v32, v27, v19, 0xc0c0104
	s_barrier_signal -1
	v_lshlrev_b16 v33, 8, v28
	s_delay_alu instid0(VALU_DEP_3) | instskip(SKIP_3) | instid1(VALU_DEP_3)
	v_dual_cndmask_b32 v25, v31, v25 :: v_dual_lshrrev_b32 v28, 24, v19
	v_cmp_gt_u32_e32 vcc_lo, s3, v3
	s_barrier_wait -1
	v_lshrrev_b32_e32 v35, 8, v23
	v_bitop3_b16 v31, v25, v33, 0xff bitop3:0xec
	v_cndmask_b32_e32 v30, v32, v30, vcc_lo
	v_bitop3_b16 v29, v25, v29, 0xff bitop3:0xec
	v_and_b32_e32 v25, 0xffff0000, v25
	v_cmp_gt_u32_e32 vcc_lo, s3, v4
	v_and_b32_e32 v31, 0xffff, v31
	v_and_or_b32 v27, 0xffff0000, v27, v30
	v_sub_nc_u16 v30, v24, v28
	v_and_b32_e32 v32, 0xffff, v29
	s_delay_alu instid0(VALU_DEP_4) | instskip(NEXT) | instid1(VALU_DEP_4)
	v_dual_lshrrev_b32 v29, 24, v20 :: v_dual_bitop2_b32 v31, v31, v25 bitop3:0x54
	v_perm_b32 v33, v19, v27, 0xc0c0306
	s_delay_alu instid0(VALU_DEP_4) | instskip(NEXT) | instid1(VALU_DEP_4)
	v_perm_b32 v30, v30, v27, 0xc0c0304
	v_or_b32_e32 v25, v32, v25
	s_delay_alu instid0(VALU_DEP_4) | instskip(SKIP_4) | instid1(VALU_DEP_2)
	v_sub_nc_u16 v39, v26, v29
	v_lshrrev_b32_e32 v37, 8, v22
	v_sub_nc_u16 v41, v23, v35
	v_cndmask_b32_e32 v32, v33, v30, vcc_lo
	v_cmp_gt_u32_e32 vcc_lo, s3, v7
	v_dual_lshrrev_b32 v30, 16, v22 :: v_dual_lshlrev_b32 v33, 16, v32
	v_cndmask_b32_e32 v25, v25, v31, vcc_lo
	v_sub_nc_u16 v31, v28, v20
	v_cmp_gt_u32_e32 vcc_lo, s3, v5
	s_delay_alu instid0(VALU_DEP_4) | instskip(NEXT) | instid1(VALU_DEP_4)
	v_and_or_b32 v27, 0xffff, v27, v33
	v_lshrrev_b32_e32 v36, 16, v25
	s_delay_alu instid0(VALU_DEP_4) | instskip(SKIP_2) | instid1(VALU_DEP_4)
	v_lshlrev_b16 v31, 8, v31
	v_and_b32_e32 v25, 0xffff, v25
	v_perm_b32 v33, v22, v18, 0xc0c0104
	v_and_b32_e32 v36, 0xffffff00, v36
	s_delay_alu instid0(VALU_DEP_4) | instskip(SKIP_1) | instid1(VALU_DEP_3)
	v_bitop3_b16 v31, v32, v31, 0xff bitop3:0xec
	v_perm_b32 v32, v27, v19, 0xc0c0306
	v_bitop3_b16 v40, v26, v36, 0xff bitop3:0xec
	v_bitop3_b16 v36, v39, v36, 0xff bitop3:0xec
	s_delay_alu instid0(VALU_DEP_3)
	v_cndmask_b32_e32 v31, v32, v31, vcc_lo
	v_sub_nc_u16 v32, v22, v37
	v_sub_nc_u16 v37, v37, v30
	v_lshlrev_b32_e32 v40, 16, v40
	v_cmp_gt_u32_e32 vcc_lo, s3, v10
	v_lshlrev_b32_e32 v31, 16, v31
	v_perm_b32 v42, v32, v18, 0xc0c0104
	v_lshlrev_b16 v37, 8, v37
	v_or_b32_e32 v39, v25, v40
	v_lshlrev_b32_e32 v36, 16, v36
	v_and_or_b32 v32, 0xffff, v27, v31
	v_bitop3_b16 v27, v41, v38, 0xff bitop3:0xec
	v_bitop3_b16 v31, v23, v38, 0xff bitop3:0xec
	v_cndmask_b32_e32 v33, v33, v42, vcc_lo
	v_cmp_gt_u32_e32 vcc_lo, s3, v14
	v_or_b32_e32 v25, v25, v36
	v_and_b32_e32 v27, 0xffff, v27
	v_and_b32_e32 v38, 0xffff, v31
	v_lshrrev_b32_e32 v31, 16, v23
	v_and_or_b32 v18, 0xffff0000, v18, v33
	v_bitop3_b16 v33, v33, v37, 0xff bitop3:0xec
	v_or_b32_e32 v27, v27, v21
	v_or_b32_e32 v21, v38, v21
	v_sub_nc_u16 v35, v35, v31
	v_perm_b32 v37, v18, v22, 0xc0c0104
	v_and_b32_e32 v33, 0xffff, v33
	s_delay_alu instid0(VALU_DEP_4) | instskip(SKIP_2) | instid1(VALU_DEP_4)
	v_cndmask_b32_e32 v21, v21, v27, vcc_lo
	v_cmp_gt_u32_e32 vcc_lo, s3, v11
	v_lshlrev_b16 v27, 8, v35
	v_dual_cndmask_b32 v35, v37, v33, vcc_lo :: v_dual_lshrrev_b32 v33, 24, v22
	v_cmp_gt_u32_e32 vcc_lo, s3, v12
	s_delay_alu instid0(VALU_DEP_2) | instskip(NEXT) | instid1(VALU_DEP_3)
	v_and_or_b32 v18, 0xffff0000, v18, v35
	v_sub_nc_u16 v35, v30, v33
	s_delay_alu instid0(VALU_DEP_2) | instskip(NEXT) | instid1(VALU_DEP_2)
	v_perm_b32 v37, v22, v18, 0xc0c0306
	v_perm_b32 v35, v35, v18, 0xc0c0304
	s_delay_alu instid0(VALU_DEP_1) | instskip(SKIP_2) | instid1(VALU_DEP_3)
	v_cndmask_b32_e32 v35, v37, v35, vcc_lo
	v_cmp_gt_u32_e32 vcc_lo, s3, v8
	v_sub_nc_u16 v37, v33, v23
	v_dual_cndmask_b32 v25, v39, v25 :: v_dual_lshlrev_b32 v36, 16, v35
	v_bitop3_b16 v27, v21, v27, 0xff bitop3:0xec
	v_bitop3_b16 v34, v21, v34, 0xff bitop3:0xec
	v_and_b32_e32 v21, 0xffff0000, v21
	s_delay_alu instid0(VALU_DEP_4)
	v_and_or_b32 v18, 0xffff, v18, v36
	v_lshlrev_b16 v36, 8, v37
	v_and_b32_e32 v27, 0xffff, v27
	v_and_b32_e32 v34, 0xffff, v34
	v_cmp_gt_u32_e32 vcc_lo, s3, v15
	v_lshrrev_b32_e32 v38, 16, v25
	v_perm_b32 v41, v18, v22, 0xc0c0306
	v_or_b32_e32 v27, v27, v21
	v_bitop3_b16 v35, v35, v36, 0xff bitop3:0xec
	v_dual_lshrrev_b32 v34, 24, v23 :: v_dual_bitop2_b32 v21, v34, v21 bitop3:0x54
	v_sub_nc_u16 v37, v29, v22
	v_and_b32_e32 v25, 0xffff, v25
	s_delay_alu instid0(VALU_DEP_3) | instskip(NEXT) | instid1(VALU_DEP_4)
	v_cndmask_b32_e32 v21, v21, v27, vcc_lo
	v_sub_nc_u16 v40, v31, v34
	v_and_b32_e32 v27, 0xffffff00, v26
	v_lshlrev_b16 v36, 8, v37
	v_cmp_gt_u32_e32 vcc_lo, s3, v13
	v_lshrrev_b32_e32 v39, 16, v21
	s_delay_alu instid0(VALU_DEP_4) | instskip(NEXT) | instid1(VALU_DEP_4)
	v_bitop3_b16 v27, v38, v27, 0xff bitop3:0xec
	v_bitop3_b16 v36, v38, v36, 0xff bitop3:0xec
	v_cndmask_b32_e32 v35, v41, v35, vcc_lo
	s_delay_alu instid0(VALU_DEP_4) | instskip(SKIP_1) | instid1(VALU_DEP_3)
	v_and_b32_e32 v39, 0xffffff00, v39
	v_cmp_gt_u32_e32 vcc_lo, s3, v16
	v_dual_lshlrev_b32 v36, 16, v36 :: v_dual_lshlrev_b32 v35, 16, v35
	s_delay_alu instid0(VALU_DEP_3) | instskip(SKIP_1) | instid1(VALU_DEP_3)
	v_bitop3_b16 v37, v40, v39, 0xff bitop3:0xec
	v_bitop3_b16 v39, v31, v39, 0xff bitop3:0xec
	v_and_or_b32 v35, 0xffff, v18, v35
	s_delay_alu instid0(VALU_DEP_3) | instskip(SKIP_1) | instid1(VALU_DEP_4)
	v_lshlrev_b32_e32 v37, 16, v37
	v_and_b32_e32 v21, 0xffff, v21
	v_lshlrev_b32_e32 v38, 16, v39
	v_lshlrev_b32_e32 v27, 16, v27
	v_perm_b32 v18, v35, v35, 0x3020104
	s_delay_alu instid0(VALU_DEP_3) | instskip(SKIP_1) | instid1(VALU_DEP_4)
	v_or_b32_e32 v38, v21, v38
	v_or_b32_e32 v21, v21, v37
	;; [unrolled: 1-line block ×3, first 2 shown]
	s_delay_alu instid0(VALU_DEP_2) | instskip(SKIP_1) | instid1(VALU_DEP_2)
	v_dual_cndmask_b32 v21, v38, v21, vcc_lo :: v_dual_bitop2_b32 v25, v25, v36 bitop3:0x54
	v_cmp_gt_u32_e32 vcc_lo, s3, v9
	v_perm_b32 v21, v21, v23, 0x3060504
	s_delay_alu instid0(VALU_DEP_3)
	v_cndmask_b32_e32 v25, v27, v25, vcc_lo
	v_perm_b32 v27, v32, v32, 0x3020104
	v_cmpx_gt_u32_e64 s3, v17
	s_cbranch_execz .LBB226_1
; %bb.3:                                ;   in Loop: Header=BB226_2 Depth=1
	ds_load_u8 v18, v0 offset:257
	v_dual_lshrrev_b32 v27, 8, v21 :: v_dual_lshrrev_b32 v36, 16, v21
	s_delay_alu instid0(VALU_DEP_1) | instskip(NEXT) | instid1(VALU_DEP_1)
	v_lshlrev_b16 v27, 8, v27
	v_bitop3_b16 v21, v21, v27, 0xff bitop3:0xec
	v_mov_b32_e32 v27, v32
	s_delay_alu instid0(VALU_DEP_2) | instskip(SKIP_2) | instid1(VALU_DEP_1)
	v_and_b32_e32 v21, 0xffff, v21
	s_wait_dscnt 0x0
	v_sub_nc_u16 v18, v34, v18
	v_lshlrev_b16 v18, 8, v18
	s_delay_alu instid0(VALU_DEP_1) | instskip(NEXT) | instid1(VALU_DEP_1)
	v_bitop3_b16 v18, v36, v18, 0xff bitop3:0xec
	v_lshlrev_b32_e32 v18, 16, v18
	s_delay_alu instid0(VALU_DEP_1)
	v_dual_mov_b32 v18, v35 :: v_dual_bitop2_b32 v21, v21, v18 bitop3:0x54
	s_branch .LBB226_1
.LBB226_4:
	v_dual_lshlrev_b32 v2, 16, v29 :: v_dual_lshlrev_b32 v4, 16, v28
	v_dual_lshlrev_b32 v3, 16, v33 :: v_dual_lshlrev_b32 v5, 16, v32
	s_add_nc_u64 s[0:1], s[0:1], s[8:9]
	s_delay_alu instid0(VALU_DEP_2) | instskip(NEXT) | instid1(VALU_DEP_3)
	v_or_b32_e32 v4, v26, v4
	v_or_b32_e32 v2, v24, v2
	v_add_nc_u64_e32 v[0:1], s[0:1], v[0:1]
	s_delay_alu instid0(VALU_DEP_2)
	v_dual_lshrrev_b32 v8, 8, v4 :: v_dual_lshrrev_b32 v6, 8, v2
	v_dual_lshrrev_b32 v9, 24, v4 :: v_dual_bitop2_b32 v5, v31, v5 bitop3:0x54
	v_dual_lshrrev_b32 v7, 24, v2 :: v_dual_bitop2_b32 v3, v30, v3 bitop3:0x54
	s_clause 0x7
	global_store_b8 v[0:1], v2, off
	global_store_b8 v[0:1], v6, off offset:256
	global_store_d16_hi_b8 v[0:1], v2, off offset:512
	global_store_b8 v[0:1], v7, off offset:768
	global_store_b8 v[0:1], v4, off offset:1024
	;; [unrolled: 1-line block ×3, first 2 shown]
	global_store_d16_hi_b8 v[0:1], v4, off offset:1536
	global_store_b8 v[0:1], v9, off offset:1792
	s_wait_xcnt 0x1
	v_dual_lshrrev_b32 v2, 8, v5 :: v_dual_lshrrev_b32 v4, 24, v5
	v_dual_lshrrev_b32 v6, 8, v3 :: v_dual_lshrrev_b32 v7, 24, v3
	s_clause 0x7
	global_store_b8 v[0:1], v5, off offset:2048
	global_store_b8 v[0:1], v2, off offset:2304
	global_store_d16_hi_b8 v[0:1], v5, off offset:2560
	global_store_b8 v[0:1], v4, off offset:2816
	global_store_b8 v[0:1], v3, off offset:3072
	;; [unrolled: 1-line block ×3, first 2 shown]
	global_store_d16_hi_b8 v[0:1], v3, off offset:3584
	global_store_b8 v[0:1], v7, off offset:3840
	s_endpgm
	.section	.rodata,"a",@progbits
	.p2align	6, 0x0
	.amdhsa_kernel _Z6kernelI27subtract_right_partial_tileLj256ELj16ELb1EJPaPiS1_jEEvDpT3_
		.amdhsa_group_segment_fixed_size 512
		.amdhsa_private_segment_fixed_size 0
		.amdhsa_kernarg_size 28
		.amdhsa_user_sgpr_count 2
		.amdhsa_user_sgpr_dispatch_ptr 0
		.amdhsa_user_sgpr_queue_ptr 0
		.amdhsa_user_sgpr_kernarg_segment_ptr 1
		.amdhsa_user_sgpr_dispatch_id 0
		.amdhsa_user_sgpr_kernarg_preload_length 0
		.amdhsa_user_sgpr_kernarg_preload_offset 0
		.amdhsa_user_sgpr_private_segment_size 0
		.amdhsa_wavefront_size32 1
		.amdhsa_uses_dynamic_stack 0
		.amdhsa_enable_private_segment 0
		.amdhsa_system_sgpr_workgroup_id_x 1
		.amdhsa_system_sgpr_workgroup_id_y 0
		.amdhsa_system_sgpr_workgroup_id_z 0
		.amdhsa_system_sgpr_workgroup_info 0
		.amdhsa_system_vgpr_workitem_id 0
		.amdhsa_next_free_vgpr 49
		.amdhsa_next_free_sgpr 12
		.amdhsa_named_barrier_count 0
		.amdhsa_reserve_vcc 1
		.amdhsa_float_round_mode_32 0
		.amdhsa_float_round_mode_16_64 0
		.amdhsa_float_denorm_mode_32 3
		.amdhsa_float_denorm_mode_16_64 3
		.amdhsa_fp16_overflow 0
		.amdhsa_memory_ordered 1
		.amdhsa_forward_progress 1
		.amdhsa_inst_pref_size 25
		.amdhsa_round_robin_scheduling 0
		.amdhsa_exception_fp_ieee_invalid_op 0
		.amdhsa_exception_fp_denorm_src 0
		.amdhsa_exception_fp_ieee_div_zero 0
		.amdhsa_exception_fp_ieee_overflow 0
		.amdhsa_exception_fp_ieee_underflow 0
		.amdhsa_exception_fp_ieee_inexact 0
		.amdhsa_exception_int_div_zero 0
	.end_amdhsa_kernel
	.section	.text._Z6kernelI27subtract_right_partial_tileLj256ELj16ELb1EJPaPiS1_jEEvDpT3_,"axG",@progbits,_Z6kernelI27subtract_right_partial_tileLj256ELj16ELb1EJPaPiS1_jEEvDpT3_,comdat
.Lfunc_end226:
	.size	_Z6kernelI27subtract_right_partial_tileLj256ELj16ELb1EJPaPiS1_jEEvDpT3_, .Lfunc_end226-_Z6kernelI27subtract_right_partial_tileLj256ELj16ELb1EJPaPiS1_jEEvDpT3_
                                        ; -- End function
	.set _Z6kernelI27subtract_right_partial_tileLj256ELj16ELb1EJPaPiS1_jEEvDpT3_.num_vgpr, 49
	.set _Z6kernelI27subtract_right_partial_tileLj256ELj16ELb1EJPaPiS1_jEEvDpT3_.num_agpr, 0
	.set _Z6kernelI27subtract_right_partial_tileLj256ELj16ELb1EJPaPiS1_jEEvDpT3_.numbered_sgpr, 12
	.set _Z6kernelI27subtract_right_partial_tileLj256ELj16ELb1EJPaPiS1_jEEvDpT3_.num_named_barrier, 0
	.set _Z6kernelI27subtract_right_partial_tileLj256ELj16ELb1EJPaPiS1_jEEvDpT3_.private_seg_size, 0
	.set _Z6kernelI27subtract_right_partial_tileLj256ELj16ELb1EJPaPiS1_jEEvDpT3_.uses_vcc, 1
	.set _Z6kernelI27subtract_right_partial_tileLj256ELj16ELb1EJPaPiS1_jEEvDpT3_.uses_flat_scratch, 0
	.set _Z6kernelI27subtract_right_partial_tileLj256ELj16ELb1EJPaPiS1_jEEvDpT3_.has_dyn_sized_stack, 0
	.set _Z6kernelI27subtract_right_partial_tileLj256ELj16ELb1EJPaPiS1_jEEvDpT3_.has_recursion, 0
	.set _Z6kernelI27subtract_right_partial_tileLj256ELj16ELb1EJPaPiS1_jEEvDpT3_.has_indirect_call, 0
	.section	.AMDGPU.csdata,"",@progbits
; Kernel info:
; codeLenInByte = 3176
; TotalNumSgprs: 14
; NumVgprs: 49
; ScratchSize: 0
; MemoryBound: 0
; FloatMode: 240
; IeeeMode: 1
; LDSByteSize: 512 bytes/workgroup (compile time only)
; SGPRBlocks: 0
; VGPRBlocks: 3
; NumSGPRsForWavesPerEU: 14
; NumVGPRsForWavesPerEU: 49
; NamedBarCnt: 0
; Occupancy: 16
; WaveLimiterHint : 1
; COMPUTE_PGM_RSRC2:SCRATCH_EN: 0
; COMPUTE_PGM_RSRC2:USER_SGPR: 2
; COMPUTE_PGM_RSRC2:TRAP_HANDLER: 0
; COMPUTE_PGM_RSRC2:TGID_X_EN: 1
; COMPUTE_PGM_RSRC2:TGID_Y_EN: 0
; COMPUTE_PGM_RSRC2:TGID_Z_EN: 0
; COMPUTE_PGM_RSRC2:TIDIG_COMP_CNT: 0
	.section	.text._Z6kernelI27subtract_right_partial_tileLj256ELj32ELb1EJPaPiS1_jEEvDpT3_,"axG",@progbits,_Z6kernelI27subtract_right_partial_tileLj256ELj32ELb1EJPaPiS1_jEEvDpT3_,comdat
	.protected	_Z6kernelI27subtract_right_partial_tileLj256ELj32ELb1EJPaPiS1_jEEvDpT3_ ; -- Begin function _Z6kernelI27subtract_right_partial_tileLj256ELj32ELb1EJPaPiS1_jEEvDpT3_
	.globl	_Z6kernelI27subtract_right_partial_tileLj256ELj32ELb1EJPaPiS1_jEEvDpT3_
	.p2align	8
	.type	_Z6kernelI27subtract_right_partial_tileLj256ELj32ELb1EJPaPiS1_jEEvDpT3_,@function
_Z6kernelI27subtract_right_partial_tileLj256ELj32ELb1EJPaPiS1_jEEvDpT3_: ; @_Z6kernelI27subtract_right_partial_tileLj256ELj32ELb1EJPaPiS1_jEEvDpT3_
; %bb.0:
	s_load_b128 s[4:7], s[0:1], 0x0
	s_bfe_u32 s2, ttmp6, 0x4000c
	s_and_b32 s3, ttmp6, 15
	s_add_co_i32 s2, s2, 1
	s_getreg_b32 s8, hwreg(HW_REG_IB_STS2, 6, 4)
	s_mul_i32 s2, ttmp9, s2
	s_mov_b32 s9, 0
	s_add_co_i32 s3, s3, s2
	s_cmp_eq_u32 s8, 0
	s_wait_xcnt 0x0
	s_load_b96 s[0:2], s[0:1], 0x10
	s_cselect_b32 s3, ttmp9, s3
	v_dual_lshlrev_b32 v41, 5, v0 :: v_dual_mov_b32 v1, 0
	s_lshl_b32 s8, s3, 13
	s_delay_alu instid0(VALU_DEP_1)
	v_or_b32_e32 v10, 1, v41
	v_or_b32_e32 v11, 2, v41
	;; [unrolled: 1-line block ×4, first 2 shown]
	s_wait_kmcnt 0x0
	s_add_nc_u64 s[4:5], s[4:5], s[8:9]
	v_or_b32_e32 v14, 5, v41
	s_clause 0x1f
	global_load_u8 v2, v0, s[4:5] offset:256
	global_load_u8 v3, v0, s[4:5] offset:1536
	;; [unrolled: 1-line block ×7, first 2 shown]
	global_load_u8 v9, v0, s[4:5]
	global_load_u8 v42, v0, s[4:5] offset:2304
	global_load_u8 v43, v0, s[4:5] offset:3584
	;; [unrolled: 1-line block ×24, first 2 shown]
	s_load_b32 s3, s[6:7], s3 offset:0x0 scale_offset
	v_or_b32_e32 v15, 6, v41
	v_or_b32_e32 v16, 7, v41
	;; [unrolled: 1-line block ×5, first 2 shown]
	s_cvt_f32_u32 s4, s2
	s_sub_co_i32 s5, 0, s2
	v_or_b32_e32 v20, 11, v41
	v_or_b32_e32 v21, 12, v41
	v_rcp_iflag_f32_e32 v29, s4
	v_or_b32_e32 v22, 13, v41
	v_or_b32_e32 v23, 14, v41
	;; [unrolled: 1-line block ×6, first 2 shown]
	v_readfirstlane_b32 s4, v29
	v_or_b32_e32 v28, 19, v41
	v_or_b32_e32 v29, 20, v41
	;; [unrolled: 1-line block ×4, first 2 shown]
	s_mul_f32 s4, s4, 0x4f7ffffe
	v_or_b32_e32 v32, 23, v41
	v_or_b32_e32 v33, 24, v41
	;; [unrolled: 1-line block ×3, first 2 shown]
	s_cvt_u32_f32 s4, s4
	v_or_b32_e32 v35, 26, v41
	v_or_b32_e32 v36, 27, v41
	;; [unrolled: 1-line block ×3, first 2 shown]
	s_mul_i32 s5, s5, s4
	v_or_b32_e32 v38, 29, v41
	s_mul_hi_u32 s5, s4, s5
	v_or_b32_e32 v39, 30, v41
	s_add_co_i32 s4, s4, s5
	v_or_b32_e32 v40, 31, v41
	s_lshr_b32 s4, s4, 19
	v_add_nc_u32_e32 v41, 32, v41
	s_mul_i32 s5, s4, s2
	s_add_co_i32 s10, s4, 1
	s_sub_co_i32 s5, 0x2000, s5
	s_delay_alu instid0(SALU_CYCLE_1)
	s_sub_co_i32 s11, s5, s2
	s_cmp_ge_u32 s5, s2
	s_cselect_b32 s4, s10, s4
	s_cselect_b32 s5, s11, s5
	s_wait_xcnt 0x0
	s_add_co_i32 s6, s4, 1
	s_cmp_ge_u32 s5, s2
	s_cselect_b32 s4, s6, s4
	s_delay_alu instid0(SALU_CYCLE_1)
	s_add_co_i32 s4, s4, 1
	s_wait_loadcnt 0x1b
	v_perm_b32 v3, v3, v6, 0xc0c0004
	s_wait_loadcnt 0x1a
	v_perm_b32 v4, v4, v7, 0xc0c0004
	;; [unrolled: 2-line block ×4, first 2 shown]
	v_lshl_or_b32 v9, v3, 16, v4
	s_wait_loadcnt 0x13
	v_perm_b32 v43, v43, v46, 0xc0c0004
	s_delay_alu instid0(VALU_DEP_3)
	v_lshl_or_b32 v8, v5, 16, v2
	s_wait_loadcnt 0x11
	v_perm_b32 v7, v45, v48, 0xc0c0004
	s_wait_loadcnt 0x10
	v_perm_b32 v6, v49, v42, 0xc0c0004
	v_perm_b32 v42, v44, v47, 0xc0c0004
	s_wait_loadcnt 0xb
	v_perm_b32 v47, v54, v53, 0xc0c0004
	s_wait_loadcnt 0xa
	;; [unrolled: 2-line block ×4, first 2 shown]
	v_perm_b32 v44, v57, v50, 0xc0c0004
	v_lshl_or_b32 v4, v7, 16, v6
	v_lshl_or_b32 v5, v43, 16, v42
	;; [unrolled: 1-line block ×3, first 2 shown]
	s_wait_loadcnt 0x3
	v_perm_b32 v49, v59, v62, 0xc0c0004
	s_wait_loadcnt 0x2
	v_perm_b32 v48, v63, v58, 0xc0c0004
	;; [unrolled: 2-line block ×4, first 2 shown]
	v_lshl_or_b32 v6, v45, 16, v44
	v_lshl_or_b32 v2, v49, 16, v48
	s_delay_alu instid0(VALU_DEP_3)
	v_lshl_or_b32 v3, v51, 16, v50
	s_branch .LBB227_2
.LBB227_1:                              ;   in Loop: Header=BB227_2 Depth=1
	s_or_b32 exec_lo, exec_lo, s5
	v_cmp_gt_u32_e32 vcc_lo, s3, v13
	v_lshrrev_b64 v[44:45], 24, v[8:9]
	v_dual_lshrrev_b32 v50, 24, v9 :: v_dual_lshrrev_b32 v47, 8, v8
	v_dual_cndmask_b32 v45, 0, v9 :: v_dual_lshrrev_b32 v48, 16, v8
	v_cmp_gt_u32_e32 vcc_lo, s3, v10
	v_dual_lshrrev_b32 v49, 8, v9 :: v_dual_lshrrev_b32 v51, 16, v9
	v_lshrrev_b32_e32 v59, 16, v5
	s_delay_alu instid0(VALU_DEP_4)
	v_sub_nc_u16 v45, v44, v45
	v_cndmask_b32_e32 v46, 0, v47, vcc_lo
	v_cmp_gt_u32_e32 vcc_lo, s3, v11
	s_add_co_i32 s2, s2, -1
	s_barrier_signal -1
	s_barrier_wait -1
	v_cndmask_b32_e32 v52, 0, v48, vcc_lo
	v_cmp_gt_u32_e32 vcc_lo, s3, v14
	v_sub_nc_u16 v46, v8, v46
	v_lshrrev_b32_e32 v72, 8, v2
	s_delay_alu instid0(VALU_DEP_4) | instskip(SKIP_3) | instid1(VALU_DEP_4)
	v_sub_nc_u16 v52, v47, v52
	v_cndmask_b32_e32 v53, 0, v49, vcc_lo
	v_cmp_gt_u32_e32 vcc_lo, s3, v12
	v_add_nc_u16 v46, v46, v8
	v_add_nc_u16 v47, v52, v47
	v_cndmask_b32_e32 v54, 0, v44, vcc_lo
	v_cmp_gt_u32_e32 vcc_lo, s3, v15
	v_sub_nc_u16 v53, v9, v53
	v_add_nc_u16 v44, v45, v44
	v_cndmask_b32_e32 v55, 0, v51, vcc_lo
	v_cmp_gt_u32_e32 vcc_lo, s3, v17
	s_delay_alu instid0(VALU_DEP_4)
	v_add_nc_u16 v45, v53, v9
	v_sub_nc_u16 v53, v48, v54
	v_cndmask_b32_e32 v8, 0, v4, vcc_lo
	v_cmp_gt_u32_e32 vcc_lo, s3, v16
	v_sub_nc_u16 v54, v49, v55
	v_lshrrev_b32_e32 v55, 8, v5
	v_add_nc_u16 v48, v53, v48
	v_sub_nc_u16 v8, v50, v8
	v_cndmask_b32_e32 v9, 0, v50, vcc_lo
	v_add_nc_u16 v49, v54, v49
	v_lshrrev_b32_e32 v56, 8, v4
	v_cmp_gt_u32_e32 vcc_lo, s3, v18
	v_add_nc_u16 v50, v8, v50
	v_sub_nc_u16 v9, v51, v9
	v_lshlrev_b16 v52, 8, v49
	v_lshlrev_b16 v8, 8, v47
	s_delay_alu instid0(VALU_DEP_4) | instskip(NEXT) | instid1(VALU_DEP_4)
	v_lshlrev_b16 v53, 8, v50
	v_add_nc_u16 v51, v9, v51
	v_lshlrev_b16 v9, 8, v44
	v_bitop3_b16 v52, v45, v52, 0xff bitop3:0xec
	v_bitop3_b16 v8, v46, v8, 0xff bitop3:0xec
	s_delay_alu instid0(VALU_DEP_4) | instskip(NEXT) | instid1(VALU_DEP_4)
	v_bitop3_b16 v53, v51, v53, 0xff bitop3:0xec
	v_bitop3_b16 v9, v48, v9, 0xff bitop3:0xec
	v_cndmask_b32_e32 v54, 0, v56, vcc_lo
	v_cmp_gt_u32_e32 vcc_lo, s3, v22
	v_and_b32_e32 v62, 0xffff, v52
	v_and_b32_e32 v60, 0xffff, v8
	v_lshlrev_b32_e32 v61, 16, v9
	v_sub_nc_u16 v52, v4, v54
	v_cndmask_b32_e32 v57, 0, v55, vcc_lo
	v_cmp_gt_u32_e32 vcc_lo, s3, v21
	v_lshrrev_b64 v[8:9], 24, v[4:5]
	s_delay_alu instid0(VALU_DEP_3)
	v_sub_nc_u16 v54, v5, v57
	v_cndmask_b32_e32 v9, 0, v5, vcc_lo
	v_cmp_gt_u32_e32 vcc_lo, s3, v19
	v_lshlrev_b32_e32 v63, 16, v53
	v_add_nc_u16 v53, v52, v4
	v_lshrrev_b32_e32 v4, 16, v4
	v_sub_nc_u16 v9, v8, v9
	v_add_nc_u16 v52, v54, v5
	s_delay_alu instid0(VALU_DEP_3) | instskip(SKIP_1) | instid1(VALU_DEP_4)
	v_dual_lshrrev_b32 v5, 24, v5 :: v_dual_cndmask_b32 v57, 0, v4, vcc_lo
	v_cmp_gt_u32_e32 vcc_lo, s3, v20
	v_add_nc_u16 v54, v9, v8
	s_delay_alu instid0(VALU_DEP_3) | instskip(SKIP_4) | instid1(VALU_DEP_4)
	v_sub_nc_u16 v9, v56, v57
	v_cndmask_b32_e32 v8, 0, v8, vcc_lo
	v_cmp_gt_u32_e32 vcc_lo, s3, v23
	v_cndmask_b32_e32 v57, 0, v59, vcc_lo
	v_cmp_gt_u32_e32 vcc_lo, s3, v25
	v_sub_nc_u16 v8, v4, v8
	s_delay_alu instid0(VALU_DEP_3) | instskip(SKIP_3) | instid1(VALU_DEP_4)
	v_sub_nc_u16 v65, v55, v57
	v_cndmask_b32_e32 v58, 0, v6, vcc_lo
	v_cmp_gt_u32_e32 vcc_lo, s3, v24
	v_add_nc_u16 v57, v9, v56
	v_add_nc_u16 v56, v65, v55
	v_cndmask_b32_e32 v64, 0, v5, vcc_lo
	v_sub_nc_u16 v66, v5, v58
	v_add_nc_u16 v58, v8, v4
	v_lshlrev_b16 v8, 8, v54
	v_cmp_gt_u32_e32 vcc_lo, s3, v26
	v_sub_nc_u16 v4, v59, v64
	v_add_nc_u16 v55, v66, v5
	v_lshlrev_b16 v5, 8, v57
	v_bitop3_b16 v64, v58, v8, 0xff bitop3:0xec
	v_or_b32_e32 v8, v60, v61
	v_add_nc_u16 v59, v4, v59
	v_lshlrev_b16 v9, 8, v55
	v_lshlrev_b16 v4, 8, v56
	v_dual_lshlrev_b32 v60, 16, v64 :: v_dual_lshrrev_b32 v64, 8, v6
	v_lshrrev_b32_e32 v66, 8, v7
	s_delay_alu instid0(VALU_DEP_4)
	v_bitop3_b16 v9, v59, v9, 0xff bitop3:0xec
	v_bitop3_b16 v5, v53, v5, 0xff bitop3:0xec
	;; [unrolled: 1-line block ×3, first 2 shown]
	v_cndmask_b32_e32 v67, 0, v64, vcc_lo
	v_cmp_gt_u32_e32 vcc_lo, s3, v30
	v_lshlrev_b32_e32 v65, 16, v9
	v_and_b32_e32 v5, 0xffff, v5
	v_and_b32_e32 v61, 0xffff, v4
	v_dual_cndmask_b32 v68, 0, v66, vcc_lo :: v_dual_bitop2_b32 v9, v62, v63 bitop3:0x54
	v_cmp_gt_u32_e32 vcc_lo, s3, v29
	v_lshrrev_b64 v[62:63], 24, v[6:7]
	v_or_b32_e32 v4, v5, v60
	v_or_b32_e32 v5, v61, v65
	v_sub_nc_u16 v60, v6, v67
	v_sub_nc_u16 v65, v7, v68
	v_cndmask_b32_e32 v63, 0, v7, vcc_lo
	v_cmp_gt_u32_e32 vcc_lo, s3, v28
	v_lshrrev_b32_e32 v67, 16, v7
	v_add_nc_u16 v61, v60, v6
	v_add_nc_u16 v60, v65, v7
	v_lshrrev_b32_e32 v6, 16, v6
	v_dual_cndmask_b32 v65, 0, v62, vcc_lo :: v_dual_lshrrev_b32 v7, 24, v7
	v_cmp_gt_u32_e32 vcc_lo, s3, v27
	v_sub_nc_u16 v63, v62, v63
	s_delay_alu instid0(VALU_DEP_4) | instskip(SKIP_1) | instid1(VALU_DEP_3)
	v_cndmask_b32_e32 v68, 0, v6, vcc_lo
	v_cmp_gt_u32_e32 vcc_lo, s3, v31
	v_add_nc_u16 v62, v63, v62
	s_delay_alu instid0(VALU_DEP_3) | instskip(SKIP_3) | instid1(VALU_DEP_4)
	v_sub_nc_u16 v63, v64, v68
	v_cndmask_b32_e32 v69, 0, v67, vcc_lo
	v_cmp_gt_u32_e32 vcc_lo, s3, v32
	v_sub_nc_u16 v65, v6, v65
	v_add_nc_u16 v64, v63, v64
	s_delay_alu instid0(VALU_DEP_4) | instskip(SKIP_3) | instid1(VALU_DEP_4)
	v_sub_nc_u16 v68, v66, v69
	v_cndmask_b32_e32 v69, 0, v7, vcc_lo
	v_cmp_gt_u32_e32 vcc_lo, s3, v33
	v_add_nc_u16 v65, v65, v6
	v_add_nc_u16 v63, v68, v66
	s_delay_alu instid0(VALU_DEP_4)
	v_sub_nc_u16 v6, v67, v69
	v_cndmask_b32_e32 v70, 0, v2, vcc_lo
	v_cmp_gt_u32_e32 vcc_lo, s3, v34
	v_lshlrev_b16 v69, 8, v64
	v_lshrrev_b32_e32 v75, 8, v3
	v_add_nc_u16 v66, v6, v67
	v_sub_nc_u16 v68, v7, v70
	v_lshlrev_b16 v70, 8, v62
	v_lshlrev_b16 v6, 8, v63
	s_delay_alu instid0(VALU_DEP_3) | instskip(NEXT) | instid1(VALU_DEP_3)
	v_add_nc_u16 v67, v68, v7
	v_bitop3_b16 v71, v65, v70, 0xff bitop3:0xec
	v_cndmask_b32_e32 v70, 0, v72, vcc_lo
	v_cmp_gt_u32_e32 vcc_lo, s3, v38
	v_bitop3_b16 v68, v61, v69, 0xff bitop3:0xec
	v_lshlrev_b16 v69, 8, v67
	v_bitop3_b16 v74, v60, v6, 0xff bitop3:0xec
	v_sub_nc_u16 v70, v2, v70
	v_cndmask_b32_e32 v73, 0, v75, vcc_lo
	v_cmp_gt_u32_e32 vcc_lo, s3, v37
	v_lshrrev_b64 v[6:7], 24, v[2:3]
	v_bitop3_b16 v76, v66, v69, 0xff bitop3:0xec
	v_add_nc_u16 v69, v70, v2
	v_dual_cndmask_b32 v7, 0, v3 :: v_dual_lshrrev_b32 v2, 16, v2
	v_sub_nc_u16 v73, v3, v73
	v_and_b32_e32 v77, 0xffff, v68
	v_cmp_gt_u32_e32 vcc_lo, s3, v36
	v_lshlrev_b32_e32 v80, 16, v71
	v_and_b32_e32 v74, 0xffff, v74
	v_add_nc_u16 v68, v73, v3
	v_lshrrev_b32_e32 v3, 16, v3
	v_sub_nc_u16 v7, v6, v7
	s_delay_alu instid0(VALU_DEP_1) | instskip(SKIP_4) | instid1(VALU_DEP_2)
	v_add_nc_u16 v70, v7, v6
	v_cndmask_b32_e32 v6, 0, v6, vcc_lo
	v_cmp_gt_u32_e32 vcc_lo, s3, v35
	v_cndmask_b32_e32 v7, 0, v2, vcc_lo
	v_cmp_gt_u32_e32 vcc_lo, s3, v39
	v_sub_nc_u16 v7, v72, v7
	v_cndmask_b32_e32 v73, 0, v3, vcc_lo
	v_cmp_gt_u32_e32 vcc_lo, s3, v40
	v_sub_nc_u16 v6, v2, v6
	s_add_co_i32 s3, s4, s3
	v_add_nc_u16 v72, v7, v72
	v_sub_nc_u16 v79, v75, v73
	v_cndmask_b32_e32 v78, 0, v42, vcc_lo
	v_add_nc_u16 v42, v43, v42
	v_add_nc_u16 v73, v6, v2
	v_lshlrev_b16 v2, 8, v72
	v_add_nc_u16 v71, v79, v75
	v_lshlrev_b32_e32 v75, 16, v76
	v_sub_nc_u16 v78, v3, v78
	v_lshlrev_b16 v7, 8, v42
	v_bitop3_b16 v2, v69, v2, 0xff bitop3:0xec
	v_lshlrev_b16 v6, 8, v71
	s_and_b32 s3, s3, 0x1fff
	v_add_nc_u16 v43, v78, v3
	v_lshlrev_b16 v3, 8, v70
	v_and_b32_e32 v2, 0xffff, v2
	v_bitop3_b16 v6, v68, v6, 0xff bitop3:0xec
	s_cmp_lg_u32 s2, 0
	v_bitop3_b16 v7, v43, v7, 0xff bitop3:0xec
	v_bitop3_b16 v3, v73, v3, 0xff bitop3:0xec
	s_delay_alu instid0(VALU_DEP_3) | instskip(NEXT) | instid1(VALU_DEP_3)
	v_and_b32_e32 v76, 0xffff, v6
	v_dual_lshlrev_b32 v78, 16, v7 :: v_dual_bitop2_b32 v6, v77, v80 bitop3:0x54
	s_delay_alu instid0(VALU_DEP_3) | instskip(SKIP_1) | instid1(VALU_DEP_2)
	v_lshlrev_b32_e32 v3, 16, v3
	v_or_b32_e32 v7, v74, v75
	v_or_b32_e32 v2, v2, v3
	s_delay_alu instid0(VALU_DEP_4)
	v_or_b32_e32 v3, v76, v78
	s_cbranch_scc0 .LBB227_4
.LBB227_2:                              ; =>This Inner Loop Header: Depth=1
	s_delay_alu instid0(VALU_DEP_1)
	v_lshrrev_b32_e32 v42, 24, v3
	s_mov_b32 s5, exec_lo
	ds_store_b8 v0, v8 offset:256
	s_wait_dscnt 0x0
	s_barrier_signal -1
	v_mov_b32_e32 v43, v42
	s_barrier_wait -1
	s_wait_kmcnt 0x0
	v_cmpx_gt_u32_e64 s3, v41
	s_cbranch_execz .LBB227_1
; %bb.3:                                ;   in Loop: Header=BB227_2 Depth=1
	ds_load_u8 v43, v0 offset:257
	s_wait_dscnt 0x0
	v_sub_nc_u16 v43, v42, v43
	s_branch .LBB227_1
.LBB227_4:
	s_add_nc_u64 s[0:1], s[0:1], s[8:9]
	s_delay_alu instid0(SALU_CYCLE_1)
	v_add_nc_u64_e32 v[0:1], s[0:1], v[0:1]
	s_clause 0x1f
	global_store_b8 v[0:1], v46, off
	global_store_b8 v[0:1], v47, off offset:256
	global_store_b8 v[0:1], v48, off offset:512
	;; [unrolled: 1-line block ×31, first 2 shown]
	s_sendmsg sendmsg(MSG_DEALLOC_VGPRS)
	s_endpgm
	.section	.rodata,"a",@progbits
	.p2align	6, 0x0
	.amdhsa_kernel _Z6kernelI27subtract_right_partial_tileLj256ELj32ELb1EJPaPiS1_jEEvDpT3_
		.amdhsa_group_segment_fixed_size 512
		.amdhsa_private_segment_fixed_size 0
		.amdhsa_kernarg_size 28
		.amdhsa_user_sgpr_count 2
		.amdhsa_user_sgpr_dispatch_ptr 0
		.amdhsa_user_sgpr_queue_ptr 0
		.amdhsa_user_sgpr_kernarg_segment_ptr 1
		.amdhsa_user_sgpr_dispatch_id 0
		.amdhsa_user_sgpr_kernarg_preload_length 0
		.amdhsa_user_sgpr_kernarg_preload_offset 0
		.amdhsa_user_sgpr_private_segment_size 0
		.amdhsa_wavefront_size32 1
		.amdhsa_uses_dynamic_stack 0
		.amdhsa_enable_private_segment 0
		.amdhsa_system_sgpr_workgroup_id_x 1
		.amdhsa_system_sgpr_workgroup_id_y 0
		.amdhsa_system_sgpr_workgroup_id_z 0
		.amdhsa_system_sgpr_workgroup_info 0
		.amdhsa_system_vgpr_workitem_id 0
		.amdhsa_next_free_vgpr 81
		.amdhsa_next_free_sgpr 12
		.amdhsa_named_barrier_count 0
		.amdhsa_reserve_vcc 1
		.amdhsa_float_round_mode_32 0
		.amdhsa_float_round_mode_16_64 0
		.amdhsa_float_denorm_mode_32 3
		.amdhsa_float_denorm_mode_16_64 3
		.amdhsa_fp16_overflow 0
		.amdhsa_memory_ordered 1
		.amdhsa_forward_progress 1
		.amdhsa_inst_pref_size 24
		.amdhsa_round_robin_scheduling 0
		.amdhsa_exception_fp_ieee_invalid_op 0
		.amdhsa_exception_fp_denorm_src 0
		.amdhsa_exception_fp_ieee_div_zero 0
		.amdhsa_exception_fp_ieee_overflow 0
		.amdhsa_exception_fp_ieee_underflow 0
		.amdhsa_exception_fp_ieee_inexact 0
		.amdhsa_exception_int_div_zero 0
	.end_amdhsa_kernel
	.section	.text._Z6kernelI27subtract_right_partial_tileLj256ELj32ELb1EJPaPiS1_jEEvDpT3_,"axG",@progbits,_Z6kernelI27subtract_right_partial_tileLj256ELj32ELb1EJPaPiS1_jEEvDpT3_,comdat
.Lfunc_end227:
	.size	_Z6kernelI27subtract_right_partial_tileLj256ELj32ELb1EJPaPiS1_jEEvDpT3_, .Lfunc_end227-_Z6kernelI27subtract_right_partial_tileLj256ELj32ELb1EJPaPiS1_jEEvDpT3_
                                        ; -- End function
	.set _Z6kernelI27subtract_right_partial_tileLj256ELj32ELb1EJPaPiS1_jEEvDpT3_.num_vgpr, 81
	.set _Z6kernelI27subtract_right_partial_tileLj256ELj32ELb1EJPaPiS1_jEEvDpT3_.num_agpr, 0
	.set _Z6kernelI27subtract_right_partial_tileLj256ELj32ELb1EJPaPiS1_jEEvDpT3_.numbered_sgpr, 12
	.set _Z6kernelI27subtract_right_partial_tileLj256ELj32ELb1EJPaPiS1_jEEvDpT3_.num_named_barrier, 0
	.set _Z6kernelI27subtract_right_partial_tileLj256ELj32ELb1EJPaPiS1_jEEvDpT3_.private_seg_size, 0
	.set _Z6kernelI27subtract_right_partial_tileLj256ELj32ELb1EJPaPiS1_jEEvDpT3_.uses_vcc, 1
	.set _Z6kernelI27subtract_right_partial_tileLj256ELj32ELb1EJPaPiS1_jEEvDpT3_.uses_flat_scratch, 0
	.set _Z6kernelI27subtract_right_partial_tileLj256ELj32ELb1EJPaPiS1_jEEvDpT3_.has_dyn_sized_stack, 0
	.set _Z6kernelI27subtract_right_partial_tileLj256ELj32ELb1EJPaPiS1_jEEvDpT3_.has_recursion, 0
	.set _Z6kernelI27subtract_right_partial_tileLj256ELj32ELb1EJPaPiS1_jEEvDpT3_.has_indirect_call, 0
	.section	.AMDGPU.csdata,"",@progbits
; Kernel info:
; codeLenInByte = 2976
; TotalNumSgprs: 14
; NumVgprs: 81
; ScratchSize: 0
; MemoryBound: 0
; FloatMode: 240
; IeeeMode: 1
; LDSByteSize: 512 bytes/workgroup (compile time only)
; SGPRBlocks: 0
; VGPRBlocks: 5
; NumSGPRsForWavesPerEU: 14
; NumVGPRsForWavesPerEU: 81
; NamedBarCnt: 0
; Occupancy: 10
; WaveLimiterHint : 1
; COMPUTE_PGM_RSRC2:SCRATCH_EN: 0
; COMPUTE_PGM_RSRC2:USER_SGPR: 2
; COMPUTE_PGM_RSRC2:TRAP_HANDLER: 0
; COMPUTE_PGM_RSRC2:TGID_X_EN: 1
; COMPUTE_PGM_RSRC2:TGID_Y_EN: 0
; COMPUTE_PGM_RSRC2:TGID_Z_EN: 0
; COMPUTE_PGM_RSRC2:TIDIG_COMP_CNT: 0
	.section	.text._Z6kernelI27subtract_right_partial_tileLj256ELj1ELb1EJPxPiS1_jEEvDpT3_,"axG",@progbits,_Z6kernelI27subtract_right_partial_tileLj256ELj1ELb1EJPxPiS1_jEEvDpT3_,comdat
	.protected	_Z6kernelI27subtract_right_partial_tileLj256ELj1ELb1EJPxPiS1_jEEvDpT3_ ; -- Begin function _Z6kernelI27subtract_right_partial_tileLj256ELj1ELb1EJPxPiS1_jEEvDpT3_
	.globl	_Z6kernelI27subtract_right_partial_tileLj256ELj1ELb1EJPxPiS1_jEEvDpT3_
	.p2align	8
	.type	_Z6kernelI27subtract_right_partial_tileLj256ELj1ELb1EJPxPiS1_jEEvDpT3_,@function
_Z6kernelI27subtract_right_partial_tileLj256ELj1ELb1EJPxPiS1_jEEvDpT3_: ; @_Z6kernelI27subtract_right_partial_tileLj256ELj1ELb1EJPxPiS1_jEEvDpT3_
; %bb.0:
	s_load_b128 s[8:11], s[0:1], 0x0
	s_bfe_u32 s2, ttmp6, 0x4000c
	s_and_b32 s3, ttmp6, 15
	s_add_co_i32 s2, s2, 1
	s_getreg_b32 s4, hwreg(HW_REG_IB_STS2, 6, 4)
	s_mul_i32 s2, ttmp9, s2
	v_add_nc_u32_e32 v6, 1, v0
	s_add_co_i32 s3, s3, s2
	s_cmp_eq_u32 s4, 0
	s_cselect_b32 s12, ttmp9, s3
	s_mov_b32 s3, 0
	s_lshl_b32 s2, s12, 8
	s_delay_alu instid0(SALU_CYCLE_1)
	s_lshl_b64 s[4:5], s[2:3], 3
	s_wait_xcnt 0x0
	s_load_b96 s[0:2], s[0:1], 0x10
	s_wait_kmcnt 0x0
	s_add_nc_u64 s[6:7], s[8:9], s[4:5]
	global_load_b64 v[2:3], v0, s[6:7] scale_offset
	s_cvt_f32_u32 s3, s2
	s_wait_xcnt 0x0
	s_sub_co_i32 s6, 0, s2
	s_delay_alu instid0(SALU_CYCLE_1) | instskip(SKIP_1) | instid1(TRANS32_DEP_1)
	v_rcp_iflag_f32_e32 v1, s3
	v_nop
	v_readfirstlane_b32 s3, v1
	v_lshlrev_b32_e32 v1, 3, v0
	s_mul_f32 s3, s3, 0x4f7ffffe
	s_delay_alu instid0(SALU_CYCLE_3) | instskip(NEXT) | instid1(SALU_CYCLE_3)
	s_cvt_u32_f32 s3, s3
	s_mul_i32 s6, s6, s3
	s_delay_alu instid0(SALU_CYCLE_1) | instskip(NEXT) | instid1(SALU_CYCLE_1)
	s_mul_hi_u32 s6, s3, s6
	s_add_co_i32 s6, s3, s6
	s_load_b32 s3, s[10:11], s12 offset:0x0 scale_offset
	s_lshr_b32 s6, s6, 24
	s_delay_alu instid0(SALU_CYCLE_1) | instskip(SKIP_2) | instid1(SALU_CYCLE_1)
	s_mul_i32 s7, s6, s2
	s_add_co_i32 s8, s6, 1
	s_sub_co_i32 s7, 0x100, s7
	s_sub_co_i32 s9, s7, s2
	s_cmp_ge_u32 s7, s2
	s_cselect_b32 s6, s8, s6
	s_cselect_b32 s7, s9, s7
	s_add_co_i32 s8, s6, 1
	s_cmp_ge_u32 s7, s2
	s_cselect_b32 s6, s8, s6
	s_delay_alu instid0(SALU_CYCLE_1)
	s_add_co_i32 s6, s6, 1
	s_branch .LBB228_2
.LBB228_1:                              ;   in Loop: Header=BB228_2 Depth=1
	s_or_b32 exec_lo, exec_lo, s7
	s_delay_alu instid0(VALU_DEP_1)
	v_add_nc_u64_e32 v[2:3], v[4:5], v[2:3]
	s_add_co_i32 s3, s6, s3
	s_add_co_i32 s2, s2, -1
	s_and_b32 s3, s3, 0xff
	s_cmp_lg_u32 s2, 0
	s_barrier_signal -1
	s_barrier_wait -1
	s_cbranch_scc0 .LBB228_4
.LBB228_2:                              ; =>This Inner Loop Header: Depth=1
	s_wait_loadcnt 0x0
	v_mov_b64_e32 v[4:5], v[2:3]
	s_mov_b32 s7, exec_lo
	ds_store_b64 v1, v[2:3] offset:2048
	s_wait_dscnt 0x0
	s_barrier_signal -1
	s_barrier_wait -1
	s_wait_kmcnt 0x0
	v_cmpx_gt_u32_e64 s3, v6
	s_cbranch_execz .LBB228_1
; %bb.3:                                ;   in Loop: Header=BB228_2 Depth=1
	ds_load_b64 v[4:5], v1 offset:2056
	s_wait_dscnt 0x0
	v_sub_nc_u64_e32 v[4:5], v[2:3], v[4:5]
	s_branch .LBB228_1
.LBB228_4:
	s_add_nc_u64 s[0:1], s[0:1], s[4:5]
	global_store_b64 v0, v[2:3], s[0:1] scale_offset
	s_endpgm
	.section	.rodata,"a",@progbits
	.p2align	6, 0x0
	.amdhsa_kernel _Z6kernelI27subtract_right_partial_tileLj256ELj1ELb1EJPxPiS1_jEEvDpT3_
		.amdhsa_group_segment_fixed_size 4096
		.amdhsa_private_segment_fixed_size 0
		.amdhsa_kernarg_size 28
		.amdhsa_user_sgpr_count 2
		.amdhsa_user_sgpr_dispatch_ptr 0
		.amdhsa_user_sgpr_queue_ptr 0
		.amdhsa_user_sgpr_kernarg_segment_ptr 1
		.amdhsa_user_sgpr_dispatch_id 0
		.amdhsa_user_sgpr_kernarg_preload_length 0
		.amdhsa_user_sgpr_kernarg_preload_offset 0
		.amdhsa_user_sgpr_private_segment_size 0
		.amdhsa_wavefront_size32 1
		.amdhsa_uses_dynamic_stack 0
		.amdhsa_enable_private_segment 0
		.amdhsa_system_sgpr_workgroup_id_x 1
		.amdhsa_system_sgpr_workgroup_id_y 0
		.amdhsa_system_sgpr_workgroup_id_z 0
		.amdhsa_system_sgpr_workgroup_info 0
		.amdhsa_system_vgpr_workitem_id 0
		.amdhsa_next_free_vgpr 7
		.amdhsa_next_free_sgpr 13
		.amdhsa_named_barrier_count 0
		.amdhsa_reserve_vcc 0
		.amdhsa_float_round_mode_32 0
		.amdhsa_float_round_mode_16_64 0
		.amdhsa_float_denorm_mode_32 3
		.amdhsa_float_denorm_mode_16_64 3
		.amdhsa_fp16_overflow 0
		.amdhsa_memory_ordered 1
		.amdhsa_forward_progress 1
		.amdhsa_inst_pref_size 3
		.amdhsa_round_robin_scheduling 0
		.amdhsa_exception_fp_ieee_invalid_op 0
		.amdhsa_exception_fp_denorm_src 0
		.amdhsa_exception_fp_ieee_div_zero 0
		.amdhsa_exception_fp_ieee_overflow 0
		.amdhsa_exception_fp_ieee_underflow 0
		.amdhsa_exception_fp_ieee_inexact 0
		.amdhsa_exception_int_div_zero 0
	.end_amdhsa_kernel
	.section	.text._Z6kernelI27subtract_right_partial_tileLj256ELj1ELb1EJPxPiS1_jEEvDpT3_,"axG",@progbits,_Z6kernelI27subtract_right_partial_tileLj256ELj1ELb1EJPxPiS1_jEEvDpT3_,comdat
.Lfunc_end228:
	.size	_Z6kernelI27subtract_right_partial_tileLj256ELj1ELb1EJPxPiS1_jEEvDpT3_, .Lfunc_end228-_Z6kernelI27subtract_right_partial_tileLj256ELj1ELb1EJPxPiS1_jEEvDpT3_
                                        ; -- End function
	.set _Z6kernelI27subtract_right_partial_tileLj256ELj1ELb1EJPxPiS1_jEEvDpT3_.num_vgpr, 7
	.set _Z6kernelI27subtract_right_partial_tileLj256ELj1ELb1EJPxPiS1_jEEvDpT3_.num_agpr, 0
	.set _Z6kernelI27subtract_right_partial_tileLj256ELj1ELb1EJPxPiS1_jEEvDpT3_.numbered_sgpr, 13
	.set _Z6kernelI27subtract_right_partial_tileLj256ELj1ELb1EJPxPiS1_jEEvDpT3_.num_named_barrier, 0
	.set _Z6kernelI27subtract_right_partial_tileLj256ELj1ELb1EJPxPiS1_jEEvDpT3_.private_seg_size, 0
	.set _Z6kernelI27subtract_right_partial_tileLj256ELj1ELb1EJPxPiS1_jEEvDpT3_.uses_vcc, 0
	.set _Z6kernelI27subtract_right_partial_tileLj256ELj1ELb1EJPxPiS1_jEEvDpT3_.uses_flat_scratch, 0
	.set _Z6kernelI27subtract_right_partial_tileLj256ELj1ELb1EJPxPiS1_jEEvDpT3_.has_dyn_sized_stack, 0
	.set _Z6kernelI27subtract_right_partial_tileLj256ELj1ELb1EJPxPiS1_jEEvDpT3_.has_recursion, 0
	.set _Z6kernelI27subtract_right_partial_tileLj256ELj1ELb1EJPxPiS1_jEEvDpT3_.has_indirect_call, 0
	.section	.AMDGPU.csdata,"",@progbits
; Kernel info:
; codeLenInByte = 364
; TotalNumSgprs: 13
; NumVgprs: 7
; ScratchSize: 0
; MemoryBound: 0
; FloatMode: 240
; IeeeMode: 1
; LDSByteSize: 4096 bytes/workgroup (compile time only)
; SGPRBlocks: 0
; VGPRBlocks: 0
; NumSGPRsForWavesPerEU: 13
; NumVGPRsForWavesPerEU: 7
; NamedBarCnt: 0
; Occupancy: 16
; WaveLimiterHint : 0
; COMPUTE_PGM_RSRC2:SCRATCH_EN: 0
; COMPUTE_PGM_RSRC2:USER_SGPR: 2
; COMPUTE_PGM_RSRC2:TRAP_HANDLER: 0
; COMPUTE_PGM_RSRC2:TGID_X_EN: 1
; COMPUTE_PGM_RSRC2:TGID_Y_EN: 0
; COMPUTE_PGM_RSRC2:TGID_Z_EN: 0
; COMPUTE_PGM_RSRC2:TIDIG_COMP_CNT: 0
	.section	.text._Z6kernelI27subtract_right_partial_tileLj256ELj3ELb1EJPxPiS1_jEEvDpT3_,"axG",@progbits,_Z6kernelI27subtract_right_partial_tileLj256ELj3ELb1EJPxPiS1_jEEvDpT3_,comdat
	.protected	_Z6kernelI27subtract_right_partial_tileLj256ELj3ELb1EJPxPiS1_jEEvDpT3_ ; -- Begin function _Z6kernelI27subtract_right_partial_tileLj256ELj3ELb1EJPxPiS1_jEEvDpT3_
	.globl	_Z6kernelI27subtract_right_partial_tileLj256ELj3ELb1EJPxPiS1_jEEvDpT3_
	.p2align	8
	.type	_Z6kernelI27subtract_right_partial_tileLj256ELj3ELb1EJPxPiS1_jEEvDpT3_,@function
_Z6kernelI27subtract_right_partial_tileLj256ELj3ELb1EJPxPiS1_jEEvDpT3_: ; @_Z6kernelI27subtract_right_partial_tileLj256ELj3ELb1EJPxPiS1_jEEvDpT3_
; %bb.0:
	s_load_b128 s[8:11], s[0:1], 0x0
	s_bfe_u32 s2, ttmp6, 0x4000c
	s_and_b32 s3, ttmp6, 15
	s_add_co_i32 s2, s2, 1
	s_getreg_b32 s4, hwreg(HW_REG_IB_STS2, 6, 4)
	s_mul_i32 s2, ttmp9, s2
	v_mad_u32_u24 v10, v0, 3, 1
	s_add_co_i32 s3, s3, s2
	s_cmp_eq_u32 s4, 0
	v_mad_u32_u24 v11, v0, 3, 2
	s_cselect_b32 s12, ttmp9, s3
	s_mov_b32 s3, 0
	s_mul_i32 s2, s12, 0x300
	v_mad_u32_u24 v12, v0, 3, 3
	s_lshl_b64 s[4:5], s[2:3], 3
	s_wait_xcnt 0x0
	s_load_b96 s[0:2], s[0:1], 0x10
	s_wait_kmcnt 0x0
	s_add_nc_u64 s[6:7], s[8:9], s[4:5]
	s_clause 0x2
	global_load_b64 v[2:3], v0, s[6:7] scale_offset
	global_load_b64 v[4:5], v0, s[6:7] offset:2048 scale_offset
	global_load_b64 v[6:7], v0, s[6:7] offset:4096 scale_offset
	s_cvt_f32_u32 s3, s2
	s_wait_xcnt 0x0
	s_sub_co_i32 s6, 0, s2
	s_delay_alu instid0(SALU_CYCLE_1) | instskip(SKIP_1) | instid1(TRANS32_DEP_1)
	v_rcp_iflag_f32_e32 v1, s3
	v_nop
	v_readfirstlane_b32 s3, v1
	v_lshlrev_b32_e32 v1, 3, v0
	s_mul_f32 s3, s3, 0x4f7ffffe
	s_delay_alu instid0(SALU_CYCLE_3) | instskip(NEXT) | instid1(SALU_CYCLE_3)
	s_cvt_u32_f32 s3, s3
	s_mul_i32 s6, s6, s3
	s_delay_alu instid0(SALU_CYCLE_1) | instskip(NEXT) | instid1(SALU_CYCLE_1)
	s_mul_hi_u32 s6, s3, s6
	s_add_co_i32 s3, s3, s6
	s_delay_alu instid0(SALU_CYCLE_1)
	s_mul_hi_u32 s7, s3, 0x300
	s_load_b32 s3, s[10:11], s12 offset:0x0 scale_offset
	s_mul_i32 s6, s7, s2
	s_add_co_i32 s9, s7, 1
	s_sub_co_i32 s8, 0x300, s6
	s_mov_b32 s6, s0
	s_wait_xcnt 0x0
	s_sub_co_i32 s10, s8, s2
	s_cmp_ge_u32 s8, s2
	s_cselect_b32 s0, s9, s7
	s_cselect_b32 s7, s10, s8
	s_add_co_i32 s8, s0, 1
	s_cmp_ge_u32 s7, s2
	s_mov_b32 s7, s1
	s_cselect_b32 s0, s8, s0
	s_delay_alu instid0(SALU_CYCLE_1)
	s_add_co_i32 s1, s0, 1
	s_branch .LBB229_2
.LBB229_1:                              ;   in Loop: Header=BB229_2 Depth=1
	s_or_b32 exec_lo, exec_lo, s0
	v_cmp_gt_u32_e32 vcc_lo, s3, v10
	v_cmp_gt_u32_e64 s0, s3, v11
	s_add_co_i32 s2, s2, -1
	s_barrier_signal -1
	v_dual_cndmask_b32 v15, 0, v5, vcc_lo :: v_dual_cndmask_b32 v17, 0, v7, s0
	v_dual_cndmask_b32 v14, 0, v4, vcc_lo :: v_dual_cndmask_b32 v16, 0, v6, s0
	s_add_co_i32 s0, s1, s3
	v_add_nc_u64_e32 v[6:7], v[8:9], v[6:7]
	s_mul_hi_u32 s3, s0, 0xaaaaaaab
	s_delay_alu instid0(VALU_DEP_2) | instskip(SKIP_4) | instid1(SALU_CYCLE_1)
	v_sub_nc_u64_e32 v[14:15], v[2:3], v[14:15]
	v_sub_nc_u64_e32 v[16:17], v[4:5], v[16:17]
	s_lshr_b32 s3, s3, 9
	s_barrier_wait -1
	s_mulk_i32 s3, 0x300
	s_sub_co_i32 s3, s0, s3
	s_delay_alu instid0(VALU_DEP_2) | instskip(NEXT) | instid1(VALU_DEP_2)
	v_add_nc_u64_e32 v[2:3], v[14:15], v[2:3]
	v_add_nc_u64_e32 v[4:5], v[16:17], v[4:5]
	s_cmp_lg_u32 s2, 0
	s_cbranch_scc0 .LBB229_4
.LBB229_2:                              ; =>This Inner Loop Header: Depth=1
	s_wait_loadcnt 0x0
	v_mov_b64_e32 v[8:9], v[6:7]
	s_mov_b32 s0, exec_lo
	ds_store_b64 v1, v[2:3] offset:2048
	s_wait_dscnt 0x0
	s_barrier_signal -1
	s_barrier_wait -1
	s_wait_kmcnt 0x0
	v_cmpx_gt_u32_e64 s3, v12
	s_cbranch_execz .LBB229_1
; %bb.3:                                ;   in Loop: Header=BB229_2 Depth=1
	ds_load_b64 v[8:9], v1 offset:2056
	s_wait_dscnt 0x0
	v_sub_nc_u64_e32 v[8:9], v[6:7], v[8:9]
	s_branch .LBB229_1
.LBB229_4:
	s_add_nc_u64 s[0:1], s[6:7], s[4:5]
	s_clause 0x2
	global_store_b64 v0, v[2:3], s[0:1] scale_offset
	global_store_b64 v0, v[4:5], s[0:1] offset:2048 scale_offset
	global_store_b64 v0, v[6:7], s[0:1] offset:4096 scale_offset
	s_endpgm
	.section	.rodata,"a",@progbits
	.p2align	6, 0x0
	.amdhsa_kernel _Z6kernelI27subtract_right_partial_tileLj256ELj3ELb1EJPxPiS1_jEEvDpT3_
		.amdhsa_group_segment_fixed_size 4096
		.amdhsa_private_segment_fixed_size 0
		.amdhsa_kernarg_size 28
		.amdhsa_user_sgpr_count 2
		.amdhsa_user_sgpr_dispatch_ptr 0
		.amdhsa_user_sgpr_queue_ptr 0
		.amdhsa_user_sgpr_kernarg_segment_ptr 1
		.amdhsa_user_sgpr_dispatch_id 0
		.amdhsa_user_sgpr_kernarg_preload_length 0
		.amdhsa_user_sgpr_kernarg_preload_offset 0
		.amdhsa_user_sgpr_private_segment_size 0
		.amdhsa_wavefront_size32 1
		.amdhsa_uses_dynamic_stack 0
		.amdhsa_enable_private_segment 0
		.amdhsa_system_sgpr_workgroup_id_x 1
		.amdhsa_system_sgpr_workgroup_id_y 0
		.amdhsa_system_sgpr_workgroup_id_z 0
		.amdhsa_system_sgpr_workgroup_info 0
		.amdhsa_system_vgpr_workitem_id 0
		.amdhsa_next_free_vgpr 18
		.amdhsa_next_free_sgpr 13
		.amdhsa_named_barrier_count 0
		.amdhsa_reserve_vcc 1
		.amdhsa_float_round_mode_32 0
		.amdhsa_float_round_mode_16_64 0
		.amdhsa_float_denorm_mode_32 3
		.amdhsa_float_denorm_mode_16_64 3
		.amdhsa_fp16_overflow 0
		.amdhsa_memory_ordered 1
		.amdhsa_forward_progress 1
		.amdhsa_inst_pref_size 5
		.amdhsa_round_robin_scheduling 0
		.amdhsa_exception_fp_ieee_invalid_op 0
		.amdhsa_exception_fp_denorm_src 0
		.amdhsa_exception_fp_ieee_div_zero 0
		.amdhsa_exception_fp_ieee_overflow 0
		.amdhsa_exception_fp_ieee_underflow 0
		.amdhsa_exception_fp_ieee_inexact 0
		.amdhsa_exception_int_div_zero 0
	.end_amdhsa_kernel
	.section	.text._Z6kernelI27subtract_right_partial_tileLj256ELj3ELb1EJPxPiS1_jEEvDpT3_,"axG",@progbits,_Z6kernelI27subtract_right_partial_tileLj256ELj3ELb1EJPxPiS1_jEEvDpT3_,comdat
.Lfunc_end229:
	.size	_Z6kernelI27subtract_right_partial_tileLj256ELj3ELb1EJPxPiS1_jEEvDpT3_, .Lfunc_end229-_Z6kernelI27subtract_right_partial_tileLj256ELj3ELb1EJPxPiS1_jEEvDpT3_
                                        ; -- End function
	.set _Z6kernelI27subtract_right_partial_tileLj256ELj3ELb1EJPxPiS1_jEEvDpT3_.num_vgpr, 18
	.set _Z6kernelI27subtract_right_partial_tileLj256ELj3ELb1EJPxPiS1_jEEvDpT3_.num_agpr, 0
	.set _Z6kernelI27subtract_right_partial_tileLj256ELj3ELb1EJPxPiS1_jEEvDpT3_.numbered_sgpr, 13
	.set _Z6kernelI27subtract_right_partial_tileLj256ELj3ELb1EJPxPiS1_jEEvDpT3_.num_named_barrier, 0
	.set _Z6kernelI27subtract_right_partial_tileLj256ELj3ELb1EJPxPiS1_jEEvDpT3_.private_seg_size, 0
	.set _Z6kernelI27subtract_right_partial_tileLj256ELj3ELb1EJPxPiS1_jEEvDpT3_.uses_vcc, 1
	.set _Z6kernelI27subtract_right_partial_tileLj256ELj3ELb1EJPxPiS1_jEEvDpT3_.uses_flat_scratch, 0
	.set _Z6kernelI27subtract_right_partial_tileLj256ELj3ELb1EJPxPiS1_jEEvDpT3_.has_dyn_sized_stack, 0
	.set _Z6kernelI27subtract_right_partial_tileLj256ELj3ELb1EJPxPiS1_jEEvDpT3_.has_recursion, 0
	.set _Z6kernelI27subtract_right_partial_tileLj256ELj3ELb1EJPxPiS1_jEEvDpT3_.has_indirect_call, 0
	.section	.AMDGPU.csdata,"",@progbits
; Kernel info:
; codeLenInByte = 524
; TotalNumSgprs: 15
; NumVgprs: 18
; ScratchSize: 0
; MemoryBound: 0
; FloatMode: 240
; IeeeMode: 1
; LDSByteSize: 4096 bytes/workgroup (compile time only)
; SGPRBlocks: 0
; VGPRBlocks: 1
; NumSGPRsForWavesPerEU: 15
; NumVGPRsForWavesPerEU: 18
; NamedBarCnt: 0
; Occupancy: 16
; WaveLimiterHint : 1
; COMPUTE_PGM_RSRC2:SCRATCH_EN: 0
; COMPUTE_PGM_RSRC2:USER_SGPR: 2
; COMPUTE_PGM_RSRC2:TRAP_HANDLER: 0
; COMPUTE_PGM_RSRC2:TGID_X_EN: 1
; COMPUTE_PGM_RSRC2:TGID_Y_EN: 0
; COMPUTE_PGM_RSRC2:TGID_Z_EN: 0
; COMPUTE_PGM_RSRC2:TIDIG_COMP_CNT: 0
	.section	.text._Z6kernelI27subtract_right_partial_tileLj256ELj4ELb1EJPxPiS1_jEEvDpT3_,"axG",@progbits,_Z6kernelI27subtract_right_partial_tileLj256ELj4ELb1EJPxPiS1_jEEvDpT3_,comdat
	.protected	_Z6kernelI27subtract_right_partial_tileLj256ELj4ELb1EJPxPiS1_jEEvDpT3_ ; -- Begin function _Z6kernelI27subtract_right_partial_tileLj256ELj4ELb1EJPxPiS1_jEEvDpT3_
	.globl	_Z6kernelI27subtract_right_partial_tileLj256ELj4ELb1EJPxPiS1_jEEvDpT3_
	.p2align	8
	.type	_Z6kernelI27subtract_right_partial_tileLj256ELj4ELb1EJPxPiS1_jEEvDpT3_,@function
_Z6kernelI27subtract_right_partial_tileLj256ELj4ELb1EJPxPiS1_jEEvDpT3_: ; @_Z6kernelI27subtract_right_partial_tileLj256ELj4ELb1EJPxPiS1_jEEvDpT3_
; %bb.0:
	s_load_b128 s[8:11], s[0:1], 0x0
	s_bfe_u32 s2, ttmp6, 0x4000c
	s_and_b32 s3, ttmp6, 15
	s_add_co_i32 s2, s2, 1
	s_getreg_b32 s4, hwreg(HW_REG_IB_STS2, 6, 4)
	s_mul_i32 s2, ttmp9, s2
	v_lshlrev_b32_e32 v10, 2, v0
	s_add_co_i32 s3, s3, s2
	s_cmp_eq_u32 s4, 0
	s_cselect_b32 s12, ttmp9, s3
	s_mov_b32 s3, 0
	s_lshl_b32 s2, s12, 10
	s_delay_alu instid0(SALU_CYCLE_1)
	s_lshl_b64 s[4:5], s[2:3], 3
	s_wait_xcnt 0x0
	s_load_b96 s[0:2], s[0:1], 0x10
	s_wait_kmcnt 0x0
	s_add_nc_u64 s[6:7], s[8:9], s[4:5]
	s_clause 0x3
	global_load_b64 v[2:3], v0, s[6:7] scale_offset
	global_load_b64 v[4:5], v0, s[6:7] offset:2048 scale_offset
	global_load_b64 v[6:7], v0, s[6:7] offset:4096 scale_offset
	;; [unrolled: 1-line block ×3, first 2 shown]
	s_cvt_f32_u32 s3, s2
	s_wait_xcnt 0x0
	s_sub_co_i32 s6, 0, s2
	s_delay_alu instid0(SALU_CYCLE_1) | instskip(SKIP_1) | instid1(TRANS32_DEP_1)
	v_rcp_iflag_f32_e32 v1, s3
	v_nop
	v_readfirstlane_b32 s3, v1
	v_dual_lshlrev_b32 v1, 3, v0 :: v_dual_bitop2_b32 v12, 1, v10 bitop3:0x54
	v_dual_add_nc_u32 v15, 4, v10 :: v_dual_bitop2_b32 v13, 2, v10 bitop3:0x54
	s_mul_f32 s3, s3, 0x4f7ffffe
	v_or_b32_e32 v14, 3, v10
	s_delay_alu instid0(SALU_CYCLE_2) | instskip(NEXT) | instid1(SALU_CYCLE_3)
	s_cvt_u32_f32 s3, s3
	s_mul_i32 s6, s6, s3
	s_delay_alu instid0(SALU_CYCLE_1) | instskip(NEXT) | instid1(SALU_CYCLE_1)
	s_mul_hi_u32 s6, s3, s6
	s_add_co_i32 s3, s3, s6
	s_delay_alu instid0(SALU_CYCLE_1)
	s_lshr_b32 s7, s3, 22
	s_load_b32 s3, s[10:11], s12 offset:0x0 scale_offset
	s_mul_i32 s6, s7, s2
	s_add_co_i32 s9, s7, 1
	s_sub_co_i32 s8, 0x400, s6
	s_mov_b32 s6, s0
	s_wait_xcnt 0x0
	s_sub_co_i32 s10, s8, s2
	s_cmp_ge_u32 s8, s2
	s_cselect_b32 s0, s9, s7
	s_cselect_b32 s7, s10, s8
	s_add_co_i32 s8, s0, 1
	s_cmp_ge_u32 s7, s2
	s_mov_b32 s7, s1
	s_cselect_b32 s8, s8, s0
	s_delay_alu instid0(SALU_CYCLE_1)
	s_add_co_i32 s8, s8, 1
	s_branch .LBB230_2
.LBB230_1:                              ;   in Loop: Header=BB230_2 Depth=1
	s_or_b32 exec_lo, exec_lo, s0
	v_cmp_gt_u32_e32 vcc_lo, s3, v12
	v_cmp_gt_u32_e64 s0, s3, v13
	v_cmp_gt_u32_e64 s1, s3, v14
	s_add_co_i32 s2, s2, -1
	v_dual_cndmask_b32 v17, 0, v5, vcc_lo :: v_dual_cndmask_b32 v19, 0, v7, s0
	v_dual_cndmask_b32 v16, 0, v4, vcc_lo :: v_dual_cndmask_b32 v18, 0, v6, s0
	v_dual_cndmask_b32 v21, 0, v9, s1 :: v_dual_cndmask_b32 v20, 0, v8, s1
	v_add_nc_u64_e32 v[8:9], v[10:11], v[8:9]
	s_delay_alu instid0(VALU_DEP_3) | instskip(NEXT) | instid1(VALU_DEP_4)
	v_sub_nc_u64_e32 v[16:17], v[2:3], v[16:17]
	v_sub_nc_u64_e32 v[18:19], v[4:5], v[18:19]
	s_add_co_i32 s0, s8, s3
	v_sub_nc_u64_e32 v[20:21], v[6:7], v[20:21]
	s_and_b32 s3, s0, 0x3ff
	s_cmp_lg_u32 s2, 0
	s_barrier_signal -1
	v_add_nc_u64_e32 v[2:3], v[16:17], v[2:3]
	v_add_nc_u64_e32 v[4:5], v[18:19], v[4:5]
	s_barrier_wait -1
	v_add_nc_u64_e32 v[6:7], v[20:21], v[6:7]
	s_cbranch_scc0 .LBB230_4
.LBB230_2:                              ; =>This Inner Loop Header: Depth=1
	s_wait_loadcnt 0x0
	v_mov_b64_e32 v[10:11], v[8:9]
	s_mov_b32 s0, exec_lo
	ds_store_b64 v1, v[2:3] offset:2048
	s_wait_dscnt 0x0
	s_barrier_signal -1
	s_barrier_wait -1
	s_wait_kmcnt 0x0
	v_cmpx_gt_u32_e64 s3, v15
	s_cbranch_execz .LBB230_1
; %bb.3:                                ;   in Loop: Header=BB230_2 Depth=1
	ds_load_b64 v[10:11], v1 offset:2056
	s_wait_dscnt 0x0
	v_sub_nc_u64_e32 v[10:11], v[8:9], v[10:11]
	s_branch .LBB230_1
.LBB230_4:
	s_add_nc_u64 s[0:1], s[6:7], s[4:5]
	s_clause 0x3
	global_store_b64 v0, v[2:3], s[0:1] scale_offset
	global_store_b64 v0, v[4:5], s[0:1] offset:2048 scale_offset
	global_store_b64 v0, v[6:7], s[0:1] offset:4096 scale_offset
	;; [unrolled: 1-line block ×3, first 2 shown]
	s_endpgm
	.section	.rodata,"a",@progbits
	.p2align	6, 0x0
	.amdhsa_kernel _Z6kernelI27subtract_right_partial_tileLj256ELj4ELb1EJPxPiS1_jEEvDpT3_
		.amdhsa_group_segment_fixed_size 4096
		.amdhsa_private_segment_fixed_size 0
		.amdhsa_kernarg_size 28
		.amdhsa_user_sgpr_count 2
		.amdhsa_user_sgpr_dispatch_ptr 0
		.amdhsa_user_sgpr_queue_ptr 0
		.amdhsa_user_sgpr_kernarg_segment_ptr 1
		.amdhsa_user_sgpr_dispatch_id 0
		.amdhsa_user_sgpr_kernarg_preload_length 0
		.amdhsa_user_sgpr_kernarg_preload_offset 0
		.amdhsa_user_sgpr_private_segment_size 0
		.amdhsa_wavefront_size32 1
		.amdhsa_uses_dynamic_stack 0
		.amdhsa_enable_private_segment 0
		.amdhsa_system_sgpr_workgroup_id_x 1
		.amdhsa_system_sgpr_workgroup_id_y 0
		.amdhsa_system_sgpr_workgroup_id_z 0
		.amdhsa_system_sgpr_workgroup_info 0
		.amdhsa_system_vgpr_workitem_id 0
		.amdhsa_next_free_vgpr 22
		.amdhsa_next_free_sgpr 13
		.amdhsa_named_barrier_count 0
		.amdhsa_reserve_vcc 1
		.amdhsa_float_round_mode_32 0
		.amdhsa_float_round_mode_16_64 0
		.amdhsa_float_denorm_mode_32 3
		.amdhsa_float_denorm_mode_16_64 3
		.amdhsa_fp16_overflow 0
		.amdhsa_memory_ordered 1
		.amdhsa_forward_progress 1
		.amdhsa_inst_pref_size 5
		.amdhsa_round_robin_scheduling 0
		.amdhsa_exception_fp_ieee_invalid_op 0
		.amdhsa_exception_fp_denorm_src 0
		.amdhsa_exception_fp_ieee_div_zero 0
		.amdhsa_exception_fp_ieee_overflow 0
		.amdhsa_exception_fp_ieee_underflow 0
		.amdhsa_exception_fp_ieee_inexact 0
		.amdhsa_exception_int_div_zero 0
	.end_amdhsa_kernel
	.section	.text._Z6kernelI27subtract_right_partial_tileLj256ELj4ELb1EJPxPiS1_jEEvDpT3_,"axG",@progbits,_Z6kernelI27subtract_right_partial_tileLj256ELj4ELb1EJPxPiS1_jEEvDpT3_,comdat
.Lfunc_end230:
	.size	_Z6kernelI27subtract_right_partial_tileLj256ELj4ELb1EJPxPiS1_jEEvDpT3_, .Lfunc_end230-_Z6kernelI27subtract_right_partial_tileLj256ELj4ELb1EJPxPiS1_jEEvDpT3_
                                        ; -- End function
	.set _Z6kernelI27subtract_right_partial_tileLj256ELj4ELb1EJPxPiS1_jEEvDpT3_.num_vgpr, 22
	.set _Z6kernelI27subtract_right_partial_tileLj256ELj4ELb1EJPxPiS1_jEEvDpT3_.num_agpr, 0
	.set _Z6kernelI27subtract_right_partial_tileLj256ELj4ELb1EJPxPiS1_jEEvDpT3_.numbered_sgpr, 13
	.set _Z6kernelI27subtract_right_partial_tileLj256ELj4ELb1EJPxPiS1_jEEvDpT3_.num_named_barrier, 0
	.set _Z6kernelI27subtract_right_partial_tileLj256ELj4ELb1EJPxPiS1_jEEvDpT3_.private_seg_size, 0
	.set _Z6kernelI27subtract_right_partial_tileLj256ELj4ELb1EJPxPiS1_jEEvDpT3_.uses_vcc, 1
	.set _Z6kernelI27subtract_right_partial_tileLj256ELj4ELb1EJPxPiS1_jEEvDpT3_.uses_flat_scratch, 0
	.set _Z6kernelI27subtract_right_partial_tileLj256ELj4ELb1EJPxPiS1_jEEvDpT3_.has_dyn_sized_stack, 0
	.set _Z6kernelI27subtract_right_partial_tileLj256ELj4ELb1EJPxPiS1_jEEvDpT3_.has_recursion, 0
	.set _Z6kernelI27subtract_right_partial_tileLj256ELj4ELb1EJPxPiS1_jEEvDpT3_.has_indirect_call, 0
	.section	.AMDGPU.csdata,"",@progbits
; Kernel info:
; codeLenInByte = 560
; TotalNumSgprs: 15
; NumVgprs: 22
; ScratchSize: 0
; MemoryBound: 0
; FloatMode: 240
; IeeeMode: 1
; LDSByteSize: 4096 bytes/workgroup (compile time only)
; SGPRBlocks: 0
; VGPRBlocks: 1
; NumSGPRsForWavesPerEU: 15
; NumVGPRsForWavesPerEU: 22
; NamedBarCnt: 0
; Occupancy: 16
; WaveLimiterHint : 1
; COMPUTE_PGM_RSRC2:SCRATCH_EN: 0
; COMPUTE_PGM_RSRC2:USER_SGPR: 2
; COMPUTE_PGM_RSRC2:TRAP_HANDLER: 0
; COMPUTE_PGM_RSRC2:TGID_X_EN: 1
; COMPUTE_PGM_RSRC2:TGID_Y_EN: 0
; COMPUTE_PGM_RSRC2:TGID_Z_EN: 0
; COMPUTE_PGM_RSRC2:TIDIG_COMP_CNT: 0
	.section	.text._Z6kernelI27subtract_right_partial_tileLj256ELj8ELb1EJPxPiS1_jEEvDpT3_,"axG",@progbits,_Z6kernelI27subtract_right_partial_tileLj256ELj8ELb1EJPxPiS1_jEEvDpT3_,comdat
	.protected	_Z6kernelI27subtract_right_partial_tileLj256ELj8ELb1EJPxPiS1_jEEvDpT3_ ; -- Begin function _Z6kernelI27subtract_right_partial_tileLj256ELj8ELb1EJPxPiS1_jEEvDpT3_
	.globl	_Z6kernelI27subtract_right_partial_tileLj256ELj8ELb1EJPxPiS1_jEEvDpT3_
	.p2align	8
	.type	_Z6kernelI27subtract_right_partial_tileLj256ELj8ELb1EJPxPiS1_jEEvDpT3_,@function
_Z6kernelI27subtract_right_partial_tileLj256ELj8ELb1EJPxPiS1_jEEvDpT3_: ; @_Z6kernelI27subtract_right_partial_tileLj256ELj8ELb1EJPxPiS1_jEEvDpT3_
; %bb.0:
	s_load_b128 s[4:7], s[0:1], 0x0
	s_bfe_u32 s2, ttmp6, 0x4000c
	s_and_b32 s3, ttmp6, 15
	s_add_co_i32 s2, s2, 1
	s_getreg_b32 s8, hwreg(HW_REG_IB_STS2, 6, 4)
	s_mul_i32 s2, ttmp9, s2
	s_delay_alu instid0(SALU_CYCLE_1) | instskip(SKIP_4) | instid1(SALU_CYCLE_1)
	s_add_co_i32 s3, s3, s2
	s_cmp_eq_u32 s8, 0
	s_cselect_b32 s10, ttmp9, s3
	s_mov_b32 s3, 0
	s_lshl_b32 s2, s10, 11
	s_lshl_b64 s[8:9], s[2:3], 3
	s_wait_xcnt 0x0
	s_load_b96 s[0:2], s[0:1], 0x10
	s_wait_kmcnt 0x0
	s_add_nc_u64 s[4:5], s[4:5], s[8:9]
	s_clause 0x7
	global_load_b64 v[16:17], v0, s[4:5] scale_offset
	global_load_b64 v[14:15], v0, s[4:5] offset:2048 scale_offset
	global_load_b64 v[12:13], v0, s[4:5] offset:4096 scale_offset
	;; [unrolled: 1-line block ×7, first 2 shown]
	s_cvt_f32_u32 s3, s2
	s_wait_xcnt 0x0
	s_sub_co_i32 s4, 0, s2
	s_delay_alu instid0(SALU_CYCLE_1) | instskip(SKIP_1) | instid1(TRANS32_DEP_1)
	v_rcp_iflag_f32_e32 v1, s3
	v_nop
	v_readfirstlane_b32 s3, v1
	v_lshlrev_b32_e32 v1, 3, v0
	s_mul_f32 s3, s3, 0x4f7ffffe
	s_delay_alu instid0(VALU_DEP_1) | instskip(SKIP_1) | instid1(SALU_CYCLE_1)
	v_dual_add_nc_u32 v27, 8, v1 :: v_dual_bitop2_b32 v20, 1, v1 bitop3:0x54
	v_or_b32_e32 v21, 2, v1
	s_cvt_u32_f32 s3, s3
	v_or_b32_e32 v22, 3, v1
	v_or_b32_e32 v23, 4, v1
	;; [unrolled: 1-line block ×3, first 2 shown]
	s_mul_i32 s4, s4, s3
	v_or_b32_e32 v25, 6, v1
	s_mul_hi_u32 s4, s3, s4
	v_or_b32_e32 v26, 7, v1
	s_add_co_i32 s3, s3, s4
	s_mov_b32 s4, s0
	s_lshr_b32 s5, s3, 21
	s_load_b32 s3, s[6:7], s10 offset:0x0 scale_offset
	s_mul_i32 s0, s5, s2
	s_wait_xcnt 0x0
	s_add_co_i32 s6, s5, 1
	s_sub_co_i32 s0, 0x800, s0
	s_delay_alu instid0(SALU_CYCLE_1)
	s_sub_co_i32 s7, s0, s2
	s_cmp_ge_u32 s0, s2
	s_cselect_b32 s5, s6, s5
	s_cselect_b32 s0, s7, s0
	s_add_co_i32 s6, s5, 1
	s_cmp_ge_u32 s0, s2
	s_cselect_b32 s6, s6, s5
	s_mov_b32 s5, s1
	s_add_co_i32 s6, s6, 1
	s_branch .LBB231_2
.LBB231_1:                              ;   in Loop: Header=BB231_2 Depth=1
	s_or_b32 exec_lo, exec_lo, s0
	v_cmp_gt_u32_e32 vcc_lo, s3, v20
	v_cmp_gt_u32_e64 s0, s3, v21
	v_cmp_gt_u32_e64 s1, s3, v26
	s_add_co_i32 s2, s2, -1
	v_dual_cndmask_b32 v29, 0, v15, vcc_lo :: v_dual_cndmask_b32 v31, 0, v13, s0
	v_dual_cndmask_b32 v28, 0, v14, vcc_lo :: v_dual_cndmask_b32 v30, 0, v12, s0
	v_cmp_gt_u32_e32 vcc_lo, s3, v22
	v_cmp_gt_u32_e64 s0, s3, v23
	v_dual_cndmask_b32 v41, 0, v3, s1 :: v_dual_cndmask_b32 v40, 0, v2, s1
	s_delay_alu instid0(VALU_DEP_4) | instskip(SKIP_1) | instid1(VALU_DEP_4)
	v_sub_nc_u64_e32 v[28:29], v[16:17], v[28:29]
	v_dual_cndmask_b32 v33, 0, v11 :: v_dual_cndmask_b32 v32, 0, v10
	v_dual_cndmask_b32 v35, 0, v9, s0 :: v_dual_cndmask_b32 v34, 0, v8, s0
	v_cmp_gt_u32_e32 vcc_lo, s3, v24
	v_cmp_gt_u32_e64 s0, s3, v25
	v_sub_nc_u64_e32 v[30:31], v[14:15], v[30:31]
	v_sub_nc_u64_e32 v[32:33], v[12:13], v[32:33]
	;; [unrolled: 1-line block ×3, first 2 shown]
	v_dual_cndmask_b32 v37, 0, v7 :: v_dual_cndmask_b32 v36, 0, v6
	v_dual_cndmask_b32 v39, 0, v5, s0 :: v_dual_cndmask_b32 v38, 0, v4, s0
	v_sub_nc_u64_e32 v[40:41], v[4:5], v[40:41]
	v_add_nc_u64_e32 v[16:17], v[28:29], v[16:17]
	s_delay_alu instid0(VALU_DEP_4)
	v_sub_nc_u64_e32 v[36:37], v[8:9], v[36:37]
	v_add_nc_u64_e32 v[14:15], v[30:31], v[14:15]
	v_sub_nc_u64_e32 v[38:39], v[6:7], v[38:39]
	v_add_nc_u64_e32 v[12:13], v[32:33], v[12:13]
	v_add_nc_u64_e32 v[10:11], v[34:35], v[10:11]
	v_add_nc_u64_e32 v[4:5], v[40:41], v[4:5]
	v_add_nc_u64_e32 v[2:3], v[18:19], v[2:3]
	v_add_nc_u64_e32 v[8:9], v[36:37], v[8:9]
	s_add_co_i32 s0, s6, s3
	v_add_nc_u64_e32 v[6:7], v[38:39], v[6:7]
	s_and_b32 s3, s0, 0x7ff
	s_cmp_lg_u32 s2, 0
	s_barrier_signal -1
	s_barrier_wait -1
	s_cbranch_scc0 .LBB231_4
.LBB231_2:                              ; =>This Inner Loop Header: Depth=1
	s_wait_loadcnt 0x0
	v_mov_b64_e32 v[18:19], v[2:3]
	s_mov_b32 s0, exec_lo
	ds_store_b64 v1, v[16:17] offset:2048
	s_wait_dscnt 0x0
	s_barrier_signal -1
	s_barrier_wait -1
	s_wait_kmcnt 0x0
	v_cmpx_gt_u32_e64 s3, v27
	s_cbranch_execz .LBB231_1
; %bb.3:                                ;   in Loop: Header=BB231_2 Depth=1
	ds_load_b64 v[18:19], v1 offset:2056
	s_wait_dscnt 0x0
	v_sub_nc_u64_e32 v[18:19], v[2:3], v[18:19]
	s_branch .LBB231_1
.LBB231_4:
	s_add_nc_u64 s[0:1], s[4:5], s[8:9]
	s_clause 0x7
	global_store_b64 v0, v[16:17], s[0:1] scale_offset
	global_store_b64 v0, v[14:15], s[0:1] offset:2048 scale_offset
	global_store_b64 v0, v[12:13], s[0:1] offset:4096 scale_offset
	;; [unrolled: 1-line block ×7, first 2 shown]
	s_endpgm
	.section	.rodata,"a",@progbits
	.p2align	6, 0x0
	.amdhsa_kernel _Z6kernelI27subtract_right_partial_tileLj256ELj8ELb1EJPxPiS1_jEEvDpT3_
		.amdhsa_group_segment_fixed_size 4096
		.amdhsa_private_segment_fixed_size 0
		.amdhsa_kernarg_size 28
		.amdhsa_user_sgpr_count 2
		.amdhsa_user_sgpr_dispatch_ptr 0
		.amdhsa_user_sgpr_queue_ptr 0
		.amdhsa_user_sgpr_kernarg_segment_ptr 1
		.amdhsa_user_sgpr_dispatch_id 0
		.amdhsa_user_sgpr_kernarg_preload_length 0
		.amdhsa_user_sgpr_kernarg_preload_offset 0
		.amdhsa_user_sgpr_private_segment_size 0
		.amdhsa_wavefront_size32 1
		.amdhsa_uses_dynamic_stack 0
		.amdhsa_enable_private_segment 0
		.amdhsa_system_sgpr_workgroup_id_x 1
		.amdhsa_system_sgpr_workgroup_id_y 0
		.amdhsa_system_sgpr_workgroup_id_z 0
		.amdhsa_system_sgpr_workgroup_info 0
		.amdhsa_system_vgpr_workitem_id 0
		.amdhsa_next_free_vgpr 42
		.amdhsa_next_free_sgpr 11
		.amdhsa_named_barrier_count 0
		.amdhsa_reserve_vcc 1
		.amdhsa_float_round_mode_32 0
		.amdhsa_float_round_mode_16_64 0
		.amdhsa_float_denorm_mode_32 3
		.amdhsa_float_denorm_mode_16_64 3
		.amdhsa_fp16_overflow 0
		.amdhsa_memory_ordered 1
		.amdhsa_forward_progress 1
		.amdhsa_inst_pref_size 6
		.amdhsa_round_robin_scheduling 0
		.amdhsa_exception_fp_ieee_invalid_op 0
		.amdhsa_exception_fp_denorm_src 0
		.amdhsa_exception_fp_ieee_div_zero 0
		.amdhsa_exception_fp_ieee_overflow 0
		.amdhsa_exception_fp_ieee_underflow 0
		.amdhsa_exception_fp_ieee_inexact 0
		.amdhsa_exception_int_div_zero 0
	.end_amdhsa_kernel
	.section	.text._Z6kernelI27subtract_right_partial_tileLj256ELj8ELb1EJPxPiS1_jEEvDpT3_,"axG",@progbits,_Z6kernelI27subtract_right_partial_tileLj256ELj8ELb1EJPxPiS1_jEEvDpT3_,comdat
.Lfunc_end231:
	.size	_Z6kernelI27subtract_right_partial_tileLj256ELj8ELb1EJPxPiS1_jEEvDpT3_, .Lfunc_end231-_Z6kernelI27subtract_right_partial_tileLj256ELj8ELb1EJPxPiS1_jEEvDpT3_
                                        ; -- End function
	.set _Z6kernelI27subtract_right_partial_tileLj256ELj8ELb1EJPxPiS1_jEEvDpT3_.num_vgpr, 42
	.set _Z6kernelI27subtract_right_partial_tileLj256ELj8ELb1EJPxPiS1_jEEvDpT3_.num_agpr, 0
	.set _Z6kernelI27subtract_right_partial_tileLj256ELj8ELb1EJPxPiS1_jEEvDpT3_.numbered_sgpr, 11
	.set _Z6kernelI27subtract_right_partial_tileLj256ELj8ELb1EJPxPiS1_jEEvDpT3_.num_named_barrier, 0
	.set _Z6kernelI27subtract_right_partial_tileLj256ELj8ELb1EJPxPiS1_jEEvDpT3_.private_seg_size, 0
	.set _Z6kernelI27subtract_right_partial_tileLj256ELj8ELb1EJPxPiS1_jEEvDpT3_.uses_vcc, 1
	.set _Z6kernelI27subtract_right_partial_tileLj256ELj8ELb1EJPxPiS1_jEEvDpT3_.uses_flat_scratch, 0
	.set _Z6kernelI27subtract_right_partial_tileLj256ELj8ELb1EJPxPiS1_jEEvDpT3_.has_dyn_sized_stack, 0
	.set _Z6kernelI27subtract_right_partial_tileLj256ELj8ELb1EJPxPiS1_jEEvDpT3_.has_recursion, 0
	.set _Z6kernelI27subtract_right_partial_tileLj256ELj8ELb1EJPxPiS1_jEEvDpT3_.has_indirect_call, 0
	.section	.AMDGPU.csdata,"",@progbits
; Kernel info:
; codeLenInByte = 756
; TotalNumSgprs: 13
; NumVgprs: 42
; ScratchSize: 0
; MemoryBound: 0
; FloatMode: 240
; IeeeMode: 1
; LDSByteSize: 4096 bytes/workgroup (compile time only)
; SGPRBlocks: 0
; VGPRBlocks: 2
; NumSGPRsForWavesPerEU: 13
; NumVGPRsForWavesPerEU: 42
; NamedBarCnt: 0
; Occupancy: 16
; WaveLimiterHint : 1
; COMPUTE_PGM_RSRC2:SCRATCH_EN: 0
; COMPUTE_PGM_RSRC2:USER_SGPR: 2
; COMPUTE_PGM_RSRC2:TRAP_HANDLER: 0
; COMPUTE_PGM_RSRC2:TGID_X_EN: 1
; COMPUTE_PGM_RSRC2:TGID_Y_EN: 0
; COMPUTE_PGM_RSRC2:TGID_Z_EN: 0
; COMPUTE_PGM_RSRC2:TIDIG_COMP_CNT: 0
	.section	.text._Z6kernelI27subtract_right_partial_tileLj256ELj16ELb1EJPxPiS1_jEEvDpT3_,"axG",@progbits,_Z6kernelI27subtract_right_partial_tileLj256ELj16ELb1EJPxPiS1_jEEvDpT3_,comdat
	.protected	_Z6kernelI27subtract_right_partial_tileLj256ELj16ELb1EJPxPiS1_jEEvDpT3_ ; -- Begin function _Z6kernelI27subtract_right_partial_tileLj256ELj16ELb1EJPxPiS1_jEEvDpT3_
	.globl	_Z6kernelI27subtract_right_partial_tileLj256ELj16ELb1EJPxPiS1_jEEvDpT3_
	.p2align	8
	.type	_Z6kernelI27subtract_right_partial_tileLj256ELj16ELb1EJPxPiS1_jEEvDpT3_,@function
_Z6kernelI27subtract_right_partial_tileLj256ELj16ELb1EJPxPiS1_jEEvDpT3_: ; @_Z6kernelI27subtract_right_partial_tileLj256ELj16ELb1EJPxPiS1_jEEvDpT3_
; %bb.0:
	s_load_b128 s[4:7], s[0:1], 0x0
	s_bfe_u32 s2, ttmp6, 0x4000c
	s_and_b32 s3, ttmp6, 15
	s_add_co_i32 s2, s2, 1
	s_getreg_b32 s8, hwreg(HW_REG_IB_STS2, 6, 4)
	s_mul_i32 s2, ttmp9, s2
	v_lshlrev_b32_e32 v34, 4, v0
	s_add_co_i32 s3, s3, s2
	s_cmp_eq_u32 s8, 0
	s_cselect_b32 s10, ttmp9, s3
	s_mov_b32 s3, 0
	s_lshl_b32 s2, s10, 12
	s_delay_alu instid0(SALU_CYCLE_1)
	s_lshl_b64 s[8:9], s[2:3], 3
	s_wait_xcnt 0x0
	s_load_b96 s[0:2], s[0:1], 0x10
	s_wait_kmcnt 0x0
	s_add_nc_u64 s[4:5], s[4:5], s[8:9]
	s_clause 0xf
	global_load_b64 v[32:33], v0, s[4:5] scale_offset
	global_load_b64 v[30:31], v0, s[4:5] offset:2048 scale_offset
	global_load_b64 v[28:29], v0, s[4:5] offset:4096 scale_offset
	;; [unrolled: 1-line block ×15, first 2 shown]
	s_cvt_f32_u32 s3, s2
	s_wait_xcnt 0x0
	s_sub_co_i32 s4, 0, s2
	s_delay_alu instid0(SALU_CYCLE_1) | instskip(SKIP_1) | instid1(TRANS32_DEP_1)
	v_rcp_iflag_f32_e32 v1, s3
	v_nop
	v_readfirstlane_b32 s3, v1
	v_dual_lshlrev_b32 v1, 3, v0 :: v_dual_bitop2_b32 v36, 1, v34 bitop3:0x54
	v_dual_add_nc_u32 v51, 16, v34 :: v_dual_bitop2_b32 v37, 2, v34 bitop3:0x54
	s_mul_f32 s3, s3, 0x4f7ffffe
	v_or_b32_e32 v38, 3, v34
	v_or_b32_e32 v39, 4, v34
	;; [unrolled: 1-line block ×3, first 2 shown]
	s_cvt_u32_f32 s3, s3
	v_or_b32_e32 v41, 6, v34
	v_or_b32_e32 v42, 7, v34
	;; [unrolled: 1-line block ×3, first 2 shown]
	s_mul_i32 s4, s4, s3
	v_or_b32_e32 v44, 9, v34
	s_mul_hi_u32 s4, s3, s4
	v_or_b32_e32 v45, 10, v34
	s_add_co_i32 s3, s3, s4
	s_mov_b32 s4, s0
	s_lshr_b32 s5, s3, 20
	v_or_b32_e32 v46, 11, v34
	s_mul_i32 s3, s5, s2
	s_add_co_i32 s11, s5, 1
	s_sub_co_i32 s0, 0x1000, s3
	s_load_b32 s3, s[6:7], s10 offset:0x0 scale_offset
	s_sub_co_i32 s12, s0, s2
	s_cmp_ge_u32 s0, s2
	v_or_b32_e32 v47, 12, v34
	s_cselect_b32 s5, s11, s5
	s_cselect_b32 s0, s12, s0
	s_wait_xcnt 0x0
	s_add_co_i32 s6, s5, 1
	s_cmp_ge_u32 s0, s2
	v_or_b32_e32 v48, 13, v34
	v_or_b32_e32 v49, 14, v34
	;; [unrolled: 1-line block ×3, first 2 shown]
	s_cselect_b32 s0, s6, s5
	s_mov_b32 s5, s1
	s_add_co_i32 s1, s0, 1
	s_branch .LBB232_2
.LBB232_1:                              ;   in Loop: Header=BB232_2 Depth=1
	s_or_b32 exec_lo, exec_lo, s0
	v_cmp_gt_u32_e32 vcc_lo, s3, v36
	v_cmp_gt_u32_e64 s0, s3, v37
	s_add_co_i32 s2, s2, -1
	s_barrier_signal -1
	v_dual_cndmask_b32 v53, 0, v31, vcc_lo :: v_dual_cndmask_b32 v55, 0, v29, s0
	v_dual_cndmask_b32 v52, 0, v30, vcc_lo :: v_dual_cndmask_b32 v54, 0, v28, s0
	v_cmp_gt_u32_e32 vcc_lo, s3, v38
	v_cmp_gt_u32_e64 s0, s3, v39
	s_barrier_wait -1
	s_delay_alu instid0(VALU_DEP_3)
	v_sub_nc_u64_e32 v[52:53], v[32:33], v[52:53]
	v_sub_nc_u64_e32 v[54:55], v[30:31], v[54:55]
	v_dual_cndmask_b32 v57, 0, v27 :: v_dual_cndmask_b32 v56, 0, v26
	v_cmp_gt_u32_e32 vcc_lo, s3, v40
	v_dual_cndmask_b32 v59, 0, v25, s0 :: v_dual_cndmask_b32 v58, 0, v24, s0
	v_cmp_gt_u32_e64 s0, s3, v41
	s_delay_alu instid0(VALU_DEP_4)
	v_sub_nc_u64_e32 v[56:57], v[28:29], v[56:57]
	v_dual_cndmask_b32 v61, 0, v23 :: v_dual_cndmask_b32 v60, 0, v22
	v_cmp_gt_u32_e32 vcc_lo, s3, v42
	v_add_nc_u64_e32 v[32:33], v[52:53], v[32:33]
	v_dual_cndmask_b32 v53, 0, v21, s0 :: v_dual_cndmask_b32 v52, 0, v20, s0
	v_sub_nc_u64_e32 v[58:59], v[26:27], v[58:59]
	v_cmp_gt_u32_e64 s0, s3, v43
	v_add_nc_u64_e32 v[30:31], v[54:55], v[30:31]
	v_dual_cndmask_b32 v55, 0, v19 :: v_dual_cndmask_b32 v54, 0, v18
	v_cmp_gt_u32_e32 vcc_lo, s3, v44
	v_sub_nc_u64_e32 v[60:61], v[24:25], v[60:61]
	v_sub_nc_u64_e32 v[52:53], v[22:23], v[52:53]
	v_add_nc_u64_e32 v[28:29], v[56:57], v[28:29]
	v_dual_cndmask_b32 v57, 0, v17, s0 :: v_dual_cndmask_b32 v56, 0, v16, s0
	v_cmp_gt_u32_e64 s0, s3, v45
	v_add_nc_u64_e32 v[26:27], v[58:59], v[26:27]
	v_dual_cndmask_b32 v59, 0, v15 :: v_dual_cndmask_b32 v58, 0, v14
	v_cmp_gt_u32_e32 vcc_lo, s3, v46
	v_add_nc_u64_e32 v[24:25], v[60:61], v[24:25]
	v_dual_cndmask_b32 v61, 0, v13, s0 :: v_dual_cndmask_b32 v60, 0, v12, s0
	v_sub_nc_u64_e32 v[54:55], v[20:21], v[54:55]
	v_sub_nc_u64_e32 v[56:57], v[18:19], v[56:57]
	v_add_nc_u64_e32 v[22:23], v[52:53], v[22:23]
	v_dual_cndmask_b32 v53, 0, v11 :: v_dual_cndmask_b32 v52, 0, v10
	v_cmp_gt_u32_e64 s0, s3, v47
	v_cmp_gt_u32_e32 vcc_lo, s3, v48
	v_sub_nc_u64_e32 v[58:59], v[16:17], v[58:59]
	v_sub_nc_u64_e32 v[60:61], v[14:15], v[60:61]
	v_add_nc_u64_e32 v[20:21], v[54:55], v[20:21]
	v_dual_cndmask_b32 v55, 0, v9, s0 :: v_dual_cndmask_b32 v54, 0, v8, s0
	v_add_nc_u64_e32 v[18:19], v[56:57], v[18:19]
	v_dual_cndmask_b32 v57, 0, v7 :: v_dual_cndmask_b32 v56, 0, v6
	v_cmp_gt_u32_e64 s0, s3, v49
	v_cmp_gt_u32_e32 vcc_lo, s3, v50
	v_add_nc_u64_e32 v[16:17], v[58:59], v[16:17]
	v_add_nc_u64_e32 v[14:15], v[60:61], v[14:15]
	v_sub_nc_u64_e32 v[52:53], v[12:13], v[52:53]
	v_dual_cndmask_b32 v59, 0, v5, s0 :: v_dual_cndmask_b32 v58, 0, v4, s0
	v_dual_cndmask_b32 v61, 0, v3 :: v_dual_cndmask_b32 v60, 0, v2
	v_sub_nc_u64_e32 v[54:55], v[10:11], v[54:55]
	v_sub_nc_u64_e32 v[56:57], v[8:9], v[56:57]
	s_delay_alu instid0(VALU_DEP_4)
	v_sub_nc_u64_e32 v[58:59], v[6:7], v[58:59]
	v_add_nc_u64_e32 v[12:13], v[52:53], v[12:13]
	v_sub_nc_u64_e32 v[60:61], v[4:5], v[60:61]
	v_add_nc_u64_e32 v[2:3], v[34:35], v[2:3]
	s_add_co_i32 s0, s1, s3
	v_add_nc_u64_e32 v[10:11], v[54:55], v[10:11]
	v_add_nc_u64_e32 v[8:9], v[56:57], v[8:9]
	;; [unrolled: 1-line block ×3, first 2 shown]
	s_and_b32 s3, s0, 0xfff
	v_add_nc_u64_e32 v[4:5], v[60:61], v[4:5]
	s_cmp_lg_u32 s2, 0
	s_cbranch_scc0 .LBB232_4
.LBB232_2:                              ; =>This Inner Loop Header: Depth=1
	s_wait_loadcnt 0x0
	v_mov_b64_e32 v[34:35], v[2:3]
	s_mov_b32 s0, exec_lo
	ds_store_b64 v1, v[32:33] offset:2048
	s_wait_dscnt 0x0
	s_barrier_signal -1
	s_barrier_wait -1
	s_wait_kmcnt 0x0
	v_cmpx_gt_u32_e64 s3, v51
	s_cbranch_execz .LBB232_1
; %bb.3:                                ;   in Loop: Header=BB232_2 Depth=1
	ds_load_b64 v[34:35], v1 offset:2056
	s_wait_dscnt 0x0
	v_sub_nc_u64_e32 v[34:35], v[2:3], v[34:35]
	s_branch .LBB232_1
.LBB232_4:
	s_add_nc_u64 s[0:1], s[4:5], s[8:9]
	s_clause 0xf
	global_store_b64 v0, v[32:33], s[0:1] scale_offset
	global_store_b64 v0, v[30:31], s[0:1] offset:2048 scale_offset
	global_store_b64 v0, v[28:29], s[0:1] offset:4096 scale_offset
	;; [unrolled: 1-line block ×15, first 2 shown]
	s_endpgm
	.section	.rodata,"a",@progbits
	.p2align	6, 0x0
	.amdhsa_kernel _Z6kernelI27subtract_right_partial_tileLj256ELj16ELb1EJPxPiS1_jEEvDpT3_
		.amdhsa_group_segment_fixed_size 4096
		.amdhsa_private_segment_fixed_size 0
		.amdhsa_kernarg_size 28
		.amdhsa_user_sgpr_count 2
		.amdhsa_user_sgpr_dispatch_ptr 0
		.amdhsa_user_sgpr_queue_ptr 0
		.amdhsa_user_sgpr_kernarg_segment_ptr 1
		.amdhsa_user_sgpr_dispatch_id 0
		.amdhsa_user_sgpr_kernarg_preload_length 0
		.amdhsa_user_sgpr_kernarg_preload_offset 0
		.amdhsa_user_sgpr_private_segment_size 0
		.amdhsa_wavefront_size32 1
		.amdhsa_uses_dynamic_stack 0
		.amdhsa_enable_private_segment 0
		.amdhsa_system_sgpr_workgroup_id_x 1
		.amdhsa_system_sgpr_workgroup_id_y 0
		.amdhsa_system_sgpr_workgroup_id_z 0
		.amdhsa_system_sgpr_workgroup_info 0
		.amdhsa_system_vgpr_workitem_id 0
		.amdhsa_next_free_vgpr 62
		.amdhsa_next_free_sgpr 13
		.amdhsa_named_barrier_count 0
		.amdhsa_reserve_vcc 1
		.amdhsa_float_round_mode_32 0
		.amdhsa_float_round_mode_16_64 0
		.amdhsa_float_denorm_mode_32 3
		.amdhsa_float_denorm_mode_16_64 3
		.amdhsa_fp16_overflow 0
		.amdhsa_memory_ordered 1
		.amdhsa_forward_progress 1
		.amdhsa_inst_pref_size 10
		.amdhsa_round_robin_scheduling 0
		.amdhsa_exception_fp_ieee_invalid_op 0
		.amdhsa_exception_fp_denorm_src 0
		.amdhsa_exception_fp_ieee_div_zero 0
		.amdhsa_exception_fp_ieee_overflow 0
		.amdhsa_exception_fp_ieee_underflow 0
		.amdhsa_exception_fp_ieee_inexact 0
		.amdhsa_exception_int_div_zero 0
	.end_amdhsa_kernel
	.section	.text._Z6kernelI27subtract_right_partial_tileLj256ELj16ELb1EJPxPiS1_jEEvDpT3_,"axG",@progbits,_Z6kernelI27subtract_right_partial_tileLj256ELj16ELb1EJPxPiS1_jEEvDpT3_,comdat
.Lfunc_end232:
	.size	_Z6kernelI27subtract_right_partial_tileLj256ELj16ELb1EJPxPiS1_jEEvDpT3_, .Lfunc_end232-_Z6kernelI27subtract_right_partial_tileLj256ELj16ELb1EJPxPiS1_jEEvDpT3_
                                        ; -- End function
	.set _Z6kernelI27subtract_right_partial_tileLj256ELj16ELb1EJPxPiS1_jEEvDpT3_.num_vgpr, 62
	.set _Z6kernelI27subtract_right_partial_tileLj256ELj16ELb1EJPxPiS1_jEEvDpT3_.num_agpr, 0
	.set _Z6kernelI27subtract_right_partial_tileLj256ELj16ELb1EJPxPiS1_jEEvDpT3_.numbered_sgpr, 13
	.set _Z6kernelI27subtract_right_partial_tileLj256ELj16ELb1EJPxPiS1_jEEvDpT3_.num_named_barrier, 0
	.set _Z6kernelI27subtract_right_partial_tileLj256ELj16ELb1EJPxPiS1_jEEvDpT3_.private_seg_size, 0
	.set _Z6kernelI27subtract_right_partial_tileLj256ELj16ELb1EJPxPiS1_jEEvDpT3_.uses_vcc, 1
	.set _Z6kernelI27subtract_right_partial_tileLj256ELj16ELb1EJPxPiS1_jEEvDpT3_.uses_flat_scratch, 0
	.set _Z6kernelI27subtract_right_partial_tileLj256ELj16ELb1EJPxPiS1_jEEvDpT3_.has_dyn_sized_stack, 0
	.set _Z6kernelI27subtract_right_partial_tileLj256ELj16ELb1EJPxPiS1_jEEvDpT3_.has_recursion, 0
	.set _Z6kernelI27subtract_right_partial_tileLj256ELj16ELb1EJPxPiS1_jEEvDpT3_.has_indirect_call, 0
	.section	.AMDGPU.csdata,"",@progbits
; Kernel info:
; codeLenInByte = 1168
; TotalNumSgprs: 15
; NumVgprs: 62
; ScratchSize: 0
; MemoryBound: 0
; FloatMode: 240
; IeeeMode: 1
; LDSByteSize: 4096 bytes/workgroup (compile time only)
; SGPRBlocks: 0
; VGPRBlocks: 3
; NumSGPRsForWavesPerEU: 15
; NumVGPRsForWavesPerEU: 62
; NamedBarCnt: 0
; Occupancy: 16
; WaveLimiterHint : 1
; COMPUTE_PGM_RSRC2:SCRATCH_EN: 0
; COMPUTE_PGM_RSRC2:USER_SGPR: 2
; COMPUTE_PGM_RSRC2:TRAP_HANDLER: 0
; COMPUTE_PGM_RSRC2:TGID_X_EN: 1
; COMPUTE_PGM_RSRC2:TGID_Y_EN: 0
; COMPUTE_PGM_RSRC2:TGID_Z_EN: 0
; COMPUTE_PGM_RSRC2:TIDIG_COMP_CNT: 0
	.section	.text._Z6kernelI27subtract_right_partial_tileLj256ELj32ELb1EJPxPiS1_jEEvDpT3_,"axG",@progbits,_Z6kernelI27subtract_right_partial_tileLj256ELj32ELb1EJPxPiS1_jEEvDpT3_,comdat
	.protected	_Z6kernelI27subtract_right_partial_tileLj256ELj32ELb1EJPxPiS1_jEEvDpT3_ ; -- Begin function _Z6kernelI27subtract_right_partial_tileLj256ELj32ELb1EJPxPiS1_jEEvDpT3_
	.globl	_Z6kernelI27subtract_right_partial_tileLj256ELj32ELb1EJPxPiS1_jEEvDpT3_
	.p2align	8
	.type	_Z6kernelI27subtract_right_partial_tileLj256ELj32ELb1EJPxPiS1_jEEvDpT3_,@function
_Z6kernelI27subtract_right_partial_tileLj256ELj32ELb1EJPxPiS1_jEEvDpT3_: ; @_Z6kernelI27subtract_right_partial_tileLj256ELj32ELb1EJPxPiS1_jEEvDpT3_
; %bb.0:
	s_load_b128 s[4:7], s[0:1], 0x0
	s_bfe_u32 s2, ttmp6, 0x4000c
	s_and_b32 s3, ttmp6, 15
	s_add_co_i32 s2, s2, 1
	s_getreg_b32 s8, hwreg(HW_REG_IB_STS2, 6, 4)
	s_mul_i32 s2, ttmp9, s2
	v_dual_lshlrev_b32 v66, 5, v0 :: v_dual_lshlrev_b32 v1, 3, v0
	s_add_co_i32 s3, s3, s2
	s_cmp_eq_u32 s8, 0
	s_cselect_b32 s10, ttmp9, s3
	s_mov_b32 s3, 0
	s_lshl_b32 s2, s10, 13
	v_dual_add_nc_u32 v99, 32, v66 :: v_dual_bitop2_b32 v68, 1, v66 bitop3:0x54
	s_lshl_b64 s[8:9], s[2:3], 3
	v_or_b32_e32 v69, 2, v66
	v_or_b32_e32 v70, 3, v66
	;; [unrolled: 1-line block ×3, first 2 shown]
	s_wait_kmcnt 0x0
	s_add_nc_u64 s[2:3], s[4:5], s[8:9]
	v_or_b32_e32 v72, 5, v66
	s_clause 0x1f
	global_load_b64 v[2:3], v0, s[2:3] scale_offset
	global_load_b64 v[8:9], v0, s[2:3] offset:2048 scale_offset
	global_load_b64 v[6:7], v0, s[2:3] offset:4096 scale_offset
	;; [unrolled: 1-line block ×31, first 2 shown]
	s_wait_xcnt 0x0
	s_load_b96 s[0:2], s[0:1], 0x10
	v_or_b32_e32 v73, 6, v66
	v_or_b32_e32 v74, 7, v66
	;; [unrolled: 1-line block ×19, first 2 shown]
	s_wait_kmcnt 0x0
	s_cvt_f32_u32 s3, s2
	s_sub_co_i32 s4, 0, s2
	v_or_b32_e32 v92, 25, v66
	v_or_b32_e32 v93, 26, v66
	v_rcp_iflag_f32_e32 v67, s3
	v_or_b32_e32 v94, 27, v66
	v_or_b32_e32 v95, 28, v66
	;; [unrolled: 1-line block ×5, first 2 shown]
	s_delay_alu instid0(TRANS32_DEP_1) | instskip(SKIP_1) | instid1(SALU_CYCLE_3)
	v_readfirstlane_b32 s3, v67
	s_mul_f32 s3, s3, 0x4f7ffffe
	s_cvt_u32_f32 s3, s3
	s_delay_alu instid0(SALU_CYCLE_3) | instskip(NEXT) | instid1(SALU_CYCLE_1)
	s_mul_i32 s4, s4, s3
	s_mul_hi_u32 s4, s3, s4
	s_delay_alu instid0(SALU_CYCLE_1) | instskip(SKIP_2) | instid1(SALU_CYCLE_1)
	s_add_co_i32 s3, s3, s4
	s_mov_b32 s4, s0
	s_lshr_b32 s5, s3, 19
	s_mul_i32 s3, s5, s2
	s_add_co_i32 s11, s5, 1
	s_sub_co_i32 s0, 0x2000, s3
	s_load_b32 s3, s[6:7], s10 offset:0x0 scale_offset
	s_sub_co_i32 s12, s0, s2
	s_cmp_ge_u32 s0, s2
	s_cselect_b32 s5, s11, s5
	s_cselect_b32 s0, s12, s0
	s_wait_xcnt 0x0
	s_add_co_i32 s6, s5, 1
	s_cmp_ge_u32 s0, s2
	s_cselect_b32 s0, s6, s5
	s_mov_b32 s5, s1
	s_add_co_i32 s1, s0, 1
	s_branch .LBB233_2
.LBB233_1:                              ;   in Loop: Header=BB233_2 Depth=1
	s_or_b32 exec_lo, exec_lo, s0
	v_cmp_gt_u32_e32 vcc_lo, s3, v68
	v_cmp_gt_u32_e64 s0, s3, v69
	s_add_co_i32 s2, s2, -1
	s_barrier_signal -1
	v_dual_cndmask_b32 v101, 0, v9, vcc_lo :: v_dual_cndmask_b32 v103, 0, v7, s0
	v_dual_cndmask_b32 v100, 0, v8, vcc_lo :: v_dual_cndmask_b32 v102, 0, v6, s0
	v_cmp_gt_u32_e32 vcc_lo, s3, v70
	v_cmp_gt_u32_e64 s0, s3, v71
	s_barrier_wait -1
	s_delay_alu instid0(VALU_DEP_3)
	v_sub_nc_u64_e32 v[100:101], v[2:3], v[100:101]
	v_sub_nc_u64_e32 v[102:103], v[8:9], v[102:103]
	v_dual_cndmask_b32 v105, 0, v5 :: v_dual_cndmask_b32 v104, 0, v4
	v_cmp_gt_u32_e32 vcc_lo, s3, v72
	v_dual_cndmask_b32 v107, 0, v11, s0 :: v_dual_cndmask_b32 v106, 0, v10, s0
	v_cmp_gt_u32_e64 s0, s3, v73
	s_delay_alu instid0(VALU_DEP_4)
	v_sub_nc_u64_e32 v[104:105], v[6:7], v[104:105]
	v_dual_cndmask_b32 v109, 0, v13 :: v_dual_cndmask_b32 v108, 0, v12
	v_cmp_gt_u32_e32 vcc_lo, s3, v74
	v_add_nc_u64_e32 v[2:3], v[100:101], v[2:3]
	v_dual_cndmask_b32 v101, 0, v15, s0 :: v_dual_cndmask_b32 v100, 0, v14, s0
	v_sub_nc_u64_e32 v[106:107], v[4:5], v[106:107]
	v_cmp_gt_u32_e64 s0, s3, v75
	v_add_nc_u64_e32 v[8:9], v[102:103], v[8:9]
	v_dual_cndmask_b32 v103, 0, v17 :: v_dual_cndmask_b32 v102, 0, v16
	v_cmp_gt_u32_e32 vcc_lo, s3, v76
	v_sub_nc_u64_e32 v[108:109], v[10:11], v[108:109]
	v_sub_nc_u64_e32 v[100:101], v[12:13], v[100:101]
	v_add_nc_u64_e32 v[6:7], v[104:105], v[6:7]
	v_dual_cndmask_b32 v105, 0, v19, s0 :: v_dual_cndmask_b32 v104, 0, v18, s0
	v_cmp_gt_u32_e64 s0, s3, v77
	v_add_nc_u64_e32 v[4:5], v[106:107], v[4:5]
	v_dual_cndmask_b32 v107, 0, v21 :: v_dual_cndmask_b32 v106, 0, v20
	v_cmp_gt_u32_e32 vcc_lo, s3, v78
	v_sub_nc_u64_e32 v[102:103], v[14:15], v[102:103]
	v_add_nc_u64_e32 v[10:11], v[108:109], v[10:11]
	v_dual_cndmask_b32 v109, 0, v23, s0 :: v_dual_cndmask_b32 v108, 0, v22, s0
	v_sub_nc_u64_e32 v[104:105], v[16:17], v[104:105]
	v_cmp_gt_u32_e64 s0, s3, v79
	v_add_nc_u64_e32 v[12:13], v[100:101], v[12:13]
	v_dual_cndmask_b32 v101, 0, v25 :: v_dual_cndmask_b32 v100, 0, v24
	v_cmp_gt_u32_e32 vcc_lo, s3, v80
	v_sub_nc_u64_e32 v[106:107], v[18:19], v[106:107]
	v_sub_nc_u64_e32 v[108:109], v[20:21], v[108:109]
	v_add_nc_u64_e32 v[14:15], v[102:103], v[14:15]
	v_dual_cndmask_b32 v103, 0, v65, s0 :: v_dual_cndmask_b32 v102, 0, v64, s0
	v_cmp_gt_u32_e64 s0, s3, v81
	v_add_nc_u64_e32 v[16:17], v[104:105], v[16:17]
	v_dual_cndmask_b32 v105, 0, v63 :: v_dual_cndmask_b32 v104, 0, v62
	v_cmp_gt_u32_e32 vcc_lo, s3, v82
	v_sub_nc_u64_e32 v[100:101], v[22:23], v[100:101]
	v_add_nc_u64_e32 v[18:19], v[106:107], v[18:19]
	v_dual_cndmask_b32 v107, 0, v61, s0 :: v_dual_cndmask_b32 v106, 0, v60, s0
	v_sub_nc_u64_e32 v[102:103], v[24:25], v[102:103]
	v_cmp_gt_u32_e64 s0, s3, v83
	v_add_nc_u64_e32 v[20:21], v[108:109], v[20:21]
	v_dual_cndmask_b32 v109, 0, v59 :: v_dual_cndmask_b32 v108, 0, v58
	v_cmp_gt_u32_e32 vcc_lo, s3, v84
	v_sub_nc_u64_e32 v[104:105], v[64:65], v[104:105]
	v_sub_nc_u64_e32 v[106:107], v[62:63], v[106:107]
	v_add_nc_u64_e32 v[22:23], v[100:101], v[22:23]
	v_dual_cndmask_b32 v101, 0, v57, s0 :: v_dual_cndmask_b32 v100, 0, v56, s0
	v_cmp_gt_u32_e64 s0, s3, v85
	v_add_nc_u64_e32 v[24:25], v[102:103], v[24:25]
	v_dual_cndmask_b32 v103, 0, v55 :: v_dual_cndmask_b32 v102, 0, v54
	v_cmp_gt_u32_e32 vcc_lo, s3, v86
	v_sub_nc_u64_e32 v[108:109], v[60:61], v[108:109]
	v_add_nc_u64_e32 v[64:65], v[104:105], v[64:65]
	v_dual_cndmask_b32 v105, 0, v53, s0 :: v_dual_cndmask_b32 v104, 0, v52, s0
	v_sub_nc_u64_e32 v[100:101], v[58:59], v[100:101]
	v_cmp_gt_u32_e64 s0, s3, v87
	v_add_nc_u64_e32 v[62:63], v[106:107], v[62:63]
	v_dual_cndmask_b32 v107, 0, v51 :: v_dual_cndmask_b32 v106, 0, v50
	v_cmp_gt_u32_e32 vcc_lo, s3, v88
	v_sub_nc_u64_e32 v[102:103], v[56:57], v[102:103]
	v_sub_nc_u64_e32 v[104:105], v[54:55], v[104:105]
	v_add_nc_u64_e32 v[60:61], v[108:109], v[60:61]
	v_dual_cndmask_b32 v109, 0, v49, s0 :: v_dual_cndmask_b32 v108, 0, v48, s0
	v_cmp_gt_u32_e64 s0, s3, v89
	v_add_nc_u64_e32 v[58:59], v[100:101], v[58:59]
	v_dual_cndmask_b32 v101, 0, v47 :: v_dual_cndmask_b32 v100, 0, v46
	v_cmp_gt_u32_e32 vcc_lo, s3, v90
	v_sub_nc_u64_e32 v[106:107], v[52:53], v[106:107]
	v_add_nc_u64_e32 v[56:57], v[102:103], v[56:57]
	v_dual_cndmask_b32 v103, 0, v45, s0 :: v_dual_cndmask_b32 v102, 0, v44, s0
	v_sub_nc_u64_e32 v[108:109], v[50:51], v[108:109]
	v_cmp_gt_u32_e64 s0, s3, v91
	v_add_nc_u64_e32 v[54:55], v[104:105], v[54:55]
	v_dual_cndmask_b32 v105, 0, v43 :: v_dual_cndmask_b32 v104, 0, v42
	v_cmp_gt_u32_e32 vcc_lo, s3, v92
	v_sub_nc_u64_e32 v[100:101], v[48:49], v[100:101]
	v_sub_nc_u64_e32 v[102:103], v[46:47], v[102:103]
	v_add_nc_u64_e32 v[52:53], v[106:107], v[52:53]
	v_dual_cndmask_b32 v107, 0, v41, s0 :: v_dual_cndmask_b32 v106, 0, v40, s0
	v_cmp_gt_u32_e64 s0, s3, v93
	v_add_nc_u64_e32 v[50:51], v[108:109], v[50:51]
	v_dual_cndmask_b32 v109, 0, v39 :: v_dual_cndmask_b32 v108, 0, v38
	v_cmp_gt_u32_e32 vcc_lo, s3, v94
	v_add_nc_u64_e32 v[48:49], v[100:101], v[48:49]
	v_dual_cndmask_b32 v101, 0, v37, s0 :: v_dual_cndmask_b32 v100, 0, v36, s0
	v_sub_nc_u64_e32 v[104:105], v[44:45], v[104:105]
	v_sub_nc_u64_e32 v[106:107], v[42:43], v[106:107]
	v_add_nc_u64_e32 v[46:47], v[102:103], v[46:47]
	v_dual_cndmask_b32 v103, 0, v35 :: v_dual_cndmask_b32 v102, 0, v34
	v_cmp_gt_u32_e64 s0, s3, v95
	v_cmp_gt_u32_e32 vcc_lo, s3, v96
	v_sub_nc_u64_e32 v[108:109], v[40:41], v[108:109]
	v_sub_nc_u64_e32 v[100:101], v[38:39], v[100:101]
	v_add_nc_u64_e32 v[44:45], v[104:105], v[44:45]
	v_dual_cndmask_b32 v105, 0, v33, s0 :: v_dual_cndmask_b32 v104, 0, v32, s0
	v_add_nc_u64_e32 v[42:43], v[106:107], v[42:43]
	v_dual_cndmask_b32 v107, 0, v31 :: v_dual_cndmask_b32 v106, 0, v30
	v_cmp_gt_u32_e64 s0, s3, v97
	v_cmp_gt_u32_e32 vcc_lo, s3, v98
	v_add_nc_u64_e32 v[40:41], v[108:109], v[40:41]
	v_add_nc_u64_e32 v[38:39], v[100:101], v[38:39]
	v_sub_nc_u64_e32 v[102:103], v[36:37], v[102:103]
	v_dual_cndmask_b32 v109, 0, v29, s0 :: v_dual_cndmask_b32 v108, 0, v28, s0
	v_dual_cndmask_b32 v101, 0, v27 :: v_dual_cndmask_b32 v100, 0, v26
	v_sub_nc_u64_e32 v[104:105], v[34:35], v[104:105]
	v_sub_nc_u64_e32 v[106:107], v[32:33], v[106:107]
	s_delay_alu instid0(VALU_DEP_4)
	v_sub_nc_u64_e32 v[108:109], v[30:31], v[108:109]
	v_add_nc_u64_e32 v[36:37], v[102:103], v[36:37]
	v_sub_nc_u64_e32 v[100:101], v[28:29], v[100:101]
	v_add_nc_u64_e32 v[26:27], v[66:67], v[26:27]
	s_add_co_i32 s0, s1, s3
	v_add_nc_u64_e32 v[34:35], v[104:105], v[34:35]
	v_add_nc_u64_e32 v[32:33], v[106:107], v[32:33]
	v_add_nc_u64_e32 v[30:31], v[108:109], v[30:31]
	s_and_b32 s3, s0, 0x1fff
	v_add_nc_u64_e32 v[28:29], v[100:101], v[28:29]
	s_cmp_lg_u32 s2, 0
	s_cbranch_scc0 .LBB233_4
.LBB233_2:                              ; =>This Inner Loop Header: Depth=1
	s_wait_loadcnt 0x0
	v_mov_b64_e32 v[66:67], v[26:27]
	s_mov_b32 s0, exec_lo
	ds_store_b64 v1, v[2:3] offset:2048
	s_wait_dscnt 0x0
	s_barrier_signal -1
	s_barrier_wait -1
	s_wait_kmcnt 0x0
	v_cmpx_gt_u32_e64 s3, v99
	s_cbranch_execz .LBB233_1
; %bb.3:                                ;   in Loop: Header=BB233_2 Depth=1
	ds_load_b64 v[66:67], v1 offset:2056
	s_wait_dscnt 0x0
	v_sub_nc_u64_e32 v[66:67], v[26:27], v[66:67]
	s_branch .LBB233_1
.LBB233_4:
	s_add_nc_u64 s[0:1], s[4:5], s[8:9]
	s_clause 0x1f
	global_store_b64 v0, v[2:3], s[0:1] scale_offset
	global_store_b64 v0, v[8:9], s[0:1] offset:2048 scale_offset
	global_store_b64 v0, v[6:7], s[0:1] offset:4096 scale_offset
	;; [unrolled: 1-line block ×31, first 2 shown]
	s_sendmsg sendmsg(MSG_DEALLOC_VGPRS)
	s_endpgm
	.section	.rodata,"a",@progbits
	.p2align	6, 0x0
	.amdhsa_kernel _Z6kernelI27subtract_right_partial_tileLj256ELj32ELb1EJPxPiS1_jEEvDpT3_
		.amdhsa_group_segment_fixed_size 4096
		.amdhsa_private_segment_fixed_size 0
		.amdhsa_kernarg_size 28
		.amdhsa_user_sgpr_count 2
		.amdhsa_user_sgpr_dispatch_ptr 0
		.amdhsa_user_sgpr_queue_ptr 0
		.amdhsa_user_sgpr_kernarg_segment_ptr 1
		.amdhsa_user_sgpr_dispatch_id 0
		.amdhsa_user_sgpr_kernarg_preload_length 0
		.amdhsa_user_sgpr_kernarg_preload_offset 0
		.amdhsa_user_sgpr_private_segment_size 0
		.amdhsa_wavefront_size32 1
		.amdhsa_uses_dynamic_stack 0
		.amdhsa_enable_private_segment 0
		.amdhsa_system_sgpr_workgroup_id_x 1
		.amdhsa_system_sgpr_workgroup_id_y 0
		.amdhsa_system_sgpr_workgroup_id_z 0
		.amdhsa_system_sgpr_workgroup_info 0
		.amdhsa_system_vgpr_workitem_id 0
		.amdhsa_next_free_vgpr 110
		.amdhsa_next_free_sgpr 13
		.amdhsa_named_barrier_count 0
		.amdhsa_reserve_vcc 1
		.amdhsa_float_round_mode_32 0
		.amdhsa_float_round_mode_16_64 0
		.amdhsa_float_denorm_mode_32 3
		.amdhsa_float_denorm_mode_16_64 3
		.amdhsa_fp16_overflow 0
		.amdhsa_memory_ordered 1
		.amdhsa_forward_progress 1
		.amdhsa_inst_pref_size 16
		.amdhsa_round_robin_scheduling 0
		.amdhsa_exception_fp_ieee_invalid_op 0
		.amdhsa_exception_fp_denorm_src 0
		.amdhsa_exception_fp_ieee_div_zero 0
		.amdhsa_exception_fp_ieee_overflow 0
		.amdhsa_exception_fp_ieee_underflow 0
		.amdhsa_exception_fp_ieee_inexact 0
		.amdhsa_exception_int_div_zero 0
	.end_amdhsa_kernel
	.section	.text._Z6kernelI27subtract_right_partial_tileLj256ELj32ELb1EJPxPiS1_jEEvDpT3_,"axG",@progbits,_Z6kernelI27subtract_right_partial_tileLj256ELj32ELb1EJPxPiS1_jEEvDpT3_,comdat
.Lfunc_end233:
	.size	_Z6kernelI27subtract_right_partial_tileLj256ELj32ELb1EJPxPiS1_jEEvDpT3_, .Lfunc_end233-_Z6kernelI27subtract_right_partial_tileLj256ELj32ELb1EJPxPiS1_jEEvDpT3_
                                        ; -- End function
	.set _Z6kernelI27subtract_right_partial_tileLj256ELj32ELb1EJPxPiS1_jEEvDpT3_.num_vgpr, 110
	.set _Z6kernelI27subtract_right_partial_tileLj256ELj32ELb1EJPxPiS1_jEEvDpT3_.num_agpr, 0
	.set _Z6kernelI27subtract_right_partial_tileLj256ELj32ELb1EJPxPiS1_jEEvDpT3_.numbered_sgpr, 13
	.set _Z6kernelI27subtract_right_partial_tileLj256ELj32ELb1EJPxPiS1_jEEvDpT3_.num_named_barrier, 0
	.set _Z6kernelI27subtract_right_partial_tileLj256ELj32ELb1EJPxPiS1_jEEvDpT3_.private_seg_size, 0
	.set _Z6kernelI27subtract_right_partial_tileLj256ELj32ELb1EJPxPiS1_jEEvDpT3_.uses_vcc, 1
	.set _Z6kernelI27subtract_right_partial_tileLj256ELj32ELb1EJPxPiS1_jEEvDpT3_.uses_flat_scratch, 0
	.set _Z6kernelI27subtract_right_partial_tileLj256ELj32ELb1EJPxPiS1_jEEvDpT3_.has_dyn_sized_stack, 0
	.set _Z6kernelI27subtract_right_partial_tileLj256ELj32ELb1EJPxPiS1_jEEvDpT3_.has_recursion, 0
	.set _Z6kernelI27subtract_right_partial_tileLj256ELj32ELb1EJPxPiS1_jEEvDpT3_.has_indirect_call, 0
	.section	.AMDGPU.csdata,"",@progbits
; Kernel info:
; codeLenInByte = 2004
; TotalNumSgprs: 15
; NumVgprs: 110
; ScratchSize: 0
; MemoryBound: 0
; FloatMode: 240
; IeeeMode: 1
; LDSByteSize: 4096 bytes/workgroup (compile time only)
; SGPRBlocks: 0
; VGPRBlocks: 6
; NumSGPRsForWavesPerEU: 15
; NumVGPRsForWavesPerEU: 110
; NamedBarCnt: 0
; Occupancy: 9
; WaveLimiterHint : 1
; COMPUTE_PGM_RSRC2:SCRATCH_EN: 0
; COMPUTE_PGM_RSRC2:USER_SGPR: 2
; COMPUTE_PGM_RSRC2:TRAP_HANDLER: 0
; COMPUTE_PGM_RSRC2:TGID_X_EN: 1
; COMPUTE_PGM_RSRC2:TGID_Y_EN: 0
; COMPUTE_PGM_RSRC2:TGID_Z_EN: 0
; COMPUTE_PGM_RSRC2:TIDIG_COMP_CNT: 0
	.section	.text._Z6kernelI27subtract_right_partial_tileLj256ELj1ELb1EJPdPiS1_jEEvDpT3_,"axG",@progbits,_Z6kernelI27subtract_right_partial_tileLj256ELj1ELb1EJPdPiS1_jEEvDpT3_,comdat
	.protected	_Z6kernelI27subtract_right_partial_tileLj256ELj1ELb1EJPdPiS1_jEEvDpT3_ ; -- Begin function _Z6kernelI27subtract_right_partial_tileLj256ELj1ELb1EJPdPiS1_jEEvDpT3_
	.globl	_Z6kernelI27subtract_right_partial_tileLj256ELj1ELb1EJPdPiS1_jEEvDpT3_
	.p2align	8
	.type	_Z6kernelI27subtract_right_partial_tileLj256ELj1ELb1EJPdPiS1_jEEvDpT3_,@function
_Z6kernelI27subtract_right_partial_tileLj256ELj1ELb1EJPdPiS1_jEEvDpT3_: ; @_Z6kernelI27subtract_right_partial_tileLj256ELj1ELb1EJPdPiS1_jEEvDpT3_
; %bb.0:
	s_load_b128 s[8:11], s[0:1], 0x0
	s_bfe_u32 s2, ttmp6, 0x4000c
	s_and_b32 s3, ttmp6, 15
	s_add_co_i32 s2, s2, 1
	s_getreg_b32 s4, hwreg(HW_REG_IB_STS2, 6, 4)
	s_mul_i32 s2, ttmp9, s2
	v_add_nc_u32_e32 v6, 1, v0
	s_add_co_i32 s3, s3, s2
	s_cmp_eq_u32 s4, 0
	s_cselect_b32 s12, ttmp9, s3
	s_mov_b32 s3, 0
	s_lshl_b32 s2, s12, 8
	s_delay_alu instid0(SALU_CYCLE_1)
	s_lshl_b64 s[4:5], s[2:3], 3
	s_wait_xcnt 0x0
	s_load_b96 s[0:2], s[0:1], 0x10
	s_wait_kmcnt 0x0
	s_add_nc_u64 s[6:7], s[8:9], s[4:5]
	global_load_b64 v[2:3], v0, s[6:7] scale_offset
	s_cvt_f32_u32 s3, s2
	s_wait_xcnt 0x0
	s_sub_co_i32 s6, 0, s2
	s_delay_alu instid0(SALU_CYCLE_1) | instskip(SKIP_1) | instid1(TRANS32_DEP_1)
	v_rcp_iflag_f32_e32 v1, s3
	v_nop
	v_readfirstlane_b32 s3, v1
	v_lshlrev_b32_e32 v1, 3, v0
	s_mul_f32 s3, s3, 0x4f7ffffe
	s_delay_alu instid0(SALU_CYCLE_3) | instskip(NEXT) | instid1(SALU_CYCLE_3)
	s_cvt_u32_f32 s3, s3
	s_mul_i32 s6, s6, s3
	s_delay_alu instid0(SALU_CYCLE_1) | instskip(NEXT) | instid1(SALU_CYCLE_1)
	s_mul_hi_u32 s6, s3, s6
	s_add_co_i32 s6, s3, s6
	s_load_b32 s3, s[10:11], s12 offset:0x0 scale_offset
	s_lshr_b32 s6, s6, 24
	s_delay_alu instid0(SALU_CYCLE_1) | instskip(SKIP_2) | instid1(SALU_CYCLE_1)
	s_mul_i32 s7, s6, s2
	s_add_co_i32 s8, s6, 1
	s_sub_co_i32 s7, 0x100, s7
	s_sub_co_i32 s9, s7, s2
	s_cmp_ge_u32 s7, s2
	s_cselect_b32 s6, s8, s6
	s_cselect_b32 s7, s9, s7
	s_add_co_i32 s8, s6, 1
	s_cmp_ge_u32 s7, s2
	s_cselect_b32 s6, s8, s6
	s_delay_alu instid0(SALU_CYCLE_1)
	s_add_co_i32 s6, s6, 1
	s_branch .LBB234_2
.LBB234_1:                              ;   in Loop: Header=BB234_2 Depth=1
	s_or_b32 exec_lo, exec_lo, s7
	s_delay_alu instid0(VALU_DEP_1)
	v_add_f64_e32 v[2:3], v[2:3], v[4:5]
	s_add_co_i32 s3, s6, s3
	s_add_co_i32 s2, s2, -1
	s_and_b32 s3, s3, 0xff
	s_cmp_lg_u32 s2, 0
	s_barrier_signal -1
	s_barrier_wait -1
	s_cbranch_scc0 .LBB234_4
.LBB234_2:                              ; =>This Inner Loop Header: Depth=1
	s_wait_loadcnt 0x0
	s_delay_alu instid0(VALU_DEP_1)
	v_mov_b64_e32 v[4:5], v[2:3]
	s_mov_b32 s7, exec_lo
	ds_store_b64 v1, v[2:3] offset:2048
	s_wait_dscnt 0x0
	s_barrier_signal -1
	s_barrier_wait -1
	s_wait_kmcnt 0x0
	v_cmpx_gt_u32_e64 s3, v6
	s_cbranch_execz .LBB234_1
; %bb.3:                                ;   in Loop: Header=BB234_2 Depth=1
	ds_load_b64 v[4:5], v1 offset:2056
	s_wait_dscnt 0x0
	v_add_f64_e64 v[4:5], v[2:3], -v[4:5]
	s_branch .LBB234_1
.LBB234_4:
	s_add_nc_u64 s[0:1], s[0:1], s[4:5]
	global_store_b64 v0, v[2:3], s[0:1] scale_offset
	s_endpgm
	.section	.rodata,"a",@progbits
	.p2align	6, 0x0
	.amdhsa_kernel _Z6kernelI27subtract_right_partial_tileLj256ELj1ELb1EJPdPiS1_jEEvDpT3_
		.amdhsa_group_segment_fixed_size 4096
		.amdhsa_private_segment_fixed_size 0
		.amdhsa_kernarg_size 28
		.amdhsa_user_sgpr_count 2
		.amdhsa_user_sgpr_dispatch_ptr 0
		.amdhsa_user_sgpr_queue_ptr 0
		.amdhsa_user_sgpr_kernarg_segment_ptr 1
		.amdhsa_user_sgpr_dispatch_id 0
		.amdhsa_user_sgpr_kernarg_preload_length 0
		.amdhsa_user_sgpr_kernarg_preload_offset 0
		.amdhsa_user_sgpr_private_segment_size 0
		.amdhsa_wavefront_size32 1
		.amdhsa_uses_dynamic_stack 0
		.amdhsa_enable_private_segment 0
		.amdhsa_system_sgpr_workgroup_id_x 1
		.amdhsa_system_sgpr_workgroup_id_y 0
		.amdhsa_system_sgpr_workgroup_id_z 0
		.amdhsa_system_sgpr_workgroup_info 0
		.amdhsa_system_vgpr_workitem_id 0
		.amdhsa_next_free_vgpr 7
		.amdhsa_next_free_sgpr 13
		.amdhsa_named_barrier_count 0
		.amdhsa_reserve_vcc 0
		.amdhsa_float_round_mode_32 0
		.amdhsa_float_round_mode_16_64 0
		.amdhsa_float_denorm_mode_32 3
		.amdhsa_float_denorm_mode_16_64 3
		.amdhsa_fp16_overflow 0
		.amdhsa_memory_ordered 1
		.amdhsa_forward_progress 1
		.amdhsa_inst_pref_size 3
		.amdhsa_round_robin_scheduling 0
		.amdhsa_exception_fp_ieee_invalid_op 0
		.amdhsa_exception_fp_denorm_src 0
		.amdhsa_exception_fp_ieee_div_zero 0
		.amdhsa_exception_fp_ieee_overflow 0
		.amdhsa_exception_fp_ieee_underflow 0
		.amdhsa_exception_fp_ieee_inexact 0
		.amdhsa_exception_int_div_zero 0
	.end_amdhsa_kernel
	.section	.text._Z6kernelI27subtract_right_partial_tileLj256ELj1ELb1EJPdPiS1_jEEvDpT3_,"axG",@progbits,_Z6kernelI27subtract_right_partial_tileLj256ELj1ELb1EJPdPiS1_jEEvDpT3_,comdat
.Lfunc_end234:
	.size	_Z6kernelI27subtract_right_partial_tileLj256ELj1ELb1EJPdPiS1_jEEvDpT3_, .Lfunc_end234-_Z6kernelI27subtract_right_partial_tileLj256ELj1ELb1EJPdPiS1_jEEvDpT3_
                                        ; -- End function
	.set _Z6kernelI27subtract_right_partial_tileLj256ELj1ELb1EJPdPiS1_jEEvDpT3_.num_vgpr, 7
	.set _Z6kernelI27subtract_right_partial_tileLj256ELj1ELb1EJPdPiS1_jEEvDpT3_.num_agpr, 0
	.set _Z6kernelI27subtract_right_partial_tileLj256ELj1ELb1EJPdPiS1_jEEvDpT3_.numbered_sgpr, 13
	.set _Z6kernelI27subtract_right_partial_tileLj256ELj1ELb1EJPdPiS1_jEEvDpT3_.num_named_barrier, 0
	.set _Z6kernelI27subtract_right_partial_tileLj256ELj1ELb1EJPdPiS1_jEEvDpT3_.private_seg_size, 0
	.set _Z6kernelI27subtract_right_partial_tileLj256ELj1ELb1EJPdPiS1_jEEvDpT3_.uses_vcc, 0
	.set _Z6kernelI27subtract_right_partial_tileLj256ELj1ELb1EJPdPiS1_jEEvDpT3_.uses_flat_scratch, 0
	.set _Z6kernelI27subtract_right_partial_tileLj256ELj1ELb1EJPdPiS1_jEEvDpT3_.has_dyn_sized_stack, 0
	.set _Z6kernelI27subtract_right_partial_tileLj256ELj1ELb1EJPdPiS1_jEEvDpT3_.has_recursion, 0
	.set _Z6kernelI27subtract_right_partial_tileLj256ELj1ELb1EJPdPiS1_jEEvDpT3_.has_indirect_call, 0
	.section	.AMDGPU.csdata,"",@progbits
; Kernel info:
; codeLenInByte = 372
; TotalNumSgprs: 13
; NumVgprs: 7
; ScratchSize: 0
; MemoryBound: 0
; FloatMode: 240
; IeeeMode: 1
; LDSByteSize: 4096 bytes/workgroup (compile time only)
; SGPRBlocks: 0
; VGPRBlocks: 0
; NumSGPRsForWavesPerEU: 13
; NumVGPRsForWavesPerEU: 7
; NamedBarCnt: 0
; Occupancy: 16
; WaveLimiterHint : 0
; COMPUTE_PGM_RSRC2:SCRATCH_EN: 0
; COMPUTE_PGM_RSRC2:USER_SGPR: 2
; COMPUTE_PGM_RSRC2:TRAP_HANDLER: 0
; COMPUTE_PGM_RSRC2:TGID_X_EN: 1
; COMPUTE_PGM_RSRC2:TGID_Y_EN: 0
; COMPUTE_PGM_RSRC2:TGID_Z_EN: 0
; COMPUTE_PGM_RSRC2:TIDIG_COMP_CNT: 0
	.section	.text._Z6kernelI27subtract_right_partial_tileLj256ELj3ELb1EJPdPiS1_jEEvDpT3_,"axG",@progbits,_Z6kernelI27subtract_right_partial_tileLj256ELj3ELb1EJPdPiS1_jEEvDpT3_,comdat
	.protected	_Z6kernelI27subtract_right_partial_tileLj256ELj3ELb1EJPdPiS1_jEEvDpT3_ ; -- Begin function _Z6kernelI27subtract_right_partial_tileLj256ELj3ELb1EJPdPiS1_jEEvDpT3_
	.globl	_Z6kernelI27subtract_right_partial_tileLj256ELj3ELb1EJPdPiS1_jEEvDpT3_
	.p2align	8
	.type	_Z6kernelI27subtract_right_partial_tileLj256ELj3ELb1EJPdPiS1_jEEvDpT3_,@function
_Z6kernelI27subtract_right_partial_tileLj256ELj3ELb1EJPdPiS1_jEEvDpT3_: ; @_Z6kernelI27subtract_right_partial_tileLj256ELj3ELb1EJPdPiS1_jEEvDpT3_
; %bb.0:
	s_load_b128 s[8:11], s[0:1], 0x0
	s_bfe_u32 s2, ttmp6, 0x4000c
	s_and_b32 s3, ttmp6, 15
	s_add_co_i32 s2, s2, 1
	s_getreg_b32 s4, hwreg(HW_REG_IB_STS2, 6, 4)
	s_mul_i32 s2, ttmp9, s2
	v_mad_u32_u24 v10, v0, 3, 1
	s_add_co_i32 s3, s3, s2
	s_cmp_eq_u32 s4, 0
	v_mad_u32_u24 v11, v0, 3, 2
	s_cselect_b32 s12, ttmp9, s3
	s_mov_b32 s3, 0
	s_mul_i32 s2, s12, 0x300
	v_mad_u32_u24 v12, v0, 3, 3
	s_lshl_b64 s[4:5], s[2:3], 3
	s_wait_xcnt 0x0
	s_load_b96 s[0:2], s[0:1], 0x10
	s_wait_kmcnt 0x0
	s_add_nc_u64 s[6:7], s[8:9], s[4:5]
	s_clause 0x2
	global_load_b64 v[2:3], v0, s[6:7] scale_offset
	global_load_b64 v[4:5], v0, s[6:7] offset:2048 scale_offset
	global_load_b64 v[6:7], v0, s[6:7] offset:4096 scale_offset
	s_cvt_f32_u32 s3, s2
	s_wait_xcnt 0x0
	s_sub_co_i32 s6, 0, s2
	s_delay_alu instid0(SALU_CYCLE_1) | instskip(SKIP_1) | instid1(TRANS32_DEP_1)
	v_rcp_iflag_f32_e32 v1, s3
	v_nop
	v_readfirstlane_b32 s3, v1
	v_lshlrev_b32_e32 v1, 3, v0
	s_mul_f32 s3, s3, 0x4f7ffffe
	s_delay_alu instid0(SALU_CYCLE_3) | instskip(NEXT) | instid1(SALU_CYCLE_3)
	s_cvt_u32_f32 s3, s3
	s_mul_i32 s6, s6, s3
	s_delay_alu instid0(SALU_CYCLE_1) | instskip(NEXT) | instid1(SALU_CYCLE_1)
	s_mul_hi_u32 s6, s3, s6
	s_add_co_i32 s3, s3, s6
	s_delay_alu instid0(SALU_CYCLE_1)
	s_mul_hi_u32 s7, s3, 0x300
	s_load_b32 s3, s[10:11], s12 offset:0x0 scale_offset
	s_mul_i32 s6, s7, s2
	s_add_co_i32 s9, s7, 1
	s_sub_co_i32 s8, 0x300, s6
	s_mov_b32 s6, s0
	s_wait_xcnt 0x0
	s_sub_co_i32 s10, s8, s2
	s_cmp_ge_u32 s8, s2
	s_cselect_b32 s0, s9, s7
	s_cselect_b32 s7, s10, s8
	s_add_co_i32 s8, s0, 1
	s_cmp_ge_u32 s7, s2
	s_mov_b32 s7, s1
	s_cselect_b32 s0, s8, s0
	s_delay_alu instid0(SALU_CYCLE_1)
	s_add_co_i32 s1, s0, 1
	s_branch .LBB235_2
.LBB235_1:                              ;   in Loop: Header=BB235_2 Depth=1
	s_or_b32 exec_lo, exec_lo, s0
	v_add_f64_e64 v[14:15], v[2:3], -v[4:5]
	v_add_f64_e64 v[16:17], v[4:5], -v[6:7]
	v_cmp_gt_u32_e32 vcc_lo, s3, v10
	v_cmp_gt_u32_e64 s0, s3, v11
	v_add_f64_e32 v[6:7], v[6:7], v[8:9]
	s_add_co_i32 s2, s2, -1
	s_barrier_signal -1
	s_barrier_wait -1
	v_dual_cndmask_b32 v15, v3, v15 :: v_dual_cndmask_b32 v14, v2, v14
	v_dual_cndmask_b32 v17, v5, v17, s0 :: v_dual_cndmask_b32 v16, v4, v16, s0
	s_add_co_i32 s0, s1, s3
	s_delay_alu instid0(VALU_DEP_2) | instskip(SKIP_1) | instid1(VALU_DEP_2)
	v_add_f64_e32 v[2:3], v[2:3], v[14:15]
	s_mul_hi_u32 s3, s0, 0xaaaaaaab
	v_add_f64_e32 v[4:5], v[4:5], v[16:17]
	s_lshr_b32 s3, s3, 9
	s_delay_alu instid0(SALU_CYCLE_1) | instskip(NEXT) | instid1(SALU_CYCLE_1)
	s_mulk_i32 s3, 0x300
	s_sub_co_i32 s3, s0, s3
	s_cmp_lg_u32 s2, 0
	s_cbranch_scc0 .LBB235_4
.LBB235_2:                              ; =>This Inner Loop Header: Depth=1
	s_wait_loadcnt 0x0
	v_mov_b64_e32 v[8:9], v[6:7]
	s_mov_b32 s0, exec_lo
	ds_store_b64 v1, v[2:3] offset:2048
	s_wait_dscnt 0x0
	s_barrier_signal -1
	s_barrier_wait -1
	s_wait_kmcnt 0x0
	v_cmpx_gt_u32_e64 s3, v12
	s_cbranch_execz .LBB235_1
; %bb.3:                                ;   in Loop: Header=BB235_2 Depth=1
	ds_load_b64 v[8:9], v1 offset:2056
	s_wait_dscnt 0x0
	v_add_f64_e64 v[8:9], v[6:7], -v[8:9]
	s_branch .LBB235_1
.LBB235_4:
	s_add_nc_u64 s[0:1], s[6:7], s[4:5]
	s_clause 0x2
	global_store_b64 v0, v[2:3], s[0:1] scale_offset
	global_store_b64 v0, v[4:5], s[0:1] offset:2048 scale_offset
	global_store_b64 v0, v[6:7], s[0:1] offset:4096 scale_offset
	s_endpgm
	.section	.rodata,"a",@progbits
	.p2align	6, 0x0
	.amdhsa_kernel _Z6kernelI27subtract_right_partial_tileLj256ELj3ELb1EJPdPiS1_jEEvDpT3_
		.amdhsa_group_segment_fixed_size 4096
		.amdhsa_private_segment_fixed_size 0
		.amdhsa_kernarg_size 28
		.amdhsa_user_sgpr_count 2
		.amdhsa_user_sgpr_dispatch_ptr 0
		.amdhsa_user_sgpr_queue_ptr 0
		.amdhsa_user_sgpr_kernarg_segment_ptr 1
		.amdhsa_user_sgpr_dispatch_id 0
		.amdhsa_user_sgpr_kernarg_preload_length 0
		.amdhsa_user_sgpr_kernarg_preload_offset 0
		.amdhsa_user_sgpr_private_segment_size 0
		.amdhsa_wavefront_size32 1
		.amdhsa_uses_dynamic_stack 0
		.amdhsa_enable_private_segment 0
		.amdhsa_system_sgpr_workgroup_id_x 1
		.amdhsa_system_sgpr_workgroup_id_y 0
		.amdhsa_system_sgpr_workgroup_id_z 0
		.amdhsa_system_sgpr_workgroup_info 0
		.amdhsa_system_vgpr_workitem_id 0
		.amdhsa_next_free_vgpr 18
		.amdhsa_next_free_sgpr 13
		.amdhsa_named_barrier_count 0
		.amdhsa_reserve_vcc 1
		.amdhsa_float_round_mode_32 0
		.amdhsa_float_round_mode_16_64 0
		.amdhsa_float_denorm_mode_32 3
		.amdhsa_float_denorm_mode_16_64 3
		.amdhsa_fp16_overflow 0
		.amdhsa_memory_ordered 1
		.amdhsa_forward_progress 1
		.amdhsa_inst_pref_size 5
		.amdhsa_round_robin_scheduling 0
		.amdhsa_exception_fp_ieee_invalid_op 0
		.amdhsa_exception_fp_denorm_src 0
		.amdhsa_exception_fp_ieee_div_zero 0
		.amdhsa_exception_fp_ieee_overflow 0
		.amdhsa_exception_fp_ieee_underflow 0
		.amdhsa_exception_fp_ieee_inexact 0
		.amdhsa_exception_int_div_zero 0
	.end_amdhsa_kernel
	.section	.text._Z6kernelI27subtract_right_partial_tileLj256ELj3ELb1EJPdPiS1_jEEvDpT3_,"axG",@progbits,_Z6kernelI27subtract_right_partial_tileLj256ELj3ELb1EJPdPiS1_jEEvDpT3_,comdat
.Lfunc_end235:
	.size	_Z6kernelI27subtract_right_partial_tileLj256ELj3ELb1EJPdPiS1_jEEvDpT3_, .Lfunc_end235-_Z6kernelI27subtract_right_partial_tileLj256ELj3ELb1EJPdPiS1_jEEvDpT3_
                                        ; -- End function
	.set _Z6kernelI27subtract_right_partial_tileLj256ELj3ELb1EJPdPiS1_jEEvDpT3_.num_vgpr, 18
	.set _Z6kernelI27subtract_right_partial_tileLj256ELj3ELb1EJPdPiS1_jEEvDpT3_.num_agpr, 0
	.set _Z6kernelI27subtract_right_partial_tileLj256ELj3ELb1EJPdPiS1_jEEvDpT3_.numbered_sgpr, 13
	.set _Z6kernelI27subtract_right_partial_tileLj256ELj3ELb1EJPdPiS1_jEEvDpT3_.num_named_barrier, 0
	.set _Z6kernelI27subtract_right_partial_tileLj256ELj3ELb1EJPdPiS1_jEEvDpT3_.private_seg_size, 0
	.set _Z6kernelI27subtract_right_partial_tileLj256ELj3ELb1EJPdPiS1_jEEvDpT3_.uses_vcc, 1
	.set _Z6kernelI27subtract_right_partial_tileLj256ELj3ELb1EJPdPiS1_jEEvDpT3_.uses_flat_scratch, 0
	.set _Z6kernelI27subtract_right_partial_tileLj256ELj3ELb1EJPdPiS1_jEEvDpT3_.has_dyn_sized_stack, 0
	.set _Z6kernelI27subtract_right_partial_tileLj256ELj3ELb1EJPdPiS1_jEEvDpT3_.has_recursion, 0
	.set _Z6kernelI27subtract_right_partial_tileLj256ELj3ELb1EJPdPiS1_jEEvDpT3_.has_indirect_call, 0
	.section	.AMDGPU.csdata,"",@progbits
; Kernel info:
; codeLenInByte = 532
; TotalNumSgprs: 15
; NumVgprs: 18
; ScratchSize: 0
; MemoryBound: 0
; FloatMode: 240
; IeeeMode: 1
; LDSByteSize: 4096 bytes/workgroup (compile time only)
; SGPRBlocks: 0
; VGPRBlocks: 1
; NumSGPRsForWavesPerEU: 15
; NumVGPRsForWavesPerEU: 18
; NamedBarCnt: 0
; Occupancy: 16
; WaveLimiterHint : 1
; COMPUTE_PGM_RSRC2:SCRATCH_EN: 0
; COMPUTE_PGM_RSRC2:USER_SGPR: 2
; COMPUTE_PGM_RSRC2:TRAP_HANDLER: 0
; COMPUTE_PGM_RSRC2:TGID_X_EN: 1
; COMPUTE_PGM_RSRC2:TGID_Y_EN: 0
; COMPUTE_PGM_RSRC2:TGID_Z_EN: 0
; COMPUTE_PGM_RSRC2:TIDIG_COMP_CNT: 0
	.section	.text._Z6kernelI27subtract_right_partial_tileLj256ELj4ELb1EJPdPiS1_jEEvDpT3_,"axG",@progbits,_Z6kernelI27subtract_right_partial_tileLj256ELj4ELb1EJPdPiS1_jEEvDpT3_,comdat
	.protected	_Z6kernelI27subtract_right_partial_tileLj256ELj4ELb1EJPdPiS1_jEEvDpT3_ ; -- Begin function _Z6kernelI27subtract_right_partial_tileLj256ELj4ELb1EJPdPiS1_jEEvDpT3_
	.globl	_Z6kernelI27subtract_right_partial_tileLj256ELj4ELb1EJPdPiS1_jEEvDpT3_
	.p2align	8
	.type	_Z6kernelI27subtract_right_partial_tileLj256ELj4ELb1EJPdPiS1_jEEvDpT3_,@function
_Z6kernelI27subtract_right_partial_tileLj256ELj4ELb1EJPdPiS1_jEEvDpT3_: ; @_Z6kernelI27subtract_right_partial_tileLj256ELj4ELb1EJPdPiS1_jEEvDpT3_
; %bb.0:
	s_load_b128 s[8:11], s[0:1], 0x0
	s_bfe_u32 s2, ttmp6, 0x4000c
	s_and_b32 s3, ttmp6, 15
	s_add_co_i32 s2, s2, 1
	s_getreg_b32 s4, hwreg(HW_REG_IB_STS2, 6, 4)
	s_mul_i32 s2, ttmp9, s2
	v_lshlrev_b32_e32 v10, 2, v0
	s_add_co_i32 s3, s3, s2
	s_cmp_eq_u32 s4, 0
	s_cselect_b32 s12, ttmp9, s3
	s_mov_b32 s3, 0
	s_lshl_b32 s2, s12, 10
	s_delay_alu instid0(SALU_CYCLE_1)
	s_lshl_b64 s[4:5], s[2:3], 3
	s_wait_xcnt 0x0
	s_load_b96 s[0:2], s[0:1], 0x10
	s_wait_kmcnt 0x0
	s_add_nc_u64 s[6:7], s[8:9], s[4:5]
	s_clause 0x3
	global_load_b64 v[2:3], v0, s[6:7] scale_offset
	global_load_b64 v[4:5], v0, s[6:7] offset:2048 scale_offset
	global_load_b64 v[6:7], v0, s[6:7] offset:4096 scale_offset
	;; [unrolled: 1-line block ×3, first 2 shown]
	s_cvt_f32_u32 s3, s2
	s_wait_xcnt 0x0
	s_sub_co_i32 s6, 0, s2
	s_delay_alu instid0(SALU_CYCLE_1) | instskip(SKIP_1) | instid1(TRANS32_DEP_1)
	v_rcp_iflag_f32_e32 v1, s3
	v_nop
	v_readfirstlane_b32 s3, v1
	v_dual_lshlrev_b32 v1, 3, v0 :: v_dual_bitop2_b32 v12, 1, v10 bitop3:0x54
	v_dual_add_nc_u32 v15, 4, v10 :: v_dual_bitop2_b32 v13, 2, v10 bitop3:0x54
	s_mul_f32 s3, s3, 0x4f7ffffe
	v_or_b32_e32 v14, 3, v10
	s_delay_alu instid0(SALU_CYCLE_2) | instskip(NEXT) | instid1(SALU_CYCLE_3)
	s_cvt_u32_f32 s3, s3
	s_mul_i32 s6, s6, s3
	s_delay_alu instid0(SALU_CYCLE_1) | instskip(NEXT) | instid1(SALU_CYCLE_1)
	s_mul_hi_u32 s6, s3, s6
	s_add_co_i32 s3, s3, s6
	s_delay_alu instid0(SALU_CYCLE_1)
	s_lshr_b32 s7, s3, 22
	s_load_b32 s3, s[10:11], s12 offset:0x0 scale_offset
	s_mul_i32 s6, s7, s2
	s_add_co_i32 s9, s7, 1
	s_sub_co_i32 s8, 0x400, s6
	s_mov_b32 s6, s0
	s_wait_xcnt 0x0
	s_sub_co_i32 s10, s8, s2
	s_cmp_ge_u32 s8, s2
	s_cselect_b32 s0, s9, s7
	s_cselect_b32 s7, s10, s8
	s_add_co_i32 s8, s0, 1
	s_cmp_ge_u32 s7, s2
	s_mov_b32 s7, s1
	s_cselect_b32 s8, s8, s0
	s_delay_alu instid0(SALU_CYCLE_1)
	s_add_co_i32 s8, s8, 1
	s_branch .LBB236_2
.LBB236_1:                              ;   in Loop: Header=BB236_2 Depth=1
	s_or_b32 exec_lo, exec_lo, s0
	v_cmp_gt_u32_e32 vcc_lo, s3, v12
	v_add_f64_e64 v[18:19], v[4:5], -v[6:7]
	v_cmp_gt_u32_e64 s0, s3, v13
	v_add_f64_e64 v[16:17], v[2:3], -v[4:5]
	v_cmp_gt_u32_e64 s1, s3, v14
	s_add_co_i32 s2, s2, -1
	s_barrier_signal -1
	s_barrier_wait -1
	v_dual_cndmask_b32 v19, v5, v19, s0 :: v_dual_cndmask_b32 v17, v3, v17, vcc_lo
	v_dual_add_f64 v[20:21], v[6:7], -v[8:9] :: v_dual_cndmask_b32 v18, v4, v18, s0
	v_dual_add_f64 v[8:9], v[8:9], v[10:11] :: v_dual_cndmask_b32 v16, v2, v16, vcc_lo
	s_add_co_i32 s0, s8, s3
	s_delay_alu instid0(SALU_CYCLE_1) | instskip(SKIP_1) | instid1(VALU_DEP_2)
	s_and_b32 s3, s0, 0x3ff
	s_cmp_lg_u32 s2, 0
	v_dual_add_f64 v[4:5], v[4:5], v[18:19] :: v_dual_cndmask_b32 v20, v6, v20, s1
	s_delay_alu instid0(VALU_DEP_3) | instskip(SKIP_1) | instid1(VALU_DEP_2)
	v_cndmask_b32_e64 v21, v7, v21, s1
	v_add_f64_e32 v[2:3], v[2:3], v[16:17]
	v_add_f64_e32 v[6:7], v[6:7], v[20:21]
	s_cbranch_scc0 .LBB236_4
.LBB236_2:                              ; =>This Inner Loop Header: Depth=1
	s_wait_loadcnt 0x0
	v_mov_b64_e32 v[10:11], v[8:9]
	s_mov_b32 s0, exec_lo
	ds_store_b64 v1, v[2:3] offset:2048
	s_wait_dscnt 0x0
	s_barrier_signal -1
	s_barrier_wait -1
	s_wait_kmcnt 0x0
	v_cmpx_gt_u32_e64 s3, v15
	s_cbranch_execz .LBB236_1
; %bb.3:                                ;   in Loop: Header=BB236_2 Depth=1
	ds_load_b64 v[10:11], v1 offset:2056
	s_wait_dscnt 0x0
	v_add_f64_e64 v[10:11], v[8:9], -v[10:11]
	s_branch .LBB236_1
.LBB236_4:
	s_add_nc_u64 s[0:1], s[6:7], s[4:5]
	s_clause 0x3
	global_store_b64 v0, v[2:3], s[0:1] scale_offset
	global_store_b64 v0, v[4:5], s[0:1] offset:2048 scale_offset
	global_store_b64 v0, v[6:7], s[0:1] offset:4096 scale_offset
	;; [unrolled: 1-line block ×3, first 2 shown]
	s_endpgm
	.section	.rodata,"a",@progbits
	.p2align	6, 0x0
	.amdhsa_kernel _Z6kernelI27subtract_right_partial_tileLj256ELj4ELb1EJPdPiS1_jEEvDpT3_
		.amdhsa_group_segment_fixed_size 4096
		.amdhsa_private_segment_fixed_size 0
		.amdhsa_kernarg_size 28
		.amdhsa_user_sgpr_count 2
		.amdhsa_user_sgpr_dispatch_ptr 0
		.amdhsa_user_sgpr_queue_ptr 0
		.amdhsa_user_sgpr_kernarg_segment_ptr 1
		.amdhsa_user_sgpr_dispatch_id 0
		.amdhsa_user_sgpr_kernarg_preload_length 0
		.amdhsa_user_sgpr_kernarg_preload_offset 0
		.amdhsa_user_sgpr_private_segment_size 0
		.amdhsa_wavefront_size32 1
		.amdhsa_uses_dynamic_stack 0
		.amdhsa_enable_private_segment 0
		.amdhsa_system_sgpr_workgroup_id_x 1
		.amdhsa_system_sgpr_workgroup_id_y 0
		.amdhsa_system_sgpr_workgroup_id_z 0
		.amdhsa_system_sgpr_workgroup_info 0
		.amdhsa_system_vgpr_workitem_id 0
		.amdhsa_next_free_vgpr 22
		.amdhsa_next_free_sgpr 13
		.amdhsa_named_barrier_count 0
		.amdhsa_reserve_vcc 1
		.amdhsa_float_round_mode_32 0
		.amdhsa_float_round_mode_16_64 0
		.amdhsa_float_denorm_mode_32 3
		.amdhsa_float_denorm_mode_16_64 3
		.amdhsa_fp16_overflow 0
		.amdhsa_memory_ordered 1
		.amdhsa_forward_progress 1
		.amdhsa_inst_pref_size 5
		.amdhsa_round_robin_scheduling 0
		.amdhsa_exception_fp_ieee_invalid_op 0
		.amdhsa_exception_fp_denorm_src 0
		.amdhsa_exception_fp_ieee_div_zero 0
		.amdhsa_exception_fp_ieee_overflow 0
		.amdhsa_exception_fp_ieee_underflow 0
		.amdhsa_exception_fp_ieee_inexact 0
		.amdhsa_exception_int_div_zero 0
	.end_amdhsa_kernel
	.section	.text._Z6kernelI27subtract_right_partial_tileLj256ELj4ELb1EJPdPiS1_jEEvDpT3_,"axG",@progbits,_Z6kernelI27subtract_right_partial_tileLj256ELj4ELb1EJPdPiS1_jEEvDpT3_,comdat
.Lfunc_end236:
	.size	_Z6kernelI27subtract_right_partial_tileLj256ELj4ELb1EJPdPiS1_jEEvDpT3_, .Lfunc_end236-_Z6kernelI27subtract_right_partial_tileLj256ELj4ELb1EJPdPiS1_jEEvDpT3_
                                        ; -- End function
	.set _Z6kernelI27subtract_right_partial_tileLj256ELj4ELb1EJPdPiS1_jEEvDpT3_.num_vgpr, 22
	.set _Z6kernelI27subtract_right_partial_tileLj256ELj4ELb1EJPdPiS1_jEEvDpT3_.num_agpr, 0
	.set _Z6kernelI27subtract_right_partial_tileLj256ELj4ELb1EJPdPiS1_jEEvDpT3_.numbered_sgpr, 13
	.set _Z6kernelI27subtract_right_partial_tileLj256ELj4ELb1EJPdPiS1_jEEvDpT3_.num_named_barrier, 0
	.set _Z6kernelI27subtract_right_partial_tileLj256ELj4ELb1EJPdPiS1_jEEvDpT3_.private_seg_size, 0
	.set _Z6kernelI27subtract_right_partial_tileLj256ELj4ELb1EJPdPiS1_jEEvDpT3_.uses_vcc, 1
	.set _Z6kernelI27subtract_right_partial_tileLj256ELj4ELb1EJPdPiS1_jEEvDpT3_.uses_flat_scratch, 0
	.set _Z6kernelI27subtract_right_partial_tileLj256ELj4ELb1EJPdPiS1_jEEvDpT3_.has_dyn_sized_stack, 0
	.set _Z6kernelI27subtract_right_partial_tileLj256ELj4ELb1EJPdPiS1_jEEvDpT3_.has_recursion, 0
	.set _Z6kernelI27subtract_right_partial_tileLj256ELj4ELb1EJPdPiS1_jEEvDpT3_.has_indirect_call, 0
	.section	.AMDGPU.csdata,"",@progbits
; Kernel info:
; codeLenInByte = 584
; TotalNumSgprs: 15
; NumVgprs: 22
; ScratchSize: 0
; MemoryBound: 0
; FloatMode: 240
; IeeeMode: 1
; LDSByteSize: 4096 bytes/workgroup (compile time only)
; SGPRBlocks: 0
; VGPRBlocks: 1
; NumSGPRsForWavesPerEU: 15
; NumVGPRsForWavesPerEU: 22
; NamedBarCnt: 0
; Occupancy: 16
; WaveLimiterHint : 1
; COMPUTE_PGM_RSRC2:SCRATCH_EN: 0
; COMPUTE_PGM_RSRC2:USER_SGPR: 2
; COMPUTE_PGM_RSRC2:TRAP_HANDLER: 0
; COMPUTE_PGM_RSRC2:TGID_X_EN: 1
; COMPUTE_PGM_RSRC2:TGID_Y_EN: 0
; COMPUTE_PGM_RSRC2:TGID_Z_EN: 0
; COMPUTE_PGM_RSRC2:TIDIG_COMP_CNT: 0
	.section	.text._Z6kernelI27subtract_right_partial_tileLj256ELj8ELb1EJPdPiS1_jEEvDpT3_,"axG",@progbits,_Z6kernelI27subtract_right_partial_tileLj256ELj8ELb1EJPdPiS1_jEEvDpT3_,comdat
	.protected	_Z6kernelI27subtract_right_partial_tileLj256ELj8ELb1EJPdPiS1_jEEvDpT3_ ; -- Begin function _Z6kernelI27subtract_right_partial_tileLj256ELj8ELb1EJPdPiS1_jEEvDpT3_
	.globl	_Z6kernelI27subtract_right_partial_tileLj256ELj8ELb1EJPdPiS1_jEEvDpT3_
	.p2align	8
	.type	_Z6kernelI27subtract_right_partial_tileLj256ELj8ELb1EJPdPiS1_jEEvDpT3_,@function
_Z6kernelI27subtract_right_partial_tileLj256ELj8ELb1EJPdPiS1_jEEvDpT3_: ; @_Z6kernelI27subtract_right_partial_tileLj256ELj8ELb1EJPdPiS1_jEEvDpT3_
; %bb.0:
	s_load_b128 s[4:7], s[0:1], 0x0
	s_bfe_u32 s2, ttmp6, 0x4000c
	s_and_b32 s3, ttmp6, 15
	s_add_co_i32 s2, s2, 1
	s_getreg_b32 s8, hwreg(HW_REG_IB_STS2, 6, 4)
	s_mul_i32 s2, ttmp9, s2
	s_delay_alu instid0(SALU_CYCLE_1)
	s_add_co_i32 s3, s3, s2
	s_cmp_eq_u32 s8, 0
	s_load_b96 s[8:10], s[0:1], 0x10
	s_cselect_b32 s11, ttmp9, s3
	s_mov_b32 s3, 0
	s_lshl_b32 s2, s11, 11
	s_delay_alu instid0(SALU_CYCLE_1)
	s_lshl_b64 s[12:13], s[2:3], 3
	s_wait_kmcnt 0x0
	s_add_nc_u64 s[0:1], s[4:5], s[12:13]
	s_clause 0x7
	global_load_b64 v[16:17], v0, s[0:1] scale_offset
	global_load_b64 v[14:15], v0, s[0:1] offset:2048 scale_offset
	global_load_b64 v[12:13], v0, s[0:1] offset:4096 scale_offset
	;; [unrolled: 1-line block ×7, first 2 shown]
	s_load_b32 s6, s[6:7], s11 offset:0x0 scale_offset
	s_cvt_f32_u32 s0, s10
	s_sub_co_i32 s1, 0, s10
	s_delay_alu instid0(SALU_CYCLE_2) | instskip(SKIP_1) | instid1(TRANS32_DEP_1)
	v_rcp_iflag_f32_e32 v1, s0
	v_nop
	v_readfirstlane_b32 s0, v1
	v_lshlrev_b32_e32 v1, 3, v0
	s_mul_f32 s0, s0, 0x4f7ffffe
	s_delay_alu instid0(VALU_DEP_1) | instskip(SKIP_1) | instid1(SALU_CYCLE_1)
	v_dual_add_nc_u32 v27, 8, v1 :: v_dual_bitop2_b32 v20, 1, v1 bitop3:0x54
	v_or_b32_e32 v21, 2, v1
	s_cvt_u32_f32 s0, s0
	v_or_b32_e32 v22, 3, v1
	v_or_b32_e32 v23, 4, v1
	;; [unrolled: 1-line block ×3, first 2 shown]
	s_mul_i32 s1, s1, s0
	v_or_b32_e32 v25, 6, v1
	s_mul_hi_u32 s1, s0, s1
	v_or_b32_e32 v26, 7, v1
	s_add_co_i32 s0, s0, s1
	s_delay_alu instid0(SALU_CYCLE_1) | instskip(NEXT) | instid1(SALU_CYCLE_1)
	s_lshr_b32 s0, s0, 21
	s_mul_i32 s1, s0, s10
	s_add_co_i32 s2, s0, 1
	s_sub_co_i32 s1, 0x800, s1
	s_delay_alu instid0(SALU_CYCLE_1)
	s_sub_co_i32 s3, s1, s10
	s_cmp_ge_u32 s1, s10
	s_cselect_b32 s0, s2, s0
	s_cselect_b32 s1, s3, s1
	s_add_co_i32 s2, s0, 1
	s_cmp_ge_u32 s1, s10
	s_wait_xcnt 0x0
	s_cselect_b32 s7, s2, s0
	s_delay_alu instid0(SALU_CYCLE_1)
	s_add_co_i32 s7, s7, 1
	s_branch .LBB237_2
.LBB237_1:                              ;   in Loop: Header=BB237_2 Depth=1
	s_or_b32 exec_lo, exec_lo, s0
	v_add_f64_e64 v[28:29], v[16:17], -v[14:15]
	v_add_f64_e64 v[30:31], v[14:15], -v[12:13]
	;; [unrolled: 1-line block ×7, first 2 shown]
	v_cmp_gt_u32_e32 vcc_lo, s6, v20
	v_cmp_gt_u32_e64 s0, s6, v21
	v_cmp_gt_u32_e64 s1, s6, v22
	;; [unrolled: 1-line block ×6, first 2 shown]
	v_add_f64_e32 v[2:3], v[2:3], v[18:19]
	s_add_co_i32 s10, s10, -1
	s_barrier_signal -1
	s_barrier_wait -1
	v_dual_cndmask_b32 v29, v17, v29 :: v_dual_cndmask_b32 v28, v16, v28
	v_dual_cndmask_b32 v31, v15, v31, s0 :: v_dual_cndmask_b32 v30, v14, v30, s0
	v_dual_cndmask_b32 v33, v13, v33, s1 :: v_dual_cndmask_b32 v32, v12, v32, s1
	;; [unrolled: 1-line block ×6, first 2 shown]
	v_add_f64_e32 v[16:17], v[16:17], v[28:29]
	v_add_f64_e32 v[14:15], v[14:15], v[30:31]
	v_add_f64_e32 v[12:13], v[12:13], v[32:33]
	v_add_f64_e32 v[10:11], v[10:11], v[34:35]
	v_add_f64_e32 v[8:9], v[8:9], v[36:37]
	v_add_f64_e32 v[6:7], v[6:7], v[38:39]
	v_add_f64_e32 v[4:5], v[4:5], v[40:41]
	s_add_co_i32 s0, s7, s6
	s_delay_alu instid0(SALU_CYCLE_1)
	s_and_b32 s6, s0, 0x7ff
	s_cmp_lg_u32 s10, 0
	s_cbranch_scc0 .LBB237_4
.LBB237_2:                              ; =>This Inner Loop Header: Depth=1
	s_wait_loadcnt 0x0
	v_mov_b64_e32 v[18:19], v[2:3]
	s_mov_b32 s0, exec_lo
	ds_store_b64 v1, v[16:17] offset:2048
	s_wait_dscnt 0x0
	s_barrier_signal -1
	s_barrier_wait -1
	s_wait_kmcnt 0x0
	v_cmpx_gt_u32_e64 s6, v27
	s_cbranch_execz .LBB237_1
; %bb.3:                                ;   in Loop: Header=BB237_2 Depth=1
	ds_load_b64 v[18:19], v1 offset:2056
	s_wait_dscnt 0x0
	v_add_f64_e64 v[18:19], v[2:3], -v[18:19]
	s_branch .LBB237_1
.LBB237_4:
	s_add_nc_u64 s[0:1], s[8:9], s[12:13]
	s_clause 0x7
	global_store_b64 v0, v[16:17], s[0:1] scale_offset
	global_store_b64 v0, v[14:15], s[0:1] offset:2048 scale_offset
	global_store_b64 v0, v[12:13], s[0:1] offset:4096 scale_offset
	;; [unrolled: 1-line block ×7, first 2 shown]
	s_endpgm
	.section	.rodata,"a",@progbits
	.p2align	6, 0x0
	.amdhsa_kernel _Z6kernelI27subtract_right_partial_tileLj256ELj8ELb1EJPdPiS1_jEEvDpT3_
		.amdhsa_group_segment_fixed_size 4096
		.amdhsa_private_segment_fixed_size 0
		.amdhsa_kernarg_size 28
		.amdhsa_user_sgpr_count 2
		.amdhsa_user_sgpr_dispatch_ptr 0
		.amdhsa_user_sgpr_queue_ptr 0
		.amdhsa_user_sgpr_kernarg_segment_ptr 1
		.amdhsa_user_sgpr_dispatch_id 0
		.amdhsa_user_sgpr_kernarg_preload_length 0
		.amdhsa_user_sgpr_kernarg_preload_offset 0
		.amdhsa_user_sgpr_private_segment_size 0
		.amdhsa_wavefront_size32 1
		.amdhsa_uses_dynamic_stack 0
		.amdhsa_enable_private_segment 0
		.amdhsa_system_sgpr_workgroup_id_x 1
		.amdhsa_system_sgpr_workgroup_id_y 0
		.amdhsa_system_sgpr_workgroup_id_z 0
		.amdhsa_system_sgpr_workgroup_info 0
		.amdhsa_system_vgpr_workitem_id 0
		.amdhsa_next_free_vgpr 42
		.amdhsa_next_free_sgpr 14
		.amdhsa_named_barrier_count 0
		.amdhsa_reserve_vcc 1
		.amdhsa_float_round_mode_32 0
		.amdhsa_float_round_mode_16_64 0
		.amdhsa_float_denorm_mode_32 3
		.amdhsa_float_denorm_mode_16_64 3
		.amdhsa_fp16_overflow 0
		.amdhsa_memory_ordered 1
		.amdhsa_forward_progress 1
		.amdhsa_inst_pref_size 7
		.amdhsa_round_robin_scheduling 0
		.amdhsa_exception_fp_ieee_invalid_op 0
		.amdhsa_exception_fp_denorm_src 0
		.amdhsa_exception_fp_ieee_div_zero 0
		.amdhsa_exception_fp_ieee_overflow 0
		.amdhsa_exception_fp_ieee_underflow 0
		.amdhsa_exception_fp_ieee_inexact 0
		.amdhsa_exception_int_div_zero 0
	.end_amdhsa_kernel
	.section	.text._Z6kernelI27subtract_right_partial_tileLj256ELj8ELb1EJPdPiS1_jEEvDpT3_,"axG",@progbits,_Z6kernelI27subtract_right_partial_tileLj256ELj8ELb1EJPdPiS1_jEEvDpT3_,comdat
.Lfunc_end237:
	.size	_Z6kernelI27subtract_right_partial_tileLj256ELj8ELb1EJPdPiS1_jEEvDpT3_, .Lfunc_end237-_Z6kernelI27subtract_right_partial_tileLj256ELj8ELb1EJPdPiS1_jEEvDpT3_
                                        ; -- End function
	.set _Z6kernelI27subtract_right_partial_tileLj256ELj8ELb1EJPdPiS1_jEEvDpT3_.num_vgpr, 42
	.set _Z6kernelI27subtract_right_partial_tileLj256ELj8ELb1EJPdPiS1_jEEvDpT3_.num_agpr, 0
	.set _Z6kernelI27subtract_right_partial_tileLj256ELj8ELb1EJPdPiS1_jEEvDpT3_.numbered_sgpr, 14
	.set _Z6kernelI27subtract_right_partial_tileLj256ELj8ELb1EJPdPiS1_jEEvDpT3_.num_named_barrier, 0
	.set _Z6kernelI27subtract_right_partial_tileLj256ELj8ELb1EJPdPiS1_jEEvDpT3_.private_seg_size, 0
	.set _Z6kernelI27subtract_right_partial_tileLj256ELj8ELb1EJPdPiS1_jEEvDpT3_.uses_vcc, 1
	.set _Z6kernelI27subtract_right_partial_tileLj256ELj8ELb1EJPdPiS1_jEEvDpT3_.uses_flat_scratch, 0
	.set _Z6kernelI27subtract_right_partial_tileLj256ELj8ELb1EJPdPiS1_jEEvDpT3_.has_dyn_sized_stack, 0
	.set _Z6kernelI27subtract_right_partial_tileLj256ELj8ELb1EJPdPiS1_jEEvDpT3_.has_recursion, 0
	.set _Z6kernelI27subtract_right_partial_tileLj256ELj8ELb1EJPdPiS1_jEEvDpT3_.has_indirect_call, 0
	.section	.AMDGPU.csdata,"",@progbits
; Kernel info:
; codeLenInByte = 792
; TotalNumSgprs: 16
; NumVgprs: 42
; ScratchSize: 0
; MemoryBound: 0
; FloatMode: 240
; IeeeMode: 1
; LDSByteSize: 4096 bytes/workgroup (compile time only)
; SGPRBlocks: 0
; VGPRBlocks: 2
; NumSGPRsForWavesPerEU: 16
; NumVGPRsForWavesPerEU: 42
; NamedBarCnt: 0
; Occupancy: 16
; WaveLimiterHint : 1
; COMPUTE_PGM_RSRC2:SCRATCH_EN: 0
; COMPUTE_PGM_RSRC2:USER_SGPR: 2
; COMPUTE_PGM_RSRC2:TRAP_HANDLER: 0
; COMPUTE_PGM_RSRC2:TGID_X_EN: 1
; COMPUTE_PGM_RSRC2:TGID_Y_EN: 0
; COMPUTE_PGM_RSRC2:TGID_Z_EN: 0
; COMPUTE_PGM_RSRC2:TIDIG_COMP_CNT: 0
	.section	.text._Z6kernelI27subtract_right_partial_tileLj256ELj16ELb1EJPdPiS1_jEEvDpT3_,"axG",@progbits,_Z6kernelI27subtract_right_partial_tileLj256ELj16ELb1EJPdPiS1_jEEvDpT3_,comdat
	.protected	_Z6kernelI27subtract_right_partial_tileLj256ELj16ELb1EJPdPiS1_jEEvDpT3_ ; -- Begin function _Z6kernelI27subtract_right_partial_tileLj256ELj16ELb1EJPdPiS1_jEEvDpT3_
	.globl	_Z6kernelI27subtract_right_partial_tileLj256ELj16ELb1EJPdPiS1_jEEvDpT3_
	.p2align	8
	.type	_Z6kernelI27subtract_right_partial_tileLj256ELj16ELb1EJPdPiS1_jEEvDpT3_,@function
_Z6kernelI27subtract_right_partial_tileLj256ELj16ELb1EJPdPiS1_jEEvDpT3_: ; @_Z6kernelI27subtract_right_partial_tileLj256ELj16ELb1EJPdPiS1_jEEvDpT3_
; %bb.0:
	s_load_b128 s[4:7], s[0:1], 0x0
	s_bfe_u32 s2, ttmp6, 0x4000c
	s_and_b32 s3, ttmp6, 15
	s_add_co_i32 s2, s2, 1
	s_getreg_b32 s8, hwreg(HW_REG_IB_STS2, 6, 4)
	s_mul_i32 s2, ttmp9, s2
	v_lshlrev_b32_e32 v34, 4, v0
	s_add_co_i32 s3, s3, s2
	s_cmp_eq_u32 s8, 0
	s_load_b96 s[8:10], s[0:1], 0x10
	s_cselect_b32 s11, ttmp9, s3
	s_mov_b32 s3, 0
	s_lshl_b32 s2, s11, 12
	s_delay_alu instid0(SALU_CYCLE_1)
	s_lshl_b64 s[12:13], s[2:3], 3
	s_wait_kmcnt 0x0
	s_add_nc_u64 s[0:1], s[4:5], s[12:13]
	s_clause 0xf
	global_load_b64 v[32:33], v0, s[0:1] scale_offset
	global_load_b64 v[30:31], v0, s[0:1] offset:2048 scale_offset
	global_load_b64 v[28:29], v0, s[0:1] offset:4096 scale_offset
	;; [unrolled: 1-line block ×15, first 2 shown]
	s_load_b32 s11, s[6:7], s11 offset:0x0 scale_offset
	s_cvt_f32_u32 s0, s10
	s_sub_co_i32 s1, 0, s10
	s_delay_alu instid0(SALU_CYCLE_2) | instskip(SKIP_1) | instid1(TRANS32_DEP_1)
	v_rcp_iflag_f32_e32 v1, s0
	v_nop
	v_readfirstlane_b32 s0, v1
	v_dual_lshlrev_b32 v1, 3, v0 :: v_dual_bitop2_b32 v36, 1, v34 bitop3:0x54
	v_dual_add_nc_u32 v51, 16, v34 :: v_dual_bitop2_b32 v37, 2, v34 bitop3:0x54
	s_mul_f32 s0, s0, 0x4f7ffffe
	v_or_b32_e32 v38, 3, v34
	v_or_b32_e32 v39, 4, v34
	;; [unrolled: 1-line block ×3, first 2 shown]
	s_cvt_u32_f32 s0, s0
	v_or_b32_e32 v41, 6, v34
	v_or_b32_e32 v42, 7, v34
	;; [unrolled: 1-line block ×3, first 2 shown]
	s_mul_i32 s1, s1, s0
	v_or_b32_e32 v44, 9, v34
	s_mul_hi_u32 s1, s0, s1
	v_or_b32_e32 v45, 10, v34
	s_add_co_i32 s0, s0, s1
	v_or_b32_e32 v46, 11, v34
	s_lshr_b32 s0, s0, 20
	v_or_b32_e32 v47, 12, v34
	s_mul_i32 s1, s0, s10
	s_add_co_i32 s2, s0, 1
	s_sub_co_i32 s1, 0x1000, s1
	v_or_b32_e32 v48, 13, v34
	s_sub_co_i32 s3, s1, s10
	s_cmp_ge_u32 s1, s10
	v_or_b32_e32 v49, 14, v34
	s_cselect_b32 s0, s2, s0
	s_cselect_b32 s1, s3, s1
	s_add_co_i32 s2, s0, 1
	s_cmp_ge_u32 s1, s10
	v_or_b32_e32 v50, 15, v34
	s_cselect_b32 s14, s2, s0
	s_delay_alu instid0(SALU_CYCLE_1)
	s_add_co_i32 s14, s14, 1
	s_branch .LBB238_2
.LBB238_1:                              ;   in Loop: Header=BB238_2 Depth=1
	s_or_b32 exec_lo, exec_lo, s0
	v_add_f64_e64 v[52:53], v[32:33], -v[30:31]
	v_add_f64_e64 v[54:55], v[30:31], -v[28:29]
	;; [unrolled: 1-line block ×15, first 2 shown]
	v_cmp_gt_u32_e32 vcc_lo, s11, v36
	v_cmp_gt_u32_e64 s0, s11, v37
	v_cmp_gt_u32_e64 s1, s11, v38
	;; [unrolled: 1-line block ×8, first 2 shown]
	v_add_f64_e32 v[2:3], v[2:3], v[34:35]
	s_add_co_i32 s10, s10, -1
	s_barrier_signal -1
	s_barrier_wait -1
	v_dual_cndmask_b32 v53, v33, v53 :: v_dual_cndmask_b32 v52, v32, v52
	v_cmp_gt_u32_e32 vcc_lo, s11, v45
	v_dual_cndmask_b32 v55, v31, v55, s0 :: v_dual_cndmask_b32 v54, v30, v54, s0
	v_cmp_gt_u32_e64 s0, s11, v46
	v_dual_cndmask_b32 v57, v29, v57, s1 :: v_dual_cndmask_b32 v56, v28, v56, s1
	v_dual_cndmask_b32 v71, v15, v71 :: v_dual_cndmask_b32 v70, v14, v70
	v_cmp_gt_u32_e32 vcc_lo, s11, v47
	s_delay_alu instid0(VALU_DEP_4)
	v_dual_cndmask_b32 v73, v13, v73, s0 :: v_dual_cndmask_b32 v72, v12, v72, s0
	v_cmp_gt_u32_e64 s0, s11, v48
	v_cmp_gt_u32_e64 s1, s11, v50
	v_dual_cndmask_b32 v75, v11, v75 :: v_dual_cndmask_b32 v74, v10, v74
	v_cmp_gt_u32_e32 vcc_lo, s11, v49
	v_dual_cndmask_b32 v59, v27, v59, s2 :: v_dual_cndmask_b32 v58, v26, v58, s2
	v_dual_cndmask_b32 v61, v25, v61, s3 :: v_dual_cndmask_b32 v60, v24, v60, s3
	;; [unrolled: 1-line block ×7, first 2 shown]
	v_dual_cndmask_b32 v79, v7, v79 :: v_dual_cndmask_b32 v78, v6, v78
	v_dual_cndmask_b32 v81, v5, v81, s1 :: v_dual_cndmask_b32 v80, v4, v80, s1
	v_add_f64_e32 v[32:33], v[32:33], v[52:53]
	v_add_f64_e32 v[30:31], v[30:31], v[54:55]
	;; [unrolled: 1-line block ×15, first 2 shown]
	s_add_co_i32 s0, s14, s11
	s_delay_alu instid0(SALU_CYCLE_1)
	s_and_b32 s11, s0, 0xfff
	s_cmp_lg_u32 s10, 0
	s_cbranch_scc0 .LBB238_4
.LBB238_2:                              ; =>This Inner Loop Header: Depth=1
	s_wait_loadcnt 0x0
	v_mov_b64_e32 v[34:35], v[2:3]
	s_mov_b32 s0, exec_lo
	ds_store_b64 v1, v[32:33] offset:2048
	s_wait_dscnt 0x0
	s_barrier_signal -1
	s_barrier_wait -1
	s_wait_kmcnt 0x0
	v_cmpx_gt_u32_e64 s11, v51
	s_cbranch_execz .LBB238_1
; %bb.3:                                ;   in Loop: Header=BB238_2 Depth=1
	ds_load_b64 v[34:35], v1 offset:2056
	s_wait_dscnt 0x0
	v_add_f64_e64 v[34:35], v[2:3], -v[34:35]
	s_branch .LBB238_1
.LBB238_4:
	s_add_nc_u64 s[0:1], s[8:9], s[12:13]
	s_clause 0xf
	global_store_b64 v0, v[32:33], s[0:1] scale_offset
	global_store_b64 v0, v[30:31], s[0:1] offset:2048 scale_offset
	global_store_b64 v0, v[28:29], s[0:1] offset:4096 scale_offset
	;; [unrolled: 1-line block ×15, first 2 shown]
	s_sendmsg sendmsg(MSG_DEALLOC_VGPRS)
	s_endpgm
	.section	.rodata,"a",@progbits
	.p2align	6, 0x0
	.amdhsa_kernel _Z6kernelI27subtract_right_partial_tileLj256ELj16ELb1EJPdPiS1_jEEvDpT3_
		.amdhsa_group_segment_fixed_size 4096
		.amdhsa_private_segment_fixed_size 0
		.amdhsa_kernarg_size 28
		.amdhsa_user_sgpr_count 2
		.amdhsa_user_sgpr_dispatch_ptr 0
		.amdhsa_user_sgpr_queue_ptr 0
		.amdhsa_user_sgpr_kernarg_segment_ptr 1
		.amdhsa_user_sgpr_dispatch_id 0
		.amdhsa_user_sgpr_kernarg_preload_length 0
		.amdhsa_user_sgpr_kernarg_preload_offset 0
		.amdhsa_user_sgpr_private_segment_size 0
		.amdhsa_wavefront_size32 1
		.amdhsa_uses_dynamic_stack 0
		.amdhsa_enable_private_segment 0
		.amdhsa_system_sgpr_workgroup_id_x 1
		.amdhsa_system_sgpr_workgroup_id_y 0
		.amdhsa_system_sgpr_workgroup_id_z 0
		.amdhsa_system_sgpr_workgroup_info 0
		.amdhsa_system_vgpr_workitem_id 0
		.amdhsa_next_free_vgpr 82
		.amdhsa_next_free_sgpr 15
		.amdhsa_named_barrier_count 0
		.amdhsa_reserve_vcc 1
		.amdhsa_float_round_mode_32 0
		.amdhsa_float_round_mode_16_64 0
		.amdhsa_float_denorm_mode_32 3
		.amdhsa_float_denorm_mode_16_64 3
		.amdhsa_fp16_overflow 0
		.amdhsa_memory_ordered 1
		.amdhsa_forward_progress 1
		.amdhsa_inst_pref_size 10
		.amdhsa_round_robin_scheduling 0
		.amdhsa_exception_fp_ieee_invalid_op 0
		.amdhsa_exception_fp_denorm_src 0
		.amdhsa_exception_fp_ieee_div_zero 0
		.amdhsa_exception_fp_ieee_overflow 0
		.amdhsa_exception_fp_ieee_underflow 0
		.amdhsa_exception_fp_ieee_inexact 0
		.amdhsa_exception_int_div_zero 0
	.end_amdhsa_kernel
	.section	.text._Z6kernelI27subtract_right_partial_tileLj256ELj16ELb1EJPdPiS1_jEEvDpT3_,"axG",@progbits,_Z6kernelI27subtract_right_partial_tileLj256ELj16ELb1EJPdPiS1_jEEvDpT3_,comdat
.Lfunc_end238:
	.size	_Z6kernelI27subtract_right_partial_tileLj256ELj16ELb1EJPdPiS1_jEEvDpT3_, .Lfunc_end238-_Z6kernelI27subtract_right_partial_tileLj256ELj16ELb1EJPdPiS1_jEEvDpT3_
                                        ; -- End function
	.set _Z6kernelI27subtract_right_partial_tileLj256ELj16ELb1EJPdPiS1_jEEvDpT3_.num_vgpr, 82
	.set _Z6kernelI27subtract_right_partial_tileLj256ELj16ELb1EJPdPiS1_jEEvDpT3_.num_agpr, 0
	.set _Z6kernelI27subtract_right_partial_tileLj256ELj16ELb1EJPdPiS1_jEEvDpT3_.numbered_sgpr, 15
	.set _Z6kernelI27subtract_right_partial_tileLj256ELj16ELb1EJPdPiS1_jEEvDpT3_.num_named_barrier, 0
	.set _Z6kernelI27subtract_right_partial_tileLj256ELj16ELb1EJPdPiS1_jEEvDpT3_.private_seg_size, 0
	.set _Z6kernelI27subtract_right_partial_tileLj256ELj16ELb1EJPdPiS1_jEEvDpT3_.uses_vcc, 1
	.set _Z6kernelI27subtract_right_partial_tileLj256ELj16ELb1EJPdPiS1_jEEvDpT3_.uses_flat_scratch, 0
	.set _Z6kernelI27subtract_right_partial_tileLj256ELj16ELb1EJPdPiS1_jEEvDpT3_.has_dyn_sized_stack, 0
	.set _Z6kernelI27subtract_right_partial_tileLj256ELj16ELb1EJPdPiS1_jEEvDpT3_.has_recursion, 0
	.set _Z6kernelI27subtract_right_partial_tileLj256ELj16ELb1EJPdPiS1_jEEvDpT3_.has_indirect_call, 0
	.section	.AMDGPU.csdata,"",@progbits
; Kernel info:
; codeLenInByte = 1244
; TotalNumSgprs: 17
; NumVgprs: 82
; ScratchSize: 0
; MemoryBound: 0
; FloatMode: 240
; IeeeMode: 1
; LDSByteSize: 4096 bytes/workgroup (compile time only)
; SGPRBlocks: 0
; VGPRBlocks: 5
; NumSGPRsForWavesPerEU: 17
; NumVGPRsForWavesPerEU: 82
; NamedBarCnt: 0
; Occupancy: 10
; WaveLimiterHint : 1
; COMPUTE_PGM_RSRC2:SCRATCH_EN: 0
; COMPUTE_PGM_RSRC2:USER_SGPR: 2
; COMPUTE_PGM_RSRC2:TRAP_HANDLER: 0
; COMPUTE_PGM_RSRC2:TGID_X_EN: 1
; COMPUTE_PGM_RSRC2:TGID_Y_EN: 0
; COMPUTE_PGM_RSRC2:TGID_Z_EN: 0
; COMPUTE_PGM_RSRC2:TIDIG_COMP_CNT: 0
	.section	.text._Z6kernelI27subtract_right_partial_tileLj256ELj32ELb1EJPdPiS1_jEEvDpT3_,"axG",@progbits,_Z6kernelI27subtract_right_partial_tileLj256ELj32ELb1EJPdPiS1_jEEvDpT3_,comdat
	.protected	_Z6kernelI27subtract_right_partial_tileLj256ELj32ELb1EJPdPiS1_jEEvDpT3_ ; -- Begin function _Z6kernelI27subtract_right_partial_tileLj256ELj32ELb1EJPdPiS1_jEEvDpT3_
	.globl	_Z6kernelI27subtract_right_partial_tileLj256ELj32ELb1EJPdPiS1_jEEvDpT3_
	.p2align	8
	.type	_Z6kernelI27subtract_right_partial_tileLj256ELj32ELb1EJPdPiS1_jEEvDpT3_,@function
_Z6kernelI27subtract_right_partial_tileLj256ELj32ELb1EJPdPiS1_jEEvDpT3_: ; @_Z6kernelI27subtract_right_partial_tileLj256ELj32ELb1EJPdPiS1_jEEvDpT3_
; %bb.0:
	s_load_b128 s[4:7], s[0:1], 0x0
	s_bfe_u32 s2, ttmp6, 0x4000c
	s_and_b32 s3, ttmp6, 15
	s_add_co_i32 s2, s2, 1
	s_getreg_b32 s8, hwreg(HW_REG_IB_STS2, 6, 4)
	s_mul_i32 s2, ttmp9, s2
	v_dual_lshlrev_b32 v66, 5, v0 :: v_dual_lshlrev_b32 v1, 3, v0
	s_add_co_i32 s3, s3, s2
	s_cmp_eq_u32 s8, 0
	s_load_b96 s[8:10], s[0:1], 0x10
	s_cselect_b32 s11, ttmp9, s3
	s_mov_b32 s3, 0
	s_lshl_b32 s2, s11, 13
	v_dual_add_nc_u32 v99, 32, v66 :: v_dual_bitop2_b32 v68, 1, v66 bitop3:0x54
	s_lshl_b64 s[12:13], s[2:3], 3
	v_or_b32_e32 v69, 2, v66
	v_or_b32_e32 v70, 3, v66
	;; [unrolled: 1-line block ×3, first 2 shown]
	s_wait_kmcnt 0x0
	s_add_nc_u64 s[2:3], s[4:5], s[12:13]
	v_or_b32_e32 v72, 5, v66
	s_clause 0x1f
	global_load_b64 v[8:9], v0, s[2:3] scale_offset
	global_load_b64 v[6:7], v0, s[2:3] offset:2048 scale_offset
	global_load_b64 v[4:5], v0, s[2:3] offset:4096 scale_offset
	;; [unrolled: 1-line block ×31, first 2 shown]
	s_load_b32 s7, s[6:7], s11 offset:0x0 scale_offset
	v_or_b32_e32 v73, 6, v66
	v_or_b32_e32 v74, 7, v66
	v_or_b32_e32 v75, 8, v66
	v_or_b32_e32 v76, 9, v66
	v_or_b32_e32 v77, 10, v66
	v_or_b32_e32 v78, 11, v66
	s_cvt_f32_u32 s0, s10
	s_sub_co_i32 s1, 0, s10
	v_or_b32_e32 v79, 12, v66
	v_or_b32_e32 v80, 13, v66
	v_rcp_iflag_f32_e32 v67, s0
	v_or_b32_e32 v81, 14, v66
	v_or_b32_e32 v82, 15, v66
	;; [unrolled: 1-line block ×6, first 2 shown]
	v_readfirstlane_b32 s0, v67
	v_or_b32_e32 v87, 20, v66
	v_or_b32_e32 v88, 21, v66
	;; [unrolled: 1-line block ×4, first 2 shown]
	s_mul_f32 s0, s0, 0x4f7ffffe
	v_or_b32_e32 v91, 24, v66
	v_or_b32_e32 v92, 25, v66
	;; [unrolled: 1-line block ×3, first 2 shown]
	s_cvt_u32_f32 s0, s0
	v_or_b32_e32 v94, 27, v66
	v_or_b32_e32 v95, 28, v66
	;; [unrolled: 1-line block ×3, first 2 shown]
	s_mul_i32 s1, s1, s0
	v_or_b32_e32 v97, 30, v66
	s_mul_hi_u32 s1, s0, s1
	v_or_b32_e32 v98, 31, v66
	s_add_co_i32 s0, s0, s1
	s_delay_alu instid0(SALU_CYCLE_1) | instskip(NEXT) | instid1(SALU_CYCLE_1)
	s_lshr_b32 s0, s0, 19
	s_mul_i32 s1, s0, s10
	s_add_co_i32 s2, s0, 1
	s_sub_co_i32 s1, 0x2000, s1
	s_delay_alu instid0(SALU_CYCLE_1)
	s_sub_co_i32 s3, s1, s10
	s_cmp_ge_u32 s1, s10
	s_cselect_b32 s0, s2, s0
	s_cselect_b32 s1, s3, s1
	s_add_co_i32 s2, s0, 1
	s_cmp_ge_u32 s1, s10
	s_wait_xcnt 0x0
	s_cselect_b32 s11, s2, s0
	s_delay_alu instid0(SALU_CYCLE_1)
	s_add_co_i32 s11, s11, 1
	s_branch .LBB239_2
.LBB239_1:                              ;   in Loop: Header=BB239_2 Depth=1
	s_or_b32 exec_lo, exec_lo, s0
	v_add_f64_e64 v[100:101], v[8:9], -v[6:7]
	v_add_f64_e64 v[116:117], v[24:25], -v[22:23]
	;; [unrolled: 1-line block ×11, first 2 shown]
	v_cmp_gt_u32_e32 vcc_lo, s7, v68
	v_add_f64_e64 v[130:131], v[58:59], -v[56:57]
	v_add_f64_e64 v[132:133], v[56:57], -v[54:55]
	;; [unrolled: 1-line block ×6, first 2 shown]
	v_cmp_gt_u32_e64 s0, s7, v69
	v_add_f64_e64 v[142:143], v[46:47], -v[44:45]
	v_add_f64_e64 v[146:147], v[42:43], -v[40:41]
	;; [unrolled: 1-line block ×13, first 2 shown]
	v_dual_cndmask_b32 v101, v9, v101 :: v_dual_cndmask_b32 v100, v8, v100
	v_cmp_gt_u32_e32 vcc_lo, s7, v76
	v_dual_cndmask_b32 v103, v7, v103, s0 :: v_dual_cndmask_b32 v102, v6, v102, s0
	v_cmp_gt_u32_e64 s0, s7, v77
	v_add_f64_e64 v[160:161], v[28:29], -v[26:27]
	v_dual_cndmask_b32 v117, v25, v117 :: v_dual_cndmask_b32 v116, v24, v116
	v_cmp_gt_u32_e32 vcc_lo, s7, v78
	s_delay_alu instid0(VALU_DEP_4) | instskip(SKIP_4) | instid1(VALU_DEP_4)
	v_dual_cndmask_b32 v119, v23, v119, s0 :: v_dual_cndmask_b32 v118, v22, v118, s0
	v_cmp_gt_u32_e64 s0, s7, v79
	v_cmp_gt_u32_e64 s1, s7, v70
	v_dual_cndmask_b32 v121, v21, v121 :: v_dual_cndmask_b32 v120, v20, v120
	v_cmp_gt_u32_e32 vcc_lo, s7, v80
	v_dual_cndmask_b32 v123, v19, v123, s0 :: v_dual_cndmask_b32 v122, v18, v122, s0
	v_cmp_gt_u32_e64 s0, s7, v81
	v_dual_cndmask_b32 v105, v5, v105, s1 :: v_dual_cndmask_b32 v104, v4, v104, s1
	v_dual_cndmask_b32 v125, v65, v125 :: v_dual_cndmask_b32 v124, v64, v124
	v_cmp_gt_u32_e32 vcc_lo, s7, v82
	s_delay_alu instid0(VALU_DEP_4) | instskip(SKIP_4) | instid1(VALU_DEP_4)
	v_dual_cndmask_b32 v127, v63, v127, s0 :: v_dual_cndmask_b32 v126, v62, v126, s0
	v_cmp_gt_u32_e64 s1, s7, v83
	v_cmp_gt_u32_e64 s0, s7, v84
	v_dual_cndmask_b32 v129, v61, v129 :: v_dual_cndmask_b32 v128, v60, v128
	v_cmp_gt_u32_e32 vcc_lo, s7, v85
	v_dual_cndmask_b32 v131, v59, v131, s1 :: v_dual_cndmask_b32 v130, v58, v130, s1
	s_delay_alu instid0(VALU_DEP_4)
	v_dual_cndmask_b32 v133, v57, v133, s0 :: v_dual_cndmask_b32 v132, v56, v132, s0
	v_dual_cndmask_b32 v135, v55, v135 :: v_dual_cndmask_b32 v134, v54, v134
	v_cmp_gt_u32_e32 vcc_lo, s7, v88
	v_cmp_gt_u32_e64 s1, s7, v86
	v_cmp_gt_u32_e64 s0, s7, v87
	v_cmp_gt_u32_e64 s2, s7, v71
	v_cmp_gt_u32_e64 s3, s7, v72
	v_dual_cndmask_b32 v141, v49, v141 :: v_dual_cndmask_b32 v140, v48, v140
	v_cmp_gt_u32_e32 vcc_lo, s7, v90
	v_dual_cndmask_b32 v137, v53, v137, s1 :: v_dual_cndmask_b32 v136, v52, v136, s1
	v_dual_cndmask_b32 v139, v51, v139, s0 :: v_dual_cndmask_b32 v138, v50, v138, s0
	v_cmp_gt_u32_e64 s1, s7, v89
	v_cmp_gt_u32_e64 s0, s7, v91
	v_dual_cndmask_b32 v145, v45, v145 :: v_dual_cndmask_b32 v144, v44, v144
	v_cmp_gt_u32_e32 vcc_lo, s7, v93
	s_delay_alu instid0(VALU_DEP_4)
	v_dual_cndmask_b32 v143, v47, v143, s1 :: v_dual_cndmask_b32 v142, v46, v142, s1
	v_cmp_gt_u32_e64 s1, s7, v92
	v_dual_cndmask_b32 v147, v43, v147, s0 :: v_dual_cndmask_b32 v146, v42, v146, s0
	v_cmp_gt_u32_e64 s0, s7, v94
	v_dual_cndmask_b32 v151, v39, v151 :: v_dual_cndmask_b32 v150, v38, v150
	v_cmp_gt_u32_e32 vcc_lo, s7, v95
	v_cmp_gt_u32_e64 s4, s7, v73
	v_cmp_gt_u32_e64 s5, s7, v74
	v_cmp_gt_u32_e64 s6, s7, v75
	v_dual_cndmask_b32 v149, v41, v149, s1 :: v_dual_cndmask_b32 v148, v40, v148, s1
	v_dual_cndmask_b32 v153, v37, v153, s0 :: v_dual_cndmask_b32 v152, v36, v152, s0
	v_dual_cndmask_b32 v155, v35, v155 :: v_dual_cndmask_b32 v154, v34, v154
	v_cmp_gt_u32_e64 s0, s7, v96
	v_cmp_gt_u32_e32 vcc_lo, s7, v97
	v_cmp_gt_u32_e64 s1, s7, v98
	v_dual_cndmask_b32 v107, v3, v107, s2 :: v_dual_cndmask_b32 v106, v2, v106, s2
	v_dual_cndmask_b32 v109, v17, v109, s3 :: v_dual_cndmask_b32 v108, v16, v108, s3
	;; [unrolled: 1-line block ×6, first 2 shown]
	v_dual_cndmask_b32 v159, v31, v159 :: v_dual_cndmask_b32 v158, v30, v158
	v_dual_cndmask_b32 v161, v29, v161, s1 :: v_dual_cndmask_b32 v160, v28, v160, s1
	v_add_f64_e32 v[8:9], v[8:9], v[100:101]
	v_add_f64_e32 v[6:7], v[6:7], v[102:103]
	;; [unrolled: 1-line block ×32, first 2 shown]
	s_add_co_i32 s0, s11, s7
	s_add_co_i32 s10, s10, -1
	s_and_b32 s7, s0, 0x1fff
	s_cmp_lg_u32 s10, 0
	s_barrier_signal -1
	s_barrier_wait -1
	s_cbranch_scc0 .LBB239_4
.LBB239_2:                              ; =>This Inner Loop Header: Depth=1
	s_wait_loadcnt 0x0
	s_delay_alu instid0(VALU_DEP_1)
	v_mov_b64_e32 v[66:67], v[26:27]
	s_mov_b32 s0, exec_lo
	ds_store_b64 v1, v[8:9] offset:2048
	s_wait_dscnt 0x0
	s_barrier_signal -1
	s_barrier_wait -1
	s_wait_kmcnt 0x0
	v_cmpx_gt_u32_e64 s7, v99
	s_cbranch_execz .LBB239_1
; %bb.3:                                ;   in Loop: Header=BB239_2 Depth=1
	ds_load_b64 v[66:67], v1 offset:2056
	s_wait_dscnt 0x0
	v_add_f64_e64 v[66:67], v[26:27], -v[66:67]
	s_branch .LBB239_1
.LBB239_4:
	s_add_nc_u64 s[0:1], s[8:9], s[12:13]
	s_clause 0x1f
	global_store_b64 v0, v[8:9], s[0:1] scale_offset
	global_store_b64 v0, v[6:7], s[0:1] offset:2048 scale_offset
	global_store_b64 v0, v[4:5], s[0:1] offset:4096 scale_offset
	;; [unrolled: 1-line block ×31, first 2 shown]
	s_sendmsg sendmsg(MSG_DEALLOC_VGPRS)
	s_endpgm
	.section	.rodata,"a",@progbits
	.p2align	6, 0x0
	.amdhsa_kernel _Z6kernelI27subtract_right_partial_tileLj256ELj32ELb1EJPdPiS1_jEEvDpT3_
		.amdhsa_group_segment_fixed_size 4096
		.amdhsa_private_segment_fixed_size 0
		.amdhsa_kernarg_size 28
		.amdhsa_user_sgpr_count 2
		.amdhsa_user_sgpr_dispatch_ptr 0
		.amdhsa_user_sgpr_queue_ptr 0
		.amdhsa_user_sgpr_kernarg_segment_ptr 1
		.amdhsa_user_sgpr_dispatch_id 0
		.amdhsa_user_sgpr_kernarg_preload_length 0
		.amdhsa_user_sgpr_kernarg_preload_offset 0
		.amdhsa_user_sgpr_private_segment_size 0
		.amdhsa_wavefront_size32 1
		.amdhsa_uses_dynamic_stack 0
		.amdhsa_enable_private_segment 0
		.amdhsa_system_sgpr_workgroup_id_x 1
		.amdhsa_system_sgpr_workgroup_id_y 0
		.amdhsa_system_sgpr_workgroup_id_z 0
		.amdhsa_system_sgpr_workgroup_info 0
		.amdhsa_system_vgpr_workitem_id 0
		.amdhsa_next_free_vgpr 162
		.amdhsa_next_free_sgpr 14
		.amdhsa_named_barrier_count 0
		.amdhsa_reserve_vcc 1
		.amdhsa_float_round_mode_32 0
		.amdhsa_float_round_mode_16_64 0
		.amdhsa_float_denorm_mode_32 3
		.amdhsa_float_denorm_mode_16_64 3
		.amdhsa_fp16_overflow 0
		.amdhsa_memory_ordered 1
		.amdhsa_forward_progress 1
		.amdhsa_inst_pref_size 17
		.amdhsa_round_robin_scheduling 0
		.amdhsa_exception_fp_ieee_invalid_op 0
		.amdhsa_exception_fp_denorm_src 0
		.amdhsa_exception_fp_ieee_div_zero 0
		.amdhsa_exception_fp_ieee_overflow 0
		.amdhsa_exception_fp_ieee_underflow 0
		.amdhsa_exception_fp_ieee_inexact 0
		.amdhsa_exception_int_div_zero 0
	.end_amdhsa_kernel
	.section	.text._Z6kernelI27subtract_right_partial_tileLj256ELj32ELb1EJPdPiS1_jEEvDpT3_,"axG",@progbits,_Z6kernelI27subtract_right_partial_tileLj256ELj32ELb1EJPdPiS1_jEEvDpT3_,comdat
.Lfunc_end239:
	.size	_Z6kernelI27subtract_right_partial_tileLj256ELj32ELb1EJPdPiS1_jEEvDpT3_, .Lfunc_end239-_Z6kernelI27subtract_right_partial_tileLj256ELj32ELb1EJPdPiS1_jEEvDpT3_
                                        ; -- End function
	.set _Z6kernelI27subtract_right_partial_tileLj256ELj32ELb1EJPdPiS1_jEEvDpT3_.num_vgpr, 162
	.set _Z6kernelI27subtract_right_partial_tileLj256ELj32ELb1EJPdPiS1_jEEvDpT3_.num_agpr, 0
	.set _Z6kernelI27subtract_right_partial_tileLj256ELj32ELb1EJPdPiS1_jEEvDpT3_.numbered_sgpr, 14
	.set _Z6kernelI27subtract_right_partial_tileLj256ELj32ELb1EJPdPiS1_jEEvDpT3_.num_named_barrier, 0
	.set _Z6kernelI27subtract_right_partial_tileLj256ELj32ELb1EJPdPiS1_jEEvDpT3_.private_seg_size, 0
	.set _Z6kernelI27subtract_right_partial_tileLj256ELj32ELb1EJPdPiS1_jEEvDpT3_.uses_vcc, 1
	.set _Z6kernelI27subtract_right_partial_tileLj256ELj32ELb1EJPdPiS1_jEEvDpT3_.uses_flat_scratch, 0
	.set _Z6kernelI27subtract_right_partial_tileLj256ELj32ELb1EJPdPiS1_jEEvDpT3_.has_dyn_sized_stack, 0
	.set _Z6kernelI27subtract_right_partial_tileLj256ELj32ELb1EJPdPiS1_jEEvDpT3_.has_recursion, 0
	.set _Z6kernelI27subtract_right_partial_tileLj256ELj32ELb1EJPdPiS1_jEEvDpT3_.has_indirect_call, 0
	.section	.AMDGPU.csdata,"",@progbits
; Kernel info:
; codeLenInByte = 2160
; TotalNumSgprs: 16
; NumVgprs: 162
; ScratchSize: 0
; MemoryBound: 0
; FloatMode: 240
; IeeeMode: 1
; LDSByteSize: 4096 bytes/workgroup (compile time only)
; SGPRBlocks: 0
; VGPRBlocks: 10
; NumSGPRsForWavesPerEU: 16
; NumVGPRsForWavesPerEU: 162
; NamedBarCnt: 0
; Occupancy: 5
; WaveLimiterHint : 1
; COMPUTE_PGM_RSRC2:SCRATCH_EN: 0
; COMPUTE_PGM_RSRC2:USER_SGPR: 2
; COMPUTE_PGM_RSRC2:TRAP_HANDLER: 0
; COMPUTE_PGM_RSRC2:TGID_X_EN: 1
; COMPUTE_PGM_RSRC2:TGID_Y_EN: 0
; COMPUTE_PGM_RSRC2:TGID_Z_EN: 0
; COMPUTE_PGM_RSRC2:TIDIG_COMP_CNT: 0
	.section	.AMDGPU.gpr_maximums,"",@progbits
	.set amdgpu.max_num_vgpr, 0
	.set amdgpu.max_num_agpr, 0
	.set amdgpu.max_num_sgpr, 0
	.section	.AMDGPU.csdata,"",@progbits
	.type	__hip_cuid_4f247788668160a9,@object ; @__hip_cuid_4f247788668160a9
	.section	.bss,"aw",@nobits
	.globl	__hip_cuid_4f247788668160a9
__hip_cuid_4f247788668160a9:
	.byte	0                               ; 0x0
	.size	__hip_cuid_4f247788668160a9, 1

	.ident	"AMD clang version 22.0.0git (https://github.com/RadeonOpenCompute/llvm-project roc-7.2.4 26084 f58b06dce1f9c15707c5f808fd002e18c2accf7e)"
	.section	".note.GNU-stack","",@progbits
	.addrsig
	.addrsig_sym __hip_cuid_4f247788668160a9
	.amdgpu_metadata
---
amdhsa.kernels:
  - .args:
      - .address_space:  global
        .offset:         0
        .size:           8
        .value_kind:     global_buffer
      - .address_space:  global
        .offset:         8
        .size:           8
        .value_kind:     global_buffer
      - .offset:         16
        .size:           4
        .value_kind:     by_value
    .group_segment_fixed_size: 2048
    .kernarg_segment_align: 8
    .kernarg_segment_size: 20
    .language:       OpenCL C
    .language_version:
      - 2
      - 0
    .max_flat_workgroup_size: 256
    .name:           _Z6kernelI13subtract_leftLj256ELj1ELb0EJPiS1_jEEvDpT3_
    .private_segment_fixed_size: 0
    .sgpr_count:     11
    .sgpr_spill_count: 0
    .symbol:         _Z6kernelI13subtract_leftLj256ELj1ELb0EJPiS1_jEEvDpT3_.kd
    .uniform_work_group_size: 1
    .uses_dynamic_stack: false
    .vgpr_count:     5
    .vgpr_spill_count: 0
    .wavefront_size: 32
  - .args:
      - .address_space:  global
        .offset:         0
        .size:           8
        .value_kind:     global_buffer
      - .address_space:  global
        .offset:         8
        .size:           8
        .value_kind:     global_buffer
      - .offset:         16
        .size:           4
        .value_kind:     by_value
    .group_segment_fixed_size: 2048
    .kernarg_segment_align: 8
    .kernarg_segment_size: 20
    .language:       OpenCL C
    .language_version:
      - 2
      - 0
    .max_flat_workgroup_size: 256
    .name:           _Z6kernelI13subtract_leftLj256ELj3ELb0EJPiS1_jEEvDpT3_
    .private_segment_fixed_size: 0
    .sgpr_count:     11
    .sgpr_spill_count: 0
    .symbol:         _Z6kernelI13subtract_leftLj256ELj3ELb0EJPiS1_jEEvDpT3_.kd
    .uniform_work_group_size: 1
    .uses_dynamic_stack: false
    .vgpr_count:     9
    .vgpr_spill_count: 0
    .wavefront_size: 32
  - .args:
      - .address_space:  global
        .offset:         0
        .size:           8
        .value_kind:     global_buffer
      - .address_space:  global
        .offset:         8
        .size:           8
        .value_kind:     global_buffer
      - .offset:         16
        .size:           4
        .value_kind:     by_value
    .group_segment_fixed_size: 2048
    .kernarg_segment_align: 8
    .kernarg_segment_size: 20
    .language:       OpenCL C
    .language_version:
      - 2
      - 0
    .max_flat_workgroup_size: 256
    .name:           _Z6kernelI13subtract_leftLj256ELj4ELb0EJPiS1_jEEvDpT3_
    .private_segment_fixed_size: 0
    .sgpr_count:     11
    .sgpr_spill_count: 0
    .symbol:         _Z6kernelI13subtract_leftLj256ELj4ELb0EJPiS1_jEEvDpT3_.kd
    .uniform_work_group_size: 1
    .uses_dynamic_stack: false
    .vgpr_count:     11
    .vgpr_spill_count: 0
    .wavefront_size: 32
  - .args:
      - .address_space:  global
        .offset:         0
        .size:           8
        .value_kind:     global_buffer
      - .address_space:  global
        .offset:         8
        .size:           8
        .value_kind:     global_buffer
      - .offset:         16
        .size:           4
        .value_kind:     by_value
    .group_segment_fixed_size: 2048
    .kernarg_segment_align: 8
    .kernarg_segment_size: 20
    .language:       OpenCL C
    .language_version:
      - 2
      - 0
    .max_flat_workgroup_size: 256
    .name:           _Z6kernelI13subtract_leftLj256ELj8ELb0EJPiS1_jEEvDpT3_
    .private_segment_fixed_size: 0
    .sgpr_count:     11
    .sgpr_spill_count: 0
    .symbol:         _Z6kernelI13subtract_leftLj256ELj8ELb0EJPiS1_jEEvDpT3_.kd
    .uniform_work_group_size: 1
    .uses_dynamic_stack: false
    .vgpr_count:     19
    .vgpr_spill_count: 0
    .wavefront_size: 32
  - .args:
      - .address_space:  global
        .offset:         0
        .size:           8
        .value_kind:     global_buffer
      - .address_space:  global
        .offset:         8
        .size:           8
        .value_kind:     global_buffer
      - .offset:         16
        .size:           4
        .value_kind:     by_value
    .group_segment_fixed_size: 2048
    .kernarg_segment_align: 8
    .kernarg_segment_size: 20
    .language:       OpenCL C
    .language_version:
      - 2
      - 0
    .max_flat_workgroup_size: 256
    .name:           _Z6kernelI13subtract_leftLj256ELj16ELb0EJPiS1_jEEvDpT3_
    .private_segment_fixed_size: 0
    .sgpr_count:     11
    .sgpr_spill_count: 0
    .symbol:         _Z6kernelI13subtract_leftLj256ELj16ELb0EJPiS1_jEEvDpT3_.kd
    .uniform_work_group_size: 1
    .uses_dynamic_stack: false
    .vgpr_count:     35
    .vgpr_spill_count: 0
    .wavefront_size: 32
  - .args:
      - .address_space:  global
        .offset:         0
        .size:           8
        .value_kind:     global_buffer
      - .address_space:  global
        .offset:         8
        .size:           8
        .value_kind:     global_buffer
      - .offset:         16
        .size:           4
        .value_kind:     by_value
    .group_segment_fixed_size: 2048
    .kernarg_segment_align: 8
    .kernarg_segment_size: 20
    .language:       OpenCL C
    .language_version:
      - 2
      - 0
    .max_flat_workgroup_size: 256
    .name:           _Z6kernelI13subtract_leftLj256ELj32ELb0EJPiS1_jEEvDpT3_
    .private_segment_fixed_size: 0
    .sgpr_count:     11
    .sgpr_spill_count: 0
    .symbol:         _Z6kernelI13subtract_leftLj256ELj32ELb0EJPiS1_jEEvDpT3_.kd
    .uniform_work_group_size: 1
    .uses_dynamic_stack: false
    .vgpr_count:     63
    .vgpr_spill_count: 0
    .wavefront_size: 32
  - .args:
      - .address_space:  global
        .offset:         0
        .size:           8
        .value_kind:     global_buffer
      - .address_space:  global
        .offset:         8
        .size:           8
        .value_kind:     global_buffer
      - .offset:         16
        .size:           4
        .value_kind:     by_value
    .group_segment_fixed_size: 2048
    .kernarg_segment_align: 8
    .kernarg_segment_size: 20
    .language:       OpenCL C
    .language_version:
      - 2
      - 0
    .max_flat_workgroup_size: 256
    .name:           _Z6kernelI13subtract_leftLj256ELj1ELb0EJPfS1_jEEvDpT3_
    .private_segment_fixed_size: 0
    .sgpr_count:     11
    .sgpr_spill_count: 0
    .symbol:         _Z6kernelI13subtract_leftLj256ELj1ELb0EJPfS1_jEEvDpT3_.kd
    .uniform_work_group_size: 1
    .uses_dynamic_stack: false
    .vgpr_count:     5
    .vgpr_spill_count: 0
    .wavefront_size: 32
  - .args:
      - .address_space:  global
        .offset:         0
        .size:           8
        .value_kind:     global_buffer
      - .address_space:  global
        .offset:         8
        .size:           8
        .value_kind:     global_buffer
      - .offset:         16
        .size:           4
        .value_kind:     by_value
    .group_segment_fixed_size: 2048
    .kernarg_segment_align: 8
    .kernarg_segment_size: 20
    .language:       OpenCL C
    .language_version:
      - 2
      - 0
    .max_flat_workgroup_size: 256
    .name:           _Z6kernelI13subtract_leftLj256ELj3ELb0EJPfS1_jEEvDpT3_
    .private_segment_fixed_size: 0
    .sgpr_count:     11
    .sgpr_spill_count: 0
    .symbol:         _Z6kernelI13subtract_leftLj256ELj3ELb0EJPfS1_jEEvDpT3_.kd
    .uniform_work_group_size: 1
    .uses_dynamic_stack: false
    .vgpr_count:     12
    .vgpr_spill_count: 0
    .wavefront_size: 32
  - .args:
      - .address_space:  global
        .offset:         0
        .size:           8
        .value_kind:     global_buffer
      - .address_space:  global
        .offset:         8
        .size:           8
        .value_kind:     global_buffer
      - .offset:         16
        .size:           4
        .value_kind:     by_value
    .group_segment_fixed_size: 2048
    .kernarg_segment_align: 8
    .kernarg_segment_size: 20
    .language:       OpenCL C
    .language_version:
      - 2
      - 0
    .max_flat_workgroup_size: 256
    .name:           _Z6kernelI13subtract_leftLj256ELj4ELb0EJPfS1_jEEvDpT3_
    .private_segment_fixed_size: 0
    .sgpr_count:     11
    .sgpr_spill_count: 0
    .symbol:         _Z6kernelI13subtract_leftLj256ELj4ELb0EJPfS1_jEEvDpT3_.kd
    .uniform_work_group_size: 1
    .uses_dynamic_stack: false
    .vgpr_count:     17
    .vgpr_spill_count: 0
    .wavefront_size: 32
  - .args:
      - .address_space:  global
        .offset:         0
        .size:           8
        .value_kind:     global_buffer
      - .address_space:  global
        .offset:         8
        .size:           8
        .value_kind:     global_buffer
      - .offset:         16
        .size:           4
        .value_kind:     by_value
    .group_segment_fixed_size: 2048
    .kernarg_segment_align: 8
    .kernarg_segment_size: 20
    .language:       OpenCL C
    .language_version:
      - 2
      - 0
    .max_flat_workgroup_size: 256
    .name:           _Z6kernelI13subtract_leftLj256ELj8ELb0EJPfS1_jEEvDpT3_
    .private_segment_fixed_size: 0
    .sgpr_count:     11
    .sgpr_spill_count: 0
    .symbol:         _Z6kernelI13subtract_leftLj256ELj8ELb0EJPfS1_jEEvDpT3_.kd
    .uniform_work_group_size: 1
    .uses_dynamic_stack: false
    .vgpr_count:     19
    .vgpr_spill_count: 0
    .wavefront_size: 32
  - .args:
      - .address_space:  global
        .offset:         0
        .size:           8
        .value_kind:     global_buffer
      - .address_space:  global
        .offset:         8
        .size:           8
        .value_kind:     global_buffer
      - .offset:         16
        .size:           4
        .value_kind:     by_value
    .group_segment_fixed_size: 2048
    .kernarg_segment_align: 8
    .kernarg_segment_size: 20
    .language:       OpenCL C
    .language_version:
      - 2
      - 0
    .max_flat_workgroup_size: 256
    .name:           _Z6kernelI13subtract_leftLj256ELj16ELb0EJPfS1_jEEvDpT3_
    .private_segment_fixed_size: 0
    .sgpr_count:     11
    .sgpr_spill_count: 0
    .symbol:         _Z6kernelI13subtract_leftLj256ELj16ELb0EJPfS1_jEEvDpT3_.kd
    .uniform_work_group_size: 1
    .uses_dynamic_stack: false
    .vgpr_count:     36
    .vgpr_spill_count: 0
    .wavefront_size: 32
  - .args:
      - .address_space:  global
        .offset:         0
        .size:           8
        .value_kind:     global_buffer
      - .address_space:  global
        .offset:         8
        .size:           8
        .value_kind:     global_buffer
      - .offset:         16
        .size:           4
        .value_kind:     by_value
    .group_segment_fixed_size: 2048
    .kernarg_segment_align: 8
    .kernarg_segment_size: 20
    .language:       OpenCL C
    .language_version:
      - 2
      - 0
    .max_flat_workgroup_size: 256
    .name:           _Z6kernelI13subtract_leftLj256ELj32ELb0EJPfS1_jEEvDpT3_
    .private_segment_fixed_size: 0
    .sgpr_count:     11
    .sgpr_spill_count: 0
    .symbol:         _Z6kernelI13subtract_leftLj256ELj32ELb0EJPfS1_jEEvDpT3_.kd
    .uniform_work_group_size: 1
    .uses_dynamic_stack: false
    .vgpr_count:     56
    .vgpr_spill_count: 0
    .wavefront_size: 32
  - .args:
      - .address_space:  global
        .offset:         0
        .size:           8
        .value_kind:     global_buffer
      - .address_space:  global
        .offset:         8
        .size:           8
        .value_kind:     global_buffer
      - .offset:         16
        .size:           4
        .value_kind:     by_value
    .group_segment_fixed_size: 512
    .kernarg_segment_align: 8
    .kernarg_segment_size: 20
    .language:       OpenCL C
    .language_version:
      - 2
      - 0
    .max_flat_workgroup_size: 256
    .name:           _Z6kernelI13subtract_leftLj256ELj1ELb0EJPaS1_jEEvDpT3_
    .private_segment_fixed_size: 0
    .sgpr_count:     11
    .sgpr_spill_count: 0
    .symbol:         _Z6kernelI13subtract_leftLj256ELj1ELb0EJPaS1_jEEvDpT3_.kd
    .uniform_work_group_size: 1
    .uses_dynamic_stack: false
    .vgpr_count:     5
    .vgpr_spill_count: 0
    .wavefront_size: 32
  - .args:
      - .address_space:  global
        .offset:         0
        .size:           8
        .value_kind:     global_buffer
      - .address_space:  global
        .offset:         8
        .size:           8
        .value_kind:     global_buffer
      - .offset:         16
        .size:           4
        .value_kind:     by_value
    .group_segment_fixed_size: 512
    .kernarg_segment_align: 8
    .kernarg_segment_size: 20
    .language:       OpenCL C
    .language_version:
      - 2
      - 0
    .max_flat_workgroup_size: 256
    .name:           _Z6kernelI13subtract_leftLj256ELj3ELb0EJPaS1_jEEvDpT3_
    .private_segment_fixed_size: 0
    .sgpr_count:     11
    .sgpr_spill_count: 0
    .symbol:         _Z6kernelI13subtract_leftLj256ELj3ELb0EJPaS1_jEEvDpT3_.kd
    .uniform_work_group_size: 1
    .uses_dynamic_stack: false
    .vgpr_count:     10
    .vgpr_spill_count: 0
    .wavefront_size: 32
  - .args:
      - .address_space:  global
        .offset:         0
        .size:           8
        .value_kind:     global_buffer
      - .address_space:  global
        .offset:         8
        .size:           8
        .value_kind:     global_buffer
      - .offset:         16
        .size:           4
        .value_kind:     by_value
    .group_segment_fixed_size: 512
    .kernarg_segment_align: 8
    .kernarg_segment_size: 20
    .language:       OpenCL C
    .language_version:
      - 2
      - 0
    .max_flat_workgroup_size: 256
    .name:           _Z6kernelI13subtract_leftLj256ELj4ELb0EJPaS1_jEEvDpT3_
    .private_segment_fixed_size: 0
    .sgpr_count:     11
    .sgpr_spill_count: 0
    .symbol:         _Z6kernelI13subtract_leftLj256ELj4ELb0EJPaS1_jEEvDpT3_.kd
    .uniform_work_group_size: 1
    .uses_dynamic_stack: false
    .vgpr_count:     12
    .vgpr_spill_count: 0
    .wavefront_size: 32
  - .args:
      - .address_space:  global
        .offset:         0
        .size:           8
        .value_kind:     global_buffer
      - .address_space:  global
        .offset:         8
        .size:           8
        .value_kind:     global_buffer
      - .offset:         16
        .size:           4
        .value_kind:     by_value
    .group_segment_fixed_size: 512
    .kernarg_segment_align: 8
    .kernarg_segment_size: 20
    .language:       OpenCL C
    .language_version:
      - 2
      - 0
    .max_flat_workgroup_size: 256
    .name:           _Z6kernelI13subtract_leftLj256ELj8ELb0EJPaS1_jEEvDpT3_
    .private_segment_fixed_size: 0
    .sgpr_count:     11
    .sgpr_spill_count: 0
    .symbol:         _Z6kernelI13subtract_leftLj256ELj8ELb0EJPaS1_jEEvDpT3_.kd
    .uniform_work_group_size: 1
    .uses_dynamic_stack: false
    .vgpr_count:     19
    .vgpr_spill_count: 0
    .wavefront_size: 32
  - .args:
      - .address_space:  global
        .offset:         0
        .size:           8
        .value_kind:     global_buffer
      - .address_space:  global
        .offset:         8
        .size:           8
        .value_kind:     global_buffer
      - .offset:         16
        .size:           4
        .value_kind:     by_value
    .group_segment_fixed_size: 512
    .kernarg_segment_align: 8
    .kernarg_segment_size: 20
    .language:       OpenCL C
    .language_version:
      - 2
      - 0
    .max_flat_workgroup_size: 256
    .name:           _Z6kernelI13subtract_leftLj256ELj16ELb0EJPaS1_jEEvDpT3_
    .private_segment_fixed_size: 0
    .sgpr_count:     11
    .sgpr_spill_count: 0
    .symbol:         _Z6kernelI13subtract_leftLj256ELj16ELb0EJPaS1_jEEvDpT3_.kd
    .uniform_work_group_size: 1
    .uses_dynamic_stack: false
    .vgpr_count:     35
    .vgpr_spill_count: 0
    .wavefront_size: 32
  - .args:
      - .address_space:  global
        .offset:         0
        .size:           8
        .value_kind:     global_buffer
      - .address_space:  global
        .offset:         8
        .size:           8
        .value_kind:     global_buffer
      - .offset:         16
        .size:           4
        .value_kind:     by_value
    .group_segment_fixed_size: 512
    .kernarg_segment_align: 8
    .kernarg_segment_size: 20
    .language:       OpenCL C
    .language_version:
      - 2
      - 0
    .max_flat_workgroup_size: 256
    .name:           _Z6kernelI13subtract_leftLj256ELj32ELb0EJPaS1_jEEvDpT3_
    .private_segment_fixed_size: 0
    .sgpr_count:     11
    .sgpr_spill_count: 0
    .symbol:         _Z6kernelI13subtract_leftLj256ELj32ELb0EJPaS1_jEEvDpT3_.kd
    .uniform_work_group_size: 1
    .uses_dynamic_stack: false
    .vgpr_count:     40
    .vgpr_spill_count: 0
    .wavefront_size: 32
  - .args:
      - .address_space:  global
        .offset:         0
        .size:           8
        .value_kind:     global_buffer
      - .address_space:  global
        .offset:         8
        .size:           8
        .value_kind:     global_buffer
      - .offset:         16
        .size:           4
        .value_kind:     by_value
    .group_segment_fixed_size: 4096
    .kernarg_segment_align: 8
    .kernarg_segment_size: 20
    .language:       OpenCL C
    .language_version:
      - 2
      - 0
    .max_flat_workgroup_size: 256
    .name:           _Z6kernelI13subtract_leftLj256ELj1ELb0EJPxS1_jEEvDpT3_
    .private_segment_fixed_size: 0
    .sgpr_count:     11
    .sgpr_spill_count: 0
    .symbol:         _Z6kernelI13subtract_leftLj256ELj1ELb0EJPxS1_jEEvDpT3_.kd
    .uniform_work_group_size: 1
    .uses_dynamic_stack: false
    .vgpr_count:     7
    .vgpr_spill_count: 0
    .wavefront_size: 32
  - .args:
      - .address_space:  global
        .offset:         0
        .size:           8
        .value_kind:     global_buffer
      - .address_space:  global
        .offset:         8
        .size:           8
        .value_kind:     global_buffer
      - .offset:         16
        .size:           4
        .value_kind:     by_value
    .group_segment_fixed_size: 4096
    .kernarg_segment_align: 8
    .kernarg_segment_size: 20
    .language:       OpenCL C
    .language_version:
      - 2
      - 0
    .max_flat_workgroup_size: 256
    .name:           _Z6kernelI13subtract_leftLj256ELj3ELb0EJPxS1_jEEvDpT3_
    .private_segment_fixed_size: 0
    .sgpr_count:     11
    .sgpr_spill_count: 0
    .symbol:         _Z6kernelI13subtract_leftLj256ELj3ELb0EJPxS1_jEEvDpT3_.kd
    .uniform_work_group_size: 1
    .uses_dynamic_stack: false
    .vgpr_count:     16
    .vgpr_spill_count: 0
    .wavefront_size: 32
  - .args:
      - .address_space:  global
        .offset:         0
        .size:           8
        .value_kind:     global_buffer
      - .address_space:  global
        .offset:         8
        .size:           8
        .value_kind:     global_buffer
      - .offset:         16
        .size:           4
        .value_kind:     by_value
    .group_segment_fixed_size: 4096
    .kernarg_segment_align: 8
    .kernarg_segment_size: 20
    .language:       OpenCL C
    .language_version:
      - 2
      - 0
    .max_flat_workgroup_size: 256
    .name:           _Z6kernelI13subtract_leftLj256ELj4ELb0EJPxS1_jEEvDpT3_
    .private_segment_fixed_size: 0
    .sgpr_count:     11
    .sgpr_spill_count: 0
    .symbol:         _Z6kernelI13subtract_leftLj256ELj4ELb0EJPxS1_jEEvDpT3_.kd
    .uniform_work_group_size: 1
    .uses_dynamic_stack: false
    .vgpr_count:     20
    .vgpr_spill_count: 0
    .wavefront_size: 32
  - .args:
      - .address_space:  global
        .offset:         0
        .size:           8
        .value_kind:     global_buffer
      - .address_space:  global
        .offset:         8
        .size:           8
        .value_kind:     global_buffer
      - .offset:         16
        .size:           4
        .value_kind:     by_value
    .group_segment_fixed_size: 4096
    .kernarg_segment_align: 8
    .kernarg_segment_size: 20
    .language:       OpenCL C
    .language_version:
      - 2
      - 0
    .max_flat_workgroup_size: 256
    .name:           _Z6kernelI13subtract_leftLj256ELj8ELb0EJPxS1_jEEvDpT3_
    .private_segment_fixed_size: 0
    .sgpr_count:     11
    .sgpr_spill_count: 0
    .symbol:         _Z6kernelI13subtract_leftLj256ELj8ELb0EJPxS1_jEEvDpT3_.kd
    .uniform_work_group_size: 1
    .uses_dynamic_stack: false
    .vgpr_count:     36
    .vgpr_spill_count: 0
    .wavefront_size: 32
  - .args:
      - .address_space:  global
        .offset:         0
        .size:           8
        .value_kind:     global_buffer
      - .address_space:  global
        .offset:         8
        .size:           8
        .value_kind:     global_buffer
      - .offset:         16
        .size:           4
        .value_kind:     by_value
    .group_segment_fixed_size: 4096
    .kernarg_segment_align: 8
    .kernarg_segment_size: 20
    .language:       OpenCL C
    .language_version:
      - 2
      - 0
    .max_flat_workgroup_size: 256
    .name:           _Z6kernelI13subtract_leftLj256ELj16ELb0EJPxS1_jEEvDpT3_
    .private_segment_fixed_size: 0
    .sgpr_count:     11
    .sgpr_spill_count: 0
    .symbol:         _Z6kernelI13subtract_leftLj256ELj16ELb0EJPxS1_jEEvDpT3_.kd
    .uniform_work_group_size: 1
    .uses_dynamic_stack: false
    .vgpr_count:     64
    .vgpr_spill_count: 0
    .wavefront_size: 32
  - .args:
      - .address_space:  global
        .offset:         0
        .size:           8
        .value_kind:     global_buffer
      - .address_space:  global
        .offset:         8
        .size:           8
        .value_kind:     global_buffer
      - .offset:         16
        .size:           4
        .value_kind:     by_value
    .group_segment_fixed_size: 4096
    .kernarg_segment_align: 8
    .kernarg_segment_size: 20
    .language:       OpenCL C
    .language_version:
      - 2
      - 0
    .max_flat_workgroup_size: 256
    .name:           _Z6kernelI13subtract_leftLj256ELj32ELb0EJPxS1_jEEvDpT3_
    .private_segment_fixed_size: 0
    .sgpr_count:     11
    .sgpr_spill_count: 0
    .symbol:         _Z6kernelI13subtract_leftLj256ELj32ELb0EJPxS1_jEEvDpT3_.kd
    .uniform_work_group_size: 1
    .uses_dynamic_stack: false
    .vgpr_count:     80
    .vgpr_spill_count: 0
    .wavefront_size: 32
  - .args:
      - .address_space:  global
        .offset:         0
        .size:           8
        .value_kind:     global_buffer
      - .address_space:  global
        .offset:         8
        .size:           8
        .value_kind:     global_buffer
      - .offset:         16
        .size:           4
        .value_kind:     by_value
    .group_segment_fixed_size: 4096
    .kernarg_segment_align: 8
    .kernarg_segment_size: 20
    .language:       OpenCL C
    .language_version:
      - 2
      - 0
    .max_flat_workgroup_size: 256
    .name:           _Z6kernelI13subtract_leftLj256ELj1ELb0EJPdS1_jEEvDpT3_
    .private_segment_fixed_size: 0
    .sgpr_count:     11
    .sgpr_spill_count: 0
    .symbol:         _Z6kernelI13subtract_leftLj256ELj1ELb0EJPdS1_jEEvDpT3_.kd
    .uniform_work_group_size: 1
    .uses_dynamic_stack: false
    .vgpr_count:     7
    .vgpr_spill_count: 0
    .wavefront_size: 32
  - .args:
      - .address_space:  global
        .offset:         0
        .size:           8
        .value_kind:     global_buffer
      - .address_space:  global
        .offset:         8
        .size:           8
        .value_kind:     global_buffer
      - .offset:         16
        .size:           4
        .value_kind:     by_value
    .group_segment_fixed_size: 4096
    .kernarg_segment_align: 8
    .kernarg_segment_size: 20
    .language:       OpenCL C
    .language_version:
      - 2
      - 0
    .max_flat_workgroup_size: 256
    .name:           _Z6kernelI13subtract_leftLj256ELj3ELb0EJPdS1_jEEvDpT3_
    .private_segment_fixed_size: 0
    .sgpr_count:     11
    .sgpr_spill_count: 0
    .symbol:         _Z6kernelI13subtract_leftLj256ELj3ELb0EJPdS1_jEEvDpT3_.kd
    .uniform_work_group_size: 1
    .uses_dynamic_stack: false
    .vgpr_count:     16
    .vgpr_spill_count: 0
    .wavefront_size: 32
  - .args:
      - .address_space:  global
        .offset:         0
        .size:           8
        .value_kind:     global_buffer
      - .address_space:  global
        .offset:         8
        .size:           8
        .value_kind:     global_buffer
      - .offset:         16
        .size:           4
        .value_kind:     by_value
    .group_segment_fixed_size: 4096
    .kernarg_segment_align: 8
    .kernarg_segment_size: 20
    .language:       OpenCL C
    .language_version:
      - 2
      - 0
    .max_flat_workgroup_size: 256
    .name:           _Z6kernelI13subtract_leftLj256ELj4ELb0EJPdS1_jEEvDpT3_
    .private_segment_fixed_size: 0
    .sgpr_count:     11
    .sgpr_spill_count: 0
    .symbol:         _Z6kernelI13subtract_leftLj256ELj4ELb0EJPdS1_jEEvDpT3_.kd
    .uniform_work_group_size: 1
    .uses_dynamic_stack: false
    .vgpr_count:     20
    .vgpr_spill_count: 0
    .wavefront_size: 32
  - .args:
      - .address_space:  global
        .offset:         0
        .size:           8
        .value_kind:     global_buffer
      - .address_space:  global
        .offset:         8
        .size:           8
        .value_kind:     global_buffer
      - .offset:         16
        .size:           4
        .value_kind:     by_value
    .group_segment_fixed_size: 4096
    .kernarg_segment_align: 8
    .kernarg_segment_size: 20
    .language:       OpenCL C
    .language_version:
      - 2
      - 0
    .max_flat_workgroup_size: 256
    .name:           _Z6kernelI13subtract_leftLj256ELj8ELb0EJPdS1_jEEvDpT3_
    .private_segment_fixed_size: 0
    .sgpr_count:     11
    .sgpr_spill_count: 0
    .symbol:         _Z6kernelI13subtract_leftLj256ELj8ELb0EJPdS1_jEEvDpT3_.kd
    .uniform_work_group_size: 1
    .uses_dynamic_stack: false
    .vgpr_count:     36
    .vgpr_spill_count: 0
    .wavefront_size: 32
  - .args:
      - .address_space:  global
        .offset:         0
        .size:           8
        .value_kind:     global_buffer
      - .address_space:  global
        .offset:         8
        .size:           8
        .value_kind:     global_buffer
      - .offset:         16
        .size:           4
        .value_kind:     by_value
    .group_segment_fixed_size: 4096
    .kernarg_segment_align: 8
    .kernarg_segment_size: 20
    .language:       OpenCL C
    .language_version:
      - 2
      - 0
    .max_flat_workgroup_size: 256
    .name:           _Z6kernelI13subtract_leftLj256ELj16ELb0EJPdS1_jEEvDpT3_
    .private_segment_fixed_size: 0
    .sgpr_count:     11
    .sgpr_spill_count: 0
    .symbol:         _Z6kernelI13subtract_leftLj256ELj16ELb0EJPdS1_jEEvDpT3_.kd
    .uniform_work_group_size: 1
    .uses_dynamic_stack: false
    .vgpr_count:     64
    .vgpr_spill_count: 0
    .wavefront_size: 32
  - .args:
      - .address_space:  global
        .offset:         0
        .size:           8
        .value_kind:     global_buffer
      - .address_space:  global
        .offset:         8
        .size:           8
        .value_kind:     global_buffer
      - .offset:         16
        .size:           4
        .value_kind:     by_value
    .group_segment_fixed_size: 4096
    .kernarg_segment_align: 8
    .kernarg_segment_size: 20
    .language:       OpenCL C
    .language_version:
      - 2
      - 0
    .max_flat_workgroup_size: 256
    .name:           _Z6kernelI13subtract_leftLj256ELj32ELb0EJPdS1_jEEvDpT3_
    .private_segment_fixed_size: 0
    .sgpr_count:     11
    .sgpr_spill_count: 0
    .symbol:         _Z6kernelI13subtract_leftLj256ELj32ELb0EJPdS1_jEEvDpT3_.kd
    .uniform_work_group_size: 1
    .uses_dynamic_stack: false
    .vgpr_count:     80
    .vgpr_spill_count: 0
    .wavefront_size: 32
  - .args:
      - .address_space:  global
        .offset:         0
        .size:           8
        .value_kind:     global_buffer
      - .address_space:  global
        .offset:         8
        .size:           8
        .value_kind:     global_buffer
      - .offset:         16
        .size:           4
        .value_kind:     by_value
    .group_segment_fixed_size: 2048
    .kernarg_segment_align: 8
    .kernarg_segment_size: 20
    .language:       OpenCL C
    .language_version:
      - 2
      - 0
    .max_flat_workgroup_size: 256
    .name:           _Z6kernelI13subtract_leftLj256ELj1ELb1EJPiS1_jEEvDpT3_
    .private_segment_fixed_size: 0
    .sgpr_count:     11
    .sgpr_spill_count: 0
    .symbol:         _Z6kernelI13subtract_leftLj256ELj1ELb1EJPiS1_jEEvDpT3_.kd
    .uniform_work_group_size: 1
    .uses_dynamic_stack: false
    .vgpr_count:     5
    .vgpr_spill_count: 0
    .wavefront_size: 32
  - .args:
      - .address_space:  global
        .offset:         0
        .size:           8
        .value_kind:     global_buffer
      - .address_space:  global
        .offset:         8
        .size:           8
        .value_kind:     global_buffer
      - .offset:         16
        .size:           4
        .value_kind:     by_value
    .group_segment_fixed_size: 2048
    .kernarg_segment_align: 8
    .kernarg_segment_size: 20
    .language:       OpenCL C
    .language_version:
      - 2
      - 0
    .max_flat_workgroup_size: 256
    .name:           _Z6kernelI13subtract_leftLj256ELj3ELb1EJPiS1_jEEvDpT3_
    .private_segment_fixed_size: 0
    .sgpr_count:     11
    .sgpr_spill_count: 0
    .symbol:         _Z6kernelI13subtract_leftLj256ELj3ELb1EJPiS1_jEEvDpT3_.kd
    .uniform_work_group_size: 1
    .uses_dynamic_stack: false
    .vgpr_count:     9
    .vgpr_spill_count: 0
    .wavefront_size: 32
  - .args:
      - .address_space:  global
        .offset:         0
        .size:           8
        .value_kind:     global_buffer
      - .address_space:  global
        .offset:         8
        .size:           8
        .value_kind:     global_buffer
      - .offset:         16
        .size:           4
        .value_kind:     by_value
    .group_segment_fixed_size: 2048
    .kernarg_segment_align: 8
    .kernarg_segment_size: 20
    .language:       OpenCL C
    .language_version:
      - 2
      - 0
    .max_flat_workgroup_size: 256
    .name:           _Z6kernelI13subtract_leftLj256ELj4ELb1EJPiS1_jEEvDpT3_
    .private_segment_fixed_size: 0
    .sgpr_count:     11
    .sgpr_spill_count: 0
    .symbol:         _Z6kernelI13subtract_leftLj256ELj4ELb1EJPiS1_jEEvDpT3_.kd
    .uniform_work_group_size: 1
    .uses_dynamic_stack: false
    .vgpr_count:     12
    .vgpr_spill_count: 0
    .wavefront_size: 32
  - .args:
      - .address_space:  global
        .offset:         0
        .size:           8
        .value_kind:     global_buffer
      - .address_space:  global
        .offset:         8
        .size:           8
        .value_kind:     global_buffer
      - .offset:         16
        .size:           4
        .value_kind:     by_value
    .group_segment_fixed_size: 2048
    .kernarg_segment_align: 8
    .kernarg_segment_size: 20
    .language:       OpenCL C
    .language_version:
      - 2
      - 0
    .max_flat_workgroup_size: 256
    .name:           _Z6kernelI13subtract_leftLj256ELj8ELb1EJPiS1_jEEvDpT3_
    .private_segment_fixed_size: 0
    .sgpr_count:     11
    .sgpr_spill_count: 0
    .symbol:         _Z6kernelI13subtract_leftLj256ELj8ELb1EJPiS1_jEEvDpT3_.kd
    .uniform_work_group_size: 1
    .uses_dynamic_stack: false
    .vgpr_count:     19
    .vgpr_spill_count: 0
    .wavefront_size: 32
  - .args:
      - .address_space:  global
        .offset:         0
        .size:           8
        .value_kind:     global_buffer
      - .address_space:  global
        .offset:         8
        .size:           8
        .value_kind:     global_buffer
      - .offset:         16
        .size:           4
        .value_kind:     by_value
    .group_segment_fixed_size: 2048
    .kernarg_segment_align: 8
    .kernarg_segment_size: 20
    .language:       OpenCL C
    .language_version:
      - 2
      - 0
    .max_flat_workgroup_size: 256
    .name:           _Z6kernelI13subtract_leftLj256ELj16ELb1EJPiS1_jEEvDpT3_
    .private_segment_fixed_size: 0
    .sgpr_count:     11
    .sgpr_spill_count: 0
    .symbol:         _Z6kernelI13subtract_leftLj256ELj16ELb1EJPiS1_jEEvDpT3_.kd
    .uniform_work_group_size: 1
    .uses_dynamic_stack: false
    .vgpr_count:     35
    .vgpr_spill_count: 0
    .wavefront_size: 32
  - .args:
      - .address_space:  global
        .offset:         0
        .size:           8
        .value_kind:     global_buffer
      - .address_space:  global
        .offset:         8
        .size:           8
        .value_kind:     global_buffer
      - .offset:         16
        .size:           4
        .value_kind:     by_value
    .group_segment_fixed_size: 2048
    .kernarg_segment_align: 8
    .kernarg_segment_size: 20
    .language:       OpenCL C
    .language_version:
      - 2
      - 0
    .max_flat_workgroup_size: 256
    .name:           _Z6kernelI13subtract_leftLj256ELj32ELb1EJPiS1_jEEvDpT3_
    .private_segment_fixed_size: 0
    .sgpr_count:     11
    .sgpr_spill_count: 0
    .symbol:         _Z6kernelI13subtract_leftLj256ELj32ELb1EJPiS1_jEEvDpT3_.kd
    .uniform_work_group_size: 1
    .uses_dynamic_stack: false
    .vgpr_count:     63
    .vgpr_spill_count: 0
    .wavefront_size: 32
  - .args:
      - .address_space:  global
        .offset:         0
        .size:           8
        .value_kind:     global_buffer
      - .address_space:  global
        .offset:         8
        .size:           8
        .value_kind:     global_buffer
      - .offset:         16
        .size:           4
        .value_kind:     by_value
    .group_segment_fixed_size: 2048
    .kernarg_segment_align: 8
    .kernarg_segment_size: 20
    .language:       OpenCL C
    .language_version:
      - 2
      - 0
    .max_flat_workgroup_size: 256
    .name:           _Z6kernelI13subtract_leftLj256ELj1ELb1EJPfS1_jEEvDpT3_
    .private_segment_fixed_size: 0
    .sgpr_count:     11
    .sgpr_spill_count: 0
    .symbol:         _Z6kernelI13subtract_leftLj256ELj1ELb1EJPfS1_jEEvDpT3_.kd
    .uniform_work_group_size: 1
    .uses_dynamic_stack: false
    .vgpr_count:     5
    .vgpr_spill_count: 0
    .wavefront_size: 32
  - .args:
      - .address_space:  global
        .offset:         0
        .size:           8
        .value_kind:     global_buffer
      - .address_space:  global
        .offset:         8
        .size:           8
        .value_kind:     global_buffer
      - .offset:         16
        .size:           4
        .value_kind:     by_value
    .group_segment_fixed_size: 2048
    .kernarg_segment_align: 8
    .kernarg_segment_size: 20
    .language:       OpenCL C
    .language_version:
      - 2
      - 0
    .max_flat_workgroup_size: 256
    .name:           _Z6kernelI13subtract_leftLj256ELj3ELb1EJPfS1_jEEvDpT3_
    .private_segment_fixed_size: 0
    .sgpr_count:     11
    .sgpr_spill_count: 0
    .symbol:         _Z6kernelI13subtract_leftLj256ELj3ELb1EJPfS1_jEEvDpT3_.kd
    .uniform_work_group_size: 1
    .uses_dynamic_stack: false
    .vgpr_count:     9
    .vgpr_spill_count: 0
    .wavefront_size: 32
  - .args:
      - .address_space:  global
        .offset:         0
        .size:           8
        .value_kind:     global_buffer
      - .address_space:  global
        .offset:         8
        .size:           8
        .value_kind:     global_buffer
      - .offset:         16
        .size:           4
        .value_kind:     by_value
    .group_segment_fixed_size: 2048
    .kernarg_segment_align: 8
    .kernarg_segment_size: 20
    .language:       OpenCL C
    .language_version:
      - 2
      - 0
    .max_flat_workgroup_size: 256
    .name:           _Z6kernelI13subtract_leftLj256ELj4ELb1EJPfS1_jEEvDpT3_
    .private_segment_fixed_size: 0
    .sgpr_count:     11
    .sgpr_spill_count: 0
    .symbol:         _Z6kernelI13subtract_leftLj256ELj4ELb1EJPfS1_jEEvDpT3_.kd
    .uniform_work_group_size: 1
    .uses_dynamic_stack: false
    .vgpr_count:     12
    .vgpr_spill_count: 0
    .wavefront_size: 32
  - .args:
      - .address_space:  global
        .offset:         0
        .size:           8
        .value_kind:     global_buffer
      - .address_space:  global
        .offset:         8
        .size:           8
        .value_kind:     global_buffer
      - .offset:         16
        .size:           4
        .value_kind:     by_value
    .group_segment_fixed_size: 2048
    .kernarg_segment_align: 8
    .kernarg_segment_size: 20
    .language:       OpenCL C
    .language_version:
      - 2
      - 0
    .max_flat_workgroup_size: 256
    .name:           _Z6kernelI13subtract_leftLj256ELj8ELb1EJPfS1_jEEvDpT3_
    .private_segment_fixed_size: 0
    .sgpr_count:     11
    .sgpr_spill_count: 0
    .symbol:         _Z6kernelI13subtract_leftLj256ELj8ELb1EJPfS1_jEEvDpT3_.kd
    .uniform_work_group_size: 1
    .uses_dynamic_stack: false
    .vgpr_count:     20
    .vgpr_spill_count: 0
    .wavefront_size: 32
  - .args:
      - .address_space:  global
        .offset:         0
        .size:           8
        .value_kind:     global_buffer
      - .address_space:  global
        .offset:         8
        .size:           8
        .value_kind:     global_buffer
      - .offset:         16
        .size:           4
        .value_kind:     by_value
    .group_segment_fixed_size: 2048
    .kernarg_segment_align: 8
    .kernarg_segment_size: 20
    .language:       OpenCL C
    .language_version:
      - 2
      - 0
    .max_flat_workgroup_size: 256
    .name:           _Z6kernelI13subtract_leftLj256ELj16ELb1EJPfS1_jEEvDpT3_
    .private_segment_fixed_size: 0
    .sgpr_count:     11
    .sgpr_spill_count: 0
    .symbol:         _Z6kernelI13subtract_leftLj256ELj16ELb1EJPfS1_jEEvDpT3_.kd
    .uniform_work_group_size: 1
    .uses_dynamic_stack: false
    .vgpr_count:     36
    .vgpr_spill_count: 0
    .wavefront_size: 32
  - .args:
      - .address_space:  global
        .offset:         0
        .size:           8
        .value_kind:     global_buffer
      - .address_space:  global
        .offset:         8
        .size:           8
        .value_kind:     global_buffer
      - .offset:         16
        .size:           4
        .value_kind:     by_value
    .group_segment_fixed_size: 2048
    .kernarg_segment_align: 8
    .kernarg_segment_size: 20
    .language:       OpenCL C
    .language_version:
      - 2
      - 0
    .max_flat_workgroup_size: 256
    .name:           _Z6kernelI13subtract_leftLj256ELj32ELb1EJPfS1_jEEvDpT3_
    .private_segment_fixed_size: 0
    .sgpr_count:     11
    .sgpr_spill_count: 0
    .symbol:         _Z6kernelI13subtract_leftLj256ELj32ELb1EJPfS1_jEEvDpT3_.kd
    .uniform_work_group_size: 1
    .uses_dynamic_stack: false
    .vgpr_count:     56
    .vgpr_spill_count: 0
    .wavefront_size: 32
  - .args:
      - .address_space:  global
        .offset:         0
        .size:           8
        .value_kind:     global_buffer
      - .address_space:  global
        .offset:         8
        .size:           8
        .value_kind:     global_buffer
      - .offset:         16
        .size:           4
        .value_kind:     by_value
    .group_segment_fixed_size: 512
    .kernarg_segment_align: 8
    .kernarg_segment_size: 20
    .language:       OpenCL C
    .language_version:
      - 2
      - 0
    .max_flat_workgroup_size: 256
    .name:           _Z6kernelI13subtract_leftLj256ELj1ELb1EJPaS1_jEEvDpT3_
    .private_segment_fixed_size: 0
    .sgpr_count:     11
    .sgpr_spill_count: 0
    .symbol:         _Z6kernelI13subtract_leftLj256ELj1ELb1EJPaS1_jEEvDpT3_.kd
    .uniform_work_group_size: 1
    .uses_dynamic_stack: false
    .vgpr_count:     5
    .vgpr_spill_count: 0
    .wavefront_size: 32
  - .args:
      - .address_space:  global
        .offset:         0
        .size:           8
        .value_kind:     global_buffer
      - .address_space:  global
        .offset:         8
        .size:           8
        .value_kind:     global_buffer
      - .offset:         16
        .size:           4
        .value_kind:     by_value
    .group_segment_fixed_size: 512
    .kernarg_segment_align: 8
    .kernarg_segment_size: 20
    .language:       OpenCL C
    .language_version:
      - 2
      - 0
    .max_flat_workgroup_size: 256
    .name:           _Z6kernelI13subtract_leftLj256ELj3ELb1EJPaS1_jEEvDpT3_
    .private_segment_fixed_size: 0
    .sgpr_count:     11
    .sgpr_spill_count: 0
    .symbol:         _Z6kernelI13subtract_leftLj256ELj3ELb1EJPaS1_jEEvDpT3_.kd
    .uniform_work_group_size: 1
    .uses_dynamic_stack: false
    .vgpr_count:     9
    .vgpr_spill_count: 0
    .wavefront_size: 32
  - .args:
      - .address_space:  global
        .offset:         0
        .size:           8
        .value_kind:     global_buffer
      - .address_space:  global
        .offset:         8
        .size:           8
        .value_kind:     global_buffer
      - .offset:         16
        .size:           4
        .value_kind:     by_value
    .group_segment_fixed_size: 512
    .kernarg_segment_align: 8
    .kernarg_segment_size: 20
    .language:       OpenCL C
    .language_version:
      - 2
      - 0
    .max_flat_workgroup_size: 256
    .name:           _Z6kernelI13subtract_leftLj256ELj4ELb1EJPaS1_jEEvDpT3_
    .private_segment_fixed_size: 0
    .sgpr_count:     11
    .sgpr_spill_count: 0
    .symbol:         _Z6kernelI13subtract_leftLj256ELj4ELb1EJPaS1_jEEvDpT3_.kd
    .uniform_work_group_size: 1
    .uses_dynamic_stack: false
    .vgpr_count:     11
    .vgpr_spill_count: 0
    .wavefront_size: 32
  - .args:
      - .address_space:  global
        .offset:         0
        .size:           8
        .value_kind:     global_buffer
      - .address_space:  global
        .offset:         8
        .size:           8
        .value_kind:     global_buffer
      - .offset:         16
        .size:           4
        .value_kind:     by_value
    .group_segment_fixed_size: 512
    .kernarg_segment_align: 8
    .kernarg_segment_size: 20
    .language:       OpenCL C
    .language_version:
      - 2
      - 0
    .max_flat_workgroup_size: 256
    .name:           _Z6kernelI13subtract_leftLj256ELj8ELb1EJPaS1_jEEvDpT3_
    .private_segment_fixed_size: 0
    .sgpr_count:     11
    .sgpr_spill_count: 0
    .symbol:         _Z6kernelI13subtract_leftLj256ELj8ELb1EJPaS1_jEEvDpT3_.kd
    .uniform_work_group_size: 1
    .uses_dynamic_stack: false
    .vgpr_count:     16
    .vgpr_spill_count: 0
    .wavefront_size: 32
  - .args:
      - .address_space:  global
        .offset:         0
        .size:           8
        .value_kind:     global_buffer
      - .address_space:  global
        .offset:         8
        .size:           8
        .value_kind:     global_buffer
      - .offset:         16
        .size:           4
        .value_kind:     by_value
    .group_segment_fixed_size: 512
    .kernarg_segment_align: 8
    .kernarg_segment_size: 20
    .language:       OpenCL C
    .language_version:
      - 2
      - 0
    .max_flat_workgroup_size: 256
    .name:           _Z6kernelI13subtract_leftLj256ELj16ELb1EJPaS1_jEEvDpT3_
    .private_segment_fixed_size: 0
    .sgpr_count:     11
    .sgpr_spill_count: 0
    .symbol:         _Z6kernelI13subtract_leftLj256ELj16ELb1EJPaS1_jEEvDpT3_.kd
    .uniform_work_group_size: 1
    .uses_dynamic_stack: false
    .vgpr_count:     23
    .vgpr_spill_count: 0
    .wavefront_size: 32
  - .args:
      - .address_space:  global
        .offset:         0
        .size:           8
        .value_kind:     global_buffer
      - .address_space:  global
        .offset:         8
        .size:           8
        .value_kind:     global_buffer
      - .offset:         16
        .size:           4
        .value_kind:     by_value
    .group_segment_fixed_size: 512
    .kernarg_segment_align: 8
    .kernarg_segment_size: 20
    .language:       OpenCL C
    .language_version:
      - 2
      - 0
    .max_flat_workgroup_size: 256
    .name:           _Z6kernelI13subtract_leftLj256ELj32ELb1EJPaS1_jEEvDpT3_
    .private_segment_fixed_size: 0
    .sgpr_count:     11
    .sgpr_spill_count: 0
    .symbol:         _Z6kernelI13subtract_leftLj256ELj32ELb1EJPaS1_jEEvDpT3_.kd
    .uniform_work_group_size: 1
    .uses_dynamic_stack: false
    .vgpr_count:     36
    .vgpr_spill_count: 0
    .wavefront_size: 32
  - .args:
      - .address_space:  global
        .offset:         0
        .size:           8
        .value_kind:     global_buffer
      - .address_space:  global
        .offset:         8
        .size:           8
        .value_kind:     global_buffer
      - .offset:         16
        .size:           4
        .value_kind:     by_value
    .group_segment_fixed_size: 4096
    .kernarg_segment_align: 8
    .kernarg_segment_size: 20
    .language:       OpenCL C
    .language_version:
      - 2
      - 0
    .max_flat_workgroup_size: 256
    .name:           _Z6kernelI13subtract_leftLj256ELj1ELb1EJPxS1_jEEvDpT3_
    .private_segment_fixed_size: 0
    .sgpr_count:     11
    .sgpr_spill_count: 0
    .symbol:         _Z6kernelI13subtract_leftLj256ELj1ELb1EJPxS1_jEEvDpT3_.kd
    .uniform_work_group_size: 1
    .uses_dynamic_stack: false
    .vgpr_count:     7
    .vgpr_spill_count: 0
    .wavefront_size: 32
  - .args:
      - .address_space:  global
        .offset:         0
        .size:           8
        .value_kind:     global_buffer
      - .address_space:  global
        .offset:         8
        .size:           8
        .value_kind:     global_buffer
      - .offset:         16
        .size:           4
        .value_kind:     by_value
    .group_segment_fixed_size: 4096
    .kernarg_segment_align: 8
    .kernarg_segment_size: 20
    .language:       OpenCL C
    .language_version:
      - 2
      - 0
    .max_flat_workgroup_size: 256
    .name:           _Z6kernelI13subtract_leftLj256ELj3ELb1EJPxS1_jEEvDpT3_
    .private_segment_fixed_size: 0
    .sgpr_count:     11
    .sgpr_spill_count: 0
    .symbol:         _Z6kernelI13subtract_leftLj256ELj3ELb1EJPxS1_jEEvDpT3_.kd
    .uniform_work_group_size: 1
    .uses_dynamic_stack: false
    .vgpr_count:     16
    .vgpr_spill_count: 0
    .wavefront_size: 32
  - .args:
      - .address_space:  global
        .offset:         0
        .size:           8
        .value_kind:     global_buffer
      - .address_space:  global
        .offset:         8
        .size:           8
        .value_kind:     global_buffer
      - .offset:         16
        .size:           4
        .value_kind:     by_value
    .group_segment_fixed_size: 4096
    .kernarg_segment_align: 8
    .kernarg_segment_size: 20
    .language:       OpenCL C
    .language_version:
      - 2
      - 0
    .max_flat_workgroup_size: 256
    .name:           _Z6kernelI13subtract_leftLj256ELj4ELb1EJPxS1_jEEvDpT3_
    .private_segment_fixed_size: 0
    .sgpr_count:     11
    .sgpr_spill_count: 0
    .symbol:         _Z6kernelI13subtract_leftLj256ELj4ELb1EJPxS1_jEEvDpT3_.kd
    .uniform_work_group_size: 1
    .uses_dynamic_stack: false
    .vgpr_count:     22
    .vgpr_spill_count: 0
    .wavefront_size: 32
  - .args:
      - .address_space:  global
        .offset:         0
        .size:           8
        .value_kind:     global_buffer
      - .address_space:  global
        .offset:         8
        .size:           8
        .value_kind:     global_buffer
      - .offset:         16
        .size:           4
        .value_kind:     by_value
    .group_segment_fixed_size: 4096
    .kernarg_segment_align: 8
    .kernarg_segment_size: 20
    .language:       OpenCL C
    .language_version:
      - 2
      - 0
    .max_flat_workgroup_size: 256
    .name:           _Z6kernelI13subtract_leftLj256ELj8ELb1EJPxS1_jEEvDpT3_
    .private_segment_fixed_size: 0
    .sgpr_count:     11
    .sgpr_spill_count: 0
    .symbol:         _Z6kernelI13subtract_leftLj256ELj8ELb1EJPxS1_jEEvDpT3_.kd
    .uniform_work_group_size: 1
    .uses_dynamic_stack: false
    .vgpr_count:     36
    .vgpr_spill_count: 0
    .wavefront_size: 32
  - .args:
      - .address_space:  global
        .offset:         0
        .size:           8
        .value_kind:     global_buffer
      - .address_space:  global
        .offset:         8
        .size:           8
        .value_kind:     global_buffer
      - .offset:         16
        .size:           4
        .value_kind:     by_value
    .group_segment_fixed_size: 4096
    .kernarg_segment_align: 8
    .kernarg_segment_size: 20
    .language:       OpenCL C
    .language_version:
      - 2
      - 0
    .max_flat_workgroup_size: 256
    .name:           _Z6kernelI13subtract_leftLj256ELj16ELb1EJPxS1_jEEvDpT3_
    .private_segment_fixed_size: 0
    .sgpr_count:     11
    .sgpr_spill_count: 0
    .symbol:         _Z6kernelI13subtract_leftLj256ELj16ELb1EJPxS1_jEEvDpT3_.kd
    .uniform_work_group_size: 1
    .uses_dynamic_stack: false
    .vgpr_count:     64
    .vgpr_spill_count: 0
    .wavefront_size: 32
  - .args:
      - .address_space:  global
        .offset:         0
        .size:           8
        .value_kind:     global_buffer
      - .address_space:  global
        .offset:         8
        .size:           8
        .value_kind:     global_buffer
      - .offset:         16
        .size:           4
        .value_kind:     by_value
    .group_segment_fixed_size: 4096
    .kernarg_segment_align: 8
    .kernarg_segment_size: 20
    .language:       OpenCL C
    .language_version:
      - 2
      - 0
    .max_flat_workgroup_size: 256
    .name:           _Z6kernelI13subtract_leftLj256ELj32ELb1EJPxS1_jEEvDpT3_
    .private_segment_fixed_size: 0
    .sgpr_count:     11
    .sgpr_spill_count: 0
    .symbol:         _Z6kernelI13subtract_leftLj256ELj32ELb1EJPxS1_jEEvDpT3_.kd
    .uniform_work_group_size: 1
    .uses_dynamic_stack: false
    .vgpr_count:     80
    .vgpr_spill_count: 0
    .wavefront_size: 32
  - .args:
      - .address_space:  global
        .offset:         0
        .size:           8
        .value_kind:     global_buffer
      - .address_space:  global
        .offset:         8
        .size:           8
        .value_kind:     global_buffer
      - .offset:         16
        .size:           4
        .value_kind:     by_value
    .group_segment_fixed_size: 4096
    .kernarg_segment_align: 8
    .kernarg_segment_size: 20
    .language:       OpenCL C
    .language_version:
      - 2
      - 0
    .max_flat_workgroup_size: 256
    .name:           _Z6kernelI13subtract_leftLj256ELj1ELb1EJPdS1_jEEvDpT3_
    .private_segment_fixed_size: 0
    .sgpr_count:     11
    .sgpr_spill_count: 0
    .symbol:         _Z6kernelI13subtract_leftLj256ELj1ELb1EJPdS1_jEEvDpT3_.kd
    .uniform_work_group_size: 1
    .uses_dynamic_stack: false
    .vgpr_count:     7
    .vgpr_spill_count: 0
    .wavefront_size: 32
  - .args:
      - .address_space:  global
        .offset:         0
        .size:           8
        .value_kind:     global_buffer
      - .address_space:  global
        .offset:         8
        .size:           8
        .value_kind:     global_buffer
      - .offset:         16
        .size:           4
        .value_kind:     by_value
    .group_segment_fixed_size: 4096
    .kernarg_segment_align: 8
    .kernarg_segment_size: 20
    .language:       OpenCL C
    .language_version:
      - 2
      - 0
    .max_flat_workgroup_size: 256
    .name:           _Z6kernelI13subtract_leftLj256ELj3ELb1EJPdS1_jEEvDpT3_
    .private_segment_fixed_size: 0
    .sgpr_count:     11
    .sgpr_spill_count: 0
    .symbol:         _Z6kernelI13subtract_leftLj256ELj3ELb1EJPdS1_jEEvDpT3_.kd
    .uniform_work_group_size: 1
    .uses_dynamic_stack: false
    .vgpr_count:     16
    .vgpr_spill_count: 0
    .wavefront_size: 32
  - .args:
      - .address_space:  global
        .offset:         0
        .size:           8
        .value_kind:     global_buffer
      - .address_space:  global
        .offset:         8
        .size:           8
        .value_kind:     global_buffer
      - .offset:         16
        .size:           4
        .value_kind:     by_value
    .group_segment_fixed_size: 4096
    .kernarg_segment_align: 8
    .kernarg_segment_size: 20
    .language:       OpenCL C
    .language_version:
      - 2
      - 0
    .max_flat_workgroup_size: 256
    .name:           _Z6kernelI13subtract_leftLj256ELj4ELb1EJPdS1_jEEvDpT3_
    .private_segment_fixed_size: 0
    .sgpr_count:     11
    .sgpr_spill_count: 0
    .symbol:         _Z6kernelI13subtract_leftLj256ELj4ELb1EJPdS1_jEEvDpT3_.kd
    .uniform_work_group_size: 1
    .uses_dynamic_stack: false
    .vgpr_count:     20
    .vgpr_spill_count: 0
    .wavefront_size: 32
  - .args:
      - .address_space:  global
        .offset:         0
        .size:           8
        .value_kind:     global_buffer
      - .address_space:  global
        .offset:         8
        .size:           8
        .value_kind:     global_buffer
      - .offset:         16
        .size:           4
        .value_kind:     by_value
    .group_segment_fixed_size: 4096
    .kernarg_segment_align: 8
    .kernarg_segment_size: 20
    .language:       OpenCL C
    .language_version:
      - 2
      - 0
    .max_flat_workgroup_size: 256
    .name:           _Z6kernelI13subtract_leftLj256ELj8ELb1EJPdS1_jEEvDpT3_
    .private_segment_fixed_size: 0
    .sgpr_count:     11
    .sgpr_spill_count: 0
    .symbol:         _Z6kernelI13subtract_leftLj256ELj8ELb1EJPdS1_jEEvDpT3_.kd
    .uniform_work_group_size: 1
    .uses_dynamic_stack: false
    .vgpr_count:     36
    .vgpr_spill_count: 0
    .wavefront_size: 32
  - .args:
      - .address_space:  global
        .offset:         0
        .size:           8
        .value_kind:     global_buffer
      - .address_space:  global
        .offset:         8
        .size:           8
        .value_kind:     global_buffer
      - .offset:         16
        .size:           4
        .value_kind:     by_value
    .group_segment_fixed_size: 4096
    .kernarg_segment_align: 8
    .kernarg_segment_size: 20
    .language:       OpenCL C
    .language_version:
      - 2
      - 0
    .max_flat_workgroup_size: 256
    .name:           _Z6kernelI13subtract_leftLj256ELj16ELb1EJPdS1_jEEvDpT3_
    .private_segment_fixed_size: 0
    .sgpr_count:     11
    .sgpr_spill_count: 0
    .symbol:         _Z6kernelI13subtract_leftLj256ELj16ELb1EJPdS1_jEEvDpT3_.kd
    .uniform_work_group_size: 1
    .uses_dynamic_stack: false
    .vgpr_count:     64
    .vgpr_spill_count: 0
    .wavefront_size: 32
  - .args:
      - .address_space:  global
        .offset:         0
        .size:           8
        .value_kind:     global_buffer
      - .address_space:  global
        .offset:         8
        .size:           8
        .value_kind:     global_buffer
      - .offset:         16
        .size:           4
        .value_kind:     by_value
    .group_segment_fixed_size: 4096
    .kernarg_segment_align: 8
    .kernarg_segment_size: 20
    .language:       OpenCL C
    .language_version:
      - 2
      - 0
    .max_flat_workgroup_size: 256
    .name:           _Z6kernelI13subtract_leftLj256ELj32ELb1EJPdS1_jEEvDpT3_
    .private_segment_fixed_size: 0
    .sgpr_count:     11
    .sgpr_spill_count: 0
    .symbol:         _Z6kernelI13subtract_leftLj256ELj32ELb1EJPdS1_jEEvDpT3_.kd
    .uniform_work_group_size: 1
    .uses_dynamic_stack: false
    .vgpr_count:     80
    .vgpr_spill_count: 0
    .wavefront_size: 32
  - .args:
      - .address_space:  global
        .offset:         0
        .size:           8
        .value_kind:     global_buffer
      - .address_space:  global
        .offset:         8
        .size:           8
        .value_kind:     global_buffer
      - .offset:         16
        .size:           4
        .value_kind:     by_value
    .group_segment_fixed_size: 2048
    .kernarg_segment_align: 8
    .kernarg_segment_size: 20
    .language:       OpenCL C
    .language_version:
      - 2
      - 0
    .max_flat_workgroup_size: 256
    .name:           _Z6kernelI14subtract_rightLj256ELj1ELb0EJPiS1_jEEvDpT3_
    .private_segment_fixed_size: 0
    .sgpr_count:     11
    .sgpr_spill_count: 0
    .symbol:         _Z6kernelI14subtract_rightLj256ELj1ELb0EJPiS1_jEEvDpT3_.kd
    .uniform_work_group_size: 1
    .uses_dynamic_stack: false
    .vgpr_count:     4
    .vgpr_spill_count: 0
    .wavefront_size: 32
  - .args:
      - .address_space:  global
        .offset:         0
        .size:           8
        .value_kind:     global_buffer
      - .address_space:  global
        .offset:         8
        .size:           8
        .value_kind:     global_buffer
      - .offset:         16
        .size:           4
        .value_kind:     by_value
    .group_segment_fixed_size: 2048
    .kernarg_segment_align: 8
    .kernarg_segment_size: 20
    .language:       OpenCL C
    .language_version:
      - 2
      - 0
    .max_flat_workgroup_size: 256
    .name:           _Z6kernelI14subtract_rightLj256ELj3ELb0EJPiS1_jEEvDpT3_
    .private_segment_fixed_size: 0
    .sgpr_count:     11
    .sgpr_spill_count: 0
    .symbol:         _Z6kernelI14subtract_rightLj256ELj3ELb0EJPiS1_jEEvDpT3_.kd
    .uniform_work_group_size: 1
    .uses_dynamic_stack: false
    .vgpr_count:     8
    .vgpr_spill_count: 0
    .wavefront_size: 32
  - .args:
      - .address_space:  global
        .offset:         0
        .size:           8
        .value_kind:     global_buffer
      - .address_space:  global
        .offset:         8
        .size:           8
        .value_kind:     global_buffer
      - .offset:         16
        .size:           4
        .value_kind:     by_value
    .group_segment_fixed_size: 2048
    .kernarg_segment_align: 8
    .kernarg_segment_size: 20
    .language:       OpenCL C
    .language_version:
      - 2
      - 0
    .max_flat_workgroup_size: 256
    .name:           _Z6kernelI14subtract_rightLj256ELj4ELb0EJPiS1_jEEvDpT3_
    .private_segment_fixed_size: 0
    .sgpr_count:     11
    .sgpr_spill_count: 0
    .symbol:         _Z6kernelI14subtract_rightLj256ELj4ELb0EJPiS1_jEEvDpT3_.kd
    .uniform_work_group_size: 1
    .uses_dynamic_stack: false
    .vgpr_count:     10
    .vgpr_spill_count: 0
    .wavefront_size: 32
  - .args:
      - .address_space:  global
        .offset:         0
        .size:           8
        .value_kind:     global_buffer
      - .address_space:  global
        .offset:         8
        .size:           8
        .value_kind:     global_buffer
      - .offset:         16
        .size:           4
        .value_kind:     by_value
    .group_segment_fixed_size: 2048
    .kernarg_segment_align: 8
    .kernarg_segment_size: 20
    .language:       OpenCL C
    .language_version:
      - 2
      - 0
    .max_flat_workgroup_size: 256
    .name:           _Z6kernelI14subtract_rightLj256ELj8ELb0EJPiS1_jEEvDpT3_
    .private_segment_fixed_size: 0
    .sgpr_count:     11
    .sgpr_spill_count: 0
    .symbol:         _Z6kernelI14subtract_rightLj256ELj8ELb0EJPiS1_jEEvDpT3_.kd
    .uniform_work_group_size: 1
    .uses_dynamic_stack: false
    .vgpr_count:     16
    .vgpr_spill_count: 0
    .wavefront_size: 32
  - .args:
      - .address_space:  global
        .offset:         0
        .size:           8
        .value_kind:     global_buffer
      - .address_space:  global
        .offset:         8
        .size:           8
        .value_kind:     global_buffer
      - .offset:         16
        .size:           4
        .value_kind:     by_value
    .group_segment_fixed_size: 2048
    .kernarg_segment_align: 8
    .kernarg_segment_size: 20
    .language:       OpenCL C
    .language_version:
      - 2
      - 0
    .max_flat_workgroup_size: 256
    .name:           _Z6kernelI14subtract_rightLj256ELj16ELb0EJPiS1_jEEvDpT3_
    .private_segment_fixed_size: 0
    .sgpr_count:     11
    .sgpr_spill_count: 0
    .symbol:         _Z6kernelI14subtract_rightLj256ELj16ELb0EJPiS1_jEEvDpT3_.kd
    .uniform_work_group_size: 1
    .uses_dynamic_stack: false
    .vgpr_count:     34
    .vgpr_spill_count: 0
    .wavefront_size: 32
  - .args:
      - .address_space:  global
        .offset:         0
        .size:           8
        .value_kind:     global_buffer
      - .address_space:  global
        .offset:         8
        .size:           8
        .value_kind:     global_buffer
      - .offset:         16
        .size:           4
        .value_kind:     by_value
    .group_segment_fixed_size: 2048
    .kernarg_segment_align: 8
    .kernarg_segment_size: 20
    .language:       OpenCL C
    .language_version:
      - 2
      - 0
    .max_flat_workgroup_size: 256
    .name:           _Z6kernelI14subtract_rightLj256ELj32ELb0EJPiS1_jEEvDpT3_
    .private_segment_fixed_size: 0
    .sgpr_count:     11
    .sgpr_spill_count: 0
    .symbol:         _Z6kernelI14subtract_rightLj256ELj32ELb0EJPiS1_jEEvDpT3_.kd
    .uniform_work_group_size: 1
    .uses_dynamic_stack: false
    .vgpr_count:     62
    .vgpr_spill_count: 0
    .wavefront_size: 32
  - .args:
      - .address_space:  global
        .offset:         0
        .size:           8
        .value_kind:     global_buffer
      - .address_space:  global
        .offset:         8
        .size:           8
        .value_kind:     global_buffer
      - .offset:         16
        .size:           4
        .value_kind:     by_value
    .group_segment_fixed_size: 2048
    .kernarg_segment_align: 8
    .kernarg_segment_size: 20
    .language:       OpenCL C
    .language_version:
      - 2
      - 0
    .max_flat_workgroup_size: 256
    .name:           _Z6kernelI14subtract_rightLj256ELj1ELb0EJPfS1_jEEvDpT3_
    .private_segment_fixed_size: 0
    .sgpr_count:     11
    .sgpr_spill_count: 0
    .symbol:         _Z6kernelI14subtract_rightLj256ELj1ELb0EJPfS1_jEEvDpT3_.kd
    .uniform_work_group_size: 1
    .uses_dynamic_stack: false
    .vgpr_count:     4
    .vgpr_spill_count: 0
    .wavefront_size: 32
  - .args:
      - .address_space:  global
        .offset:         0
        .size:           8
        .value_kind:     global_buffer
      - .address_space:  global
        .offset:         8
        .size:           8
        .value_kind:     global_buffer
      - .offset:         16
        .size:           4
        .value_kind:     by_value
    .group_segment_fixed_size: 2048
    .kernarg_segment_align: 8
    .kernarg_segment_size: 20
    .language:       OpenCL C
    .language_version:
      - 2
      - 0
    .max_flat_workgroup_size: 256
    .name:           _Z6kernelI14subtract_rightLj256ELj3ELb0EJPfS1_jEEvDpT3_
    .private_segment_fixed_size: 0
    .sgpr_count:     11
    .sgpr_spill_count: 0
    .symbol:         _Z6kernelI14subtract_rightLj256ELj3ELb0EJPfS1_jEEvDpT3_.kd
    .uniform_work_group_size: 1
    .uses_dynamic_stack: false
    .vgpr_count:     8
    .vgpr_spill_count: 0
    .wavefront_size: 32
  - .args:
      - .address_space:  global
        .offset:         0
        .size:           8
        .value_kind:     global_buffer
      - .address_space:  global
        .offset:         8
        .size:           8
        .value_kind:     global_buffer
      - .offset:         16
        .size:           4
        .value_kind:     by_value
    .group_segment_fixed_size: 2048
    .kernarg_segment_align: 8
    .kernarg_segment_size: 20
    .language:       OpenCL C
    .language_version:
      - 2
      - 0
    .max_flat_workgroup_size: 256
    .name:           _Z6kernelI14subtract_rightLj256ELj4ELb0EJPfS1_jEEvDpT3_
    .private_segment_fixed_size: 0
    .sgpr_count:     11
    .sgpr_spill_count: 0
    .symbol:         _Z6kernelI14subtract_rightLj256ELj4ELb0EJPfS1_jEEvDpT3_.kd
    .uniform_work_group_size: 1
    .uses_dynamic_stack: false
    .vgpr_count:     12
    .vgpr_spill_count: 0
    .wavefront_size: 32
  - .args:
      - .address_space:  global
        .offset:         0
        .size:           8
        .value_kind:     global_buffer
      - .address_space:  global
        .offset:         8
        .size:           8
        .value_kind:     global_buffer
      - .offset:         16
        .size:           4
        .value_kind:     by_value
    .group_segment_fixed_size: 2048
    .kernarg_segment_align: 8
    .kernarg_segment_size: 20
    .language:       OpenCL C
    .language_version:
      - 2
      - 0
    .max_flat_workgroup_size: 256
    .name:           _Z6kernelI14subtract_rightLj256ELj8ELb0EJPfS1_jEEvDpT3_
    .private_segment_fixed_size: 0
    .sgpr_count:     11
    .sgpr_spill_count: 0
    .symbol:         _Z6kernelI14subtract_rightLj256ELj8ELb0EJPfS1_jEEvDpT3_.kd
    .uniform_work_group_size: 1
    .uses_dynamic_stack: false
    .vgpr_count:     20
    .vgpr_spill_count: 0
    .wavefront_size: 32
  - .args:
      - .address_space:  global
        .offset:         0
        .size:           8
        .value_kind:     global_buffer
      - .address_space:  global
        .offset:         8
        .size:           8
        .value_kind:     global_buffer
      - .offset:         16
        .size:           4
        .value_kind:     by_value
    .group_segment_fixed_size: 2048
    .kernarg_segment_align: 8
    .kernarg_segment_size: 20
    .language:       OpenCL C
    .language_version:
      - 2
      - 0
    .max_flat_workgroup_size: 256
    .name:           _Z6kernelI14subtract_rightLj256ELj16ELb0EJPfS1_jEEvDpT3_
    .private_segment_fixed_size: 0
    .sgpr_count:     11
    .sgpr_spill_count: 0
    .symbol:         _Z6kernelI14subtract_rightLj256ELj16ELb0EJPfS1_jEEvDpT3_.kd
    .uniform_work_group_size: 1
    .uses_dynamic_stack: false
    .vgpr_count:     54
    .vgpr_spill_count: 0
    .wavefront_size: 32
  - .args:
      - .address_space:  global
        .offset:         0
        .size:           8
        .value_kind:     global_buffer
      - .address_space:  global
        .offset:         8
        .size:           8
        .value_kind:     global_buffer
      - .offset:         16
        .size:           4
        .value_kind:     by_value
    .group_segment_fixed_size: 2048
    .kernarg_segment_align: 8
    .kernarg_segment_size: 20
    .language:       OpenCL C
    .language_version:
      - 2
      - 0
    .max_flat_workgroup_size: 256
    .name:           _Z6kernelI14subtract_rightLj256ELj32ELb0EJPfS1_jEEvDpT3_
    .private_segment_fixed_size: 0
    .sgpr_count:     11
    .sgpr_spill_count: 0
    .symbol:         _Z6kernelI14subtract_rightLj256ELj32ELb0EJPfS1_jEEvDpT3_.kd
    .uniform_work_group_size: 1
    .uses_dynamic_stack: false
    .vgpr_count:     62
    .vgpr_spill_count: 0
    .wavefront_size: 32
  - .args:
      - .address_space:  global
        .offset:         0
        .size:           8
        .value_kind:     global_buffer
      - .address_space:  global
        .offset:         8
        .size:           8
        .value_kind:     global_buffer
      - .offset:         16
        .size:           4
        .value_kind:     by_value
    .group_segment_fixed_size: 512
    .kernarg_segment_align: 8
    .kernarg_segment_size: 20
    .language:       OpenCL C
    .language_version:
      - 2
      - 0
    .max_flat_workgroup_size: 256
    .name:           _Z6kernelI14subtract_rightLj256ELj1ELb0EJPaS1_jEEvDpT3_
    .private_segment_fixed_size: 0
    .sgpr_count:     11
    .sgpr_spill_count: 0
    .symbol:         _Z6kernelI14subtract_rightLj256ELj1ELb0EJPaS1_jEEvDpT3_.kd
    .uniform_work_group_size: 1
    .uses_dynamic_stack: false
    .vgpr_count:     4
    .vgpr_spill_count: 0
    .wavefront_size: 32
  - .args:
      - .address_space:  global
        .offset:         0
        .size:           8
        .value_kind:     global_buffer
      - .address_space:  global
        .offset:         8
        .size:           8
        .value_kind:     global_buffer
      - .offset:         16
        .size:           4
        .value_kind:     by_value
    .group_segment_fixed_size: 512
    .kernarg_segment_align: 8
    .kernarg_segment_size: 20
    .language:       OpenCL C
    .language_version:
      - 2
      - 0
    .max_flat_workgroup_size: 256
    .name:           _Z6kernelI14subtract_rightLj256ELj3ELb0EJPaS1_jEEvDpT3_
    .private_segment_fixed_size: 0
    .sgpr_count:     11
    .sgpr_spill_count: 0
    .symbol:         _Z6kernelI14subtract_rightLj256ELj3ELb0EJPaS1_jEEvDpT3_.kd
    .uniform_work_group_size: 1
    .uses_dynamic_stack: false
    .vgpr_count:     9
    .vgpr_spill_count: 0
    .wavefront_size: 32
  - .args:
      - .address_space:  global
        .offset:         0
        .size:           8
        .value_kind:     global_buffer
      - .address_space:  global
        .offset:         8
        .size:           8
        .value_kind:     global_buffer
      - .offset:         16
        .size:           4
        .value_kind:     by_value
    .group_segment_fixed_size: 512
    .kernarg_segment_align: 8
    .kernarg_segment_size: 20
    .language:       OpenCL C
    .language_version:
      - 2
      - 0
    .max_flat_workgroup_size: 256
    .name:           _Z6kernelI14subtract_rightLj256ELj4ELb0EJPaS1_jEEvDpT3_
    .private_segment_fixed_size: 0
    .sgpr_count:     11
    .sgpr_spill_count: 0
    .symbol:         _Z6kernelI14subtract_rightLj256ELj4ELb0EJPaS1_jEEvDpT3_.kd
    .uniform_work_group_size: 1
    .uses_dynamic_stack: false
    .vgpr_count:     11
    .vgpr_spill_count: 0
    .wavefront_size: 32
  - .args:
      - .address_space:  global
        .offset:         0
        .size:           8
        .value_kind:     global_buffer
      - .address_space:  global
        .offset:         8
        .size:           8
        .value_kind:     global_buffer
      - .offset:         16
        .size:           4
        .value_kind:     by_value
    .group_segment_fixed_size: 512
    .kernarg_segment_align: 8
    .kernarg_segment_size: 20
    .language:       OpenCL C
    .language_version:
      - 2
      - 0
    .max_flat_workgroup_size: 256
    .name:           _Z6kernelI14subtract_rightLj256ELj8ELb0EJPaS1_jEEvDpT3_
    .private_segment_fixed_size: 0
    .sgpr_count:     11
    .sgpr_spill_count: 0
    .symbol:         _Z6kernelI14subtract_rightLj256ELj8ELb0EJPaS1_jEEvDpT3_.kd
    .uniform_work_group_size: 1
    .uses_dynamic_stack: false
    .vgpr_count:     18
    .vgpr_spill_count: 0
    .wavefront_size: 32
  - .args:
      - .address_space:  global
        .offset:         0
        .size:           8
        .value_kind:     global_buffer
      - .address_space:  global
        .offset:         8
        .size:           8
        .value_kind:     global_buffer
      - .offset:         16
        .size:           4
        .value_kind:     by_value
    .group_segment_fixed_size: 512
    .kernarg_segment_align: 8
    .kernarg_segment_size: 20
    .language:       OpenCL C
    .language_version:
      - 2
      - 0
    .max_flat_workgroup_size: 256
    .name:           _Z6kernelI14subtract_rightLj256ELj16ELb0EJPaS1_jEEvDpT3_
    .private_segment_fixed_size: 0
    .sgpr_count:     11
    .sgpr_spill_count: 0
    .symbol:         _Z6kernelI14subtract_rightLj256ELj16ELb0EJPaS1_jEEvDpT3_.kd
    .uniform_work_group_size: 1
    .uses_dynamic_stack: false
    .vgpr_count:     33
    .vgpr_spill_count: 0
    .wavefront_size: 32
  - .args:
      - .address_space:  global
        .offset:         0
        .size:           8
        .value_kind:     global_buffer
      - .address_space:  global
        .offset:         8
        .size:           8
        .value_kind:     global_buffer
      - .offset:         16
        .size:           4
        .value_kind:     by_value
    .group_segment_fixed_size: 512
    .kernarg_segment_align: 8
    .kernarg_segment_size: 20
    .language:       OpenCL C
    .language_version:
      - 2
      - 0
    .max_flat_workgroup_size: 256
    .name:           _Z6kernelI14subtract_rightLj256ELj32ELb0EJPaS1_jEEvDpT3_
    .private_segment_fixed_size: 0
    .sgpr_count:     11
    .sgpr_spill_count: 0
    .symbol:         _Z6kernelI14subtract_rightLj256ELj32ELb0EJPaS1_jEEvDpT3_.kd
    .uniform_work_group_size: 1
    .uses_dynamic_stack: false
    .vgpr_count:     39
    .vgpr_spill_count: 0
    .wavefront_size: 32
  - .args:
      - .address_space:  global
        .offset:         0
        .size:           8
        .value_kind:     global_buffer
      - .address_space:  global
        .offset:         8
        .size:           8
        .value_kind:     global_buffer
      - .offset:         16
        .size:           4
        .value_kind:     by_value
    .group_segment_fixed_size: 4096
    .kernarg_segment_align: 8
    .kernarg_segment_size: 20
    .language:       OpenCL C
    .language_version:
      - 2
      - 0
    .max_flat_workgroup_size: 256
    .name:           _Z6kernelI14subtract_rightLj256ELj1ELb0EJPxS1_jEEvDpT3_
    .private_segment_fixed_size: 0
    .sgpr_count:     11
    .sgpr_spill_count: 0
    .symbol:         _Z6kernelI14subtract_rightLj256ELj1ELb0EJPxS1_jEEvDpT3_.kd
    .uniform_work_group_size: 1
    .uses_dynamic_stack: false
    .vgpr_count:     6
    .vgpr_spill_count: 0
    .wavefront_size: 32
  - .args:
      - .address_space:  global
        .offset:         0
        .size:           8
        .value_kind:     global_buffer
      - .address_space:  global
        .offset:         8
        .size:           8
        .value_kind:     global_buffer
      - .offset:         16
        .size:           4
        .value_kind:     by_value
    .group_segment_fixed_size: 4096
    .kernarg_segment_align: 8
    .kernarg_segment_size: 20
    .language:       OpenCL C
    .language_version:
      - 2
      - 0
    .max_flat_workgroup_size: 256
    .name:           _Z6kernelI14subtract_rightLj256ELj3ELb0EJPxS1_jEEvDpT3_
    .private_segment_fixed_size: 0
    .sgpr_count:     11
    .sgpr_spill_count: 0
    .symbol:         _Z6kernelI14subtract_rightLj256ELj3ELb0EJPxS1_jEEvDpT3_.kd
    .uniform_work_group_size: 1
    .uses_dynamic_stack: false
    .vgpr_count:     12
    .vgpr_spill_count: 0
    .wavefront_size: 32
  - .args:
      - .address_space:  global
        .offset:         0
        .size:           8
        .value_kind:     global_buffer
      - .address_space:  global
        .offset:         8
        .size:           8
        .value_kind:     global_buffer
      - .offset:         16
        .size:           4
        .value_kind:     by_value
    .group_segment_fixed_size: 4096
    .kernarg_segment_align: 8
    .kernarg_segment_size: 20
    .language:       OpenCL C
    .language_version:
      - 2
      - 0
    .max_flat_workgroup_size: 256
    .name:           _Z6kernelI14subtract_rightLj256ELj4ELb0EJPxS1_jEEvDpT3_
    .private_segment_fixed_size: 0
    .sgpr_count:     11
    .sgpr_spill_count: 0
    .symbol:         _Z6kernelI14subtract_rightLj256ELj4ELb0EJPxS1_jEEvDpT3_.kd
    .uniform_work_group_size: 1
    .uses_dynamic_stack: false
    .vgpr_count:     16
    .vgpr_spill_count: 0
    .wavefront_size: 32
  - .args:
      - .address_space:  global
        .offset:         0
        .size:           8
        .value_kind:     global_buffer
      - .address_space:  global
        .offset:         8
        .size:           8
        .value_kind:     global_buffer
      - .offset:         16
        .size:           4
        .value_kind:     by_value
    .group_segment_fixed_size: 4096
    .kernarg_segment_align: 8
    .kernarg_segment_size: 20
    .language:       OpenCL C
    .language_version:
      - 2
      - 0
    .max_flat_workgroup_size: 256
    .name:           _Z6kernelI14subtract_rightLj256ELj8ELb0EJPxS1_jEEvDpT3_
    .private_segment_fixed_size: 0
    .sgpr_count:     11
    .sgpr_spill_count: 0
    .symbol:         _Z6kernelI14subtract_rightLj256ELj8ELb0EJPxS1_jEEvDpT3_.kd
    .uniform_work_group_size: 1
    .uses_dynamic_stack: false
    .vgpr_count:     34
    .vgpr_spill_count: 0
    .wavefront_size: 32
  - .args:
      - .address_space:  global
        .offset:         0
        .size:           8
        .value_kind:     global_buffer
      - .address_space:  global
        .offset:         8
        .size:           8
        .value_kind:     global_buffer
      - .offset:         16
        .size:           4
        .value_kind:     by_value
    .group_segment_fixed_size: 4096
    .kernarg_segment_align: 8
    .kernarg_segment_size: 20
    .language:       OpenCL C
    .language_version:
      - 2
      - 0
    .max_flat_workgroup_size: 256
    .name:           _Z6kernelI14subtract_rightLj256ELj16ELb0EJPxS1_jEEvDpT3_
    .private_segment_fixed_size: 0
    .sgpr_count:     11
    .sgpr_spill_count: 0
    .symbol:         _Z6kernelI14subtract_rightLj256ELj16ELb0EJPxS1_jEEvDpT3_.kd
    .uniform_work_group_size: 1
    .uses_dynamic_stack: false
    .vgpr_count:     62
    .vgpr_spill_count: 0
    .wavefront_size: 32
  - .args:
      - .address_space:  global
        .offset:         0
        .size:           8
        .value_kind:     global_buffer
      - .address_space:  global
        .offset:         8
        .size:           8
        .value_kind:     global_buffer
      - .offset:         16
        .size:           4
        .value_kind:     by_value
    .group_segment_fixed_size: 4096
    .kernarg_segment_align: 8
    .kernarg_segment_size: 20
    .language:       OpenCL C
    .language_version:
      - 2
      - 0
    .max_flat_workgroup_size: 256
    .name:           _Z6kernelI14subtract_rightLj256ELj32ELb0EJPxS1_jEEvDpT3_
    .private_segment_fixed_size: 0
    .sgpr_count:     11
    .sgpr_spill_count: 0
    .symbol:         _Z6kernelI14subtract_rightLj256ELj32ELb0EJPxS1_jEEvDpT3_.kd
    .uniform_work_group_size: 1
    .uses_dynamic_stack: false
    .vgpr_count:     78
    .vgpr_spill_count: 0
    .wavefront_size: 32
  - .args:
      - .address_space:  global
        .offset:         0
        .size:           8
        .value_kind:     global_buffer
      - .address_space:  global
        .offset:         8
        .size:           8
        .value_kind:     global_buffer
      - .offset:         16
        .size:           4
        .value_kind:     by_value
    .group_segment_fixed_size: 4096
    .kernarg_segment_align: 8
    .kernarg_segment_size: 20
    .language:       OpenCL C
    .language_version:
      - 2
      - 0
    .max_flat_workgroup_size: 256
    .name:           _Z6kernelI14subtract_rightLj256ELj1ELb0EJPdS1_jEEvDpT3_
    .private_segment_fixed_size: 0
    .sgpr_count:     11
    .sgpr_spill_count: 0
    .symbol:         _Z6kernelI14subtract_rightLj256ELj1ELb0EJPdS1_jEEvDpT3_.kd
    .uniform_work_group_size: 1
    .uses_dynamic_stack: false
    .vgpr_count:     6
    .vgpr_spill_count: 0
    .wavefront_size: 32
  - .args:
      - .address_space:  global
        .offset:         0
        .size:           8
        .value_kind:     global_buffer
      - .address_space:  global
        .offset:         8
        .size:           8
        .value_kind:     global_buffer
      - .offset:         16
        .size:           4
        .value_kind:     by_value
    .group_segment_fixed_size: 4096
    .kernarg_segment_align: 8
    .kernarg_segment_size: 20
    .language:       OpenCL C
    .language_version:
      - 2
      - 0
    .max_flat_workgroup_size: 256
    .name:           _Z6kernelI14subtract_rightLj256ELj3ELb0EJPdS1_jEEvDpT3_
    .private_segment_fixed_size: 0
    .sgpr_count:     11
    .sgpr_spill_count: 0
    .symbol:         _Z6kernelI14subtract_rightLj256ELj3ELb0EJPdS1_jEEvDpT3_.kd
    .uniform_work_group_size: 1
    .uses_dynamic_stack: false
    .vgpr_count:     14
    .vgpr_spill_count: 0
    .wavefront_size: 32
  - .args:
      - .address_space:  global
        .offset:         0
        .size:           8
        .value_kind:     global_buffer
      - .address_space:  global
        .offset:         8
        .size:           8
        .value_kind:     global_buffer
      - .offset:         16
        .size:           4
        .value_kind:     by_value
    .group_segment_fixed_size: 4096
    .kernarg_segment_align: 8
    .kernarg_segment_size: 20
    .language:       OpenCL C
    .language_version:
      - 2
      - 0
    .max_flat_workgroup_size: 256
    .name:           _Z6kernelI14subtract_rightLj256ELj4ELb0EJPdS1_jEEvDpT3_
    .private_segment_fixed_size: 0
    .sgpr_count:     11
    .sgpr_spill_count: 0
    .symbol:         _Z6kernelI14subtract_rightLj256ELj4ELb0EJPdS1_jEEvDpT3_.kd
    .uniform_work_group_size: 1
    .uses_dynamic_stack: false
    .vgpr_count:     18
    .vgpr_spill_count: 0
    .wavefront_size: 32
  - .args:
      - .address_space:  global
        .offset:         0
        .size:           8
        .value_kind:     global_buffer
      - .address_space:  global
        .offset:         8
        .size:           8
        .value_kind:     global_buffer
      - .offset:         16
        .size:           4
        .value_kind:     by_value
    .group_segment_fixed_size: 4096
    .kernarg_segment_align: 8
    .kernarg_segment_size: 20
    .language:       OpenCL C
    .language_version:
      - 2
      - 0
    .max_flat_workgroup_size: 256
    .name:           _Z6kernelI14subtract_rightLj256ELj8ELb0EJPdS1_jEEvDpT3_
    .private_segment_fixed_size: 0
    .sgpr_count:     11
    .sgpr_spill_count: 0
    .symbol:         _Z6kernelI14subtract_rightLj256ELj8ELb0EJPdS1_jEEvDpT3_.kd
    .uniform_work_group_size: 1
    .uses_dynamic_stack: false
    .vgpr_count:     34
    .vgpr_spill_count: 0
    .wavefront_size: 32
  - .args:
      - .address_space:  global
        .offset:         0
        .size:           8
        .value_kind:     global_buffer
      - .address_space:  global
        .offset:         8
        .size:           8
        .value_kind:     global_buffer
      - .offset:         16
        .size:           4
        .value_kind:     by_value
    .group_segment_fixed_size: 4096
    .kernarg_segment_align: 8
    .kernarg_segment_size: 20
    .language:       OpenCL C
    .language_version:
      - 2
      - 0
    .max_flat_workgroup_size: 256
    .name:           _Z6kernelI14subtract_rightLj256ELj16ELb0EJPdS1_jEEvDpT3_
    .private_segment_fixed_size: 0
    .sgpr_count:     11
    .sgpr_spill_count: 0
    .symbol:         _Z6kernelI14subtract_rightLj256ELj16ELb0EJPdS1_jEEvDpT3_.kd
    .uniform_work_group_size: 1
    .uses_dynamic_stack: false
    .vgpr_count:     62
    .vgpr_spill_count: 0
    .wavefront_size: 32
  - .args:
      - .address_space:  global
        .offset:         0
        .size:           8
        .value_kind:     global_buffer
      - .address_space:  global
        .offset:         8
        .size:           8
        .value_kind:     global_buffer
      - .offset:         16
        .size:           4
        .value_kind:     by_value
    .group_segment_fixed_size: 4096
    .kernarg_segment_align: 8
    .kernarg_segment_size: 20
    .language:       OpenCL C
    .language_version:
      - 2
      - 0
    .max_flat_workgroup_size: 256
    .name:           _Z6kernelI14subtract_rightLj256ELj32ELb0EJPdS1_jEEvDpT3_
    .private_segment_fixed_size: 0
    .sgpr_count:     11
    .sgpr_spill_count: 0
    .symbol:         _Z6kernelI14subtract_rightLj256ELj32ELb0EJPdS1_jEEvDpT3_.kd
    .uniform_work_group_size: 1
    .uses_dynamic_stack: false
    .vgpr_count:     78
    .vgpr_spill_count: 0
    .wavefront_size: 32
  - .args:
      - .address_space:  global
        .offset:         0
        .size:           8
        .value_kind:     global_buffer
      - .address_space:  global
        .offset:         8
        .size:           8
        .value_kind:     global_buffer
      - .offset:         16
        .size:           4
        .value_kind:     by_value
    .group_segment_fixed_size: 2048
    .kernarg_segment_align: 8
    .kernarg_segment_size: 20
    .language:       OpenCL C
    .language_version:
      - 2
      - 0
    .max_flat_workgroup_size: 256
    .name:           _Z6kernelI14subtract_rightLj256ELj1ELb1EJPiS1_jEEvDpT3_
    .private_segment_fixed_size: 0
    .sgpr_count:     11
    .sgpr_spill_count: 0
    .symbol:         _Z6kernelI14subtract_rightLj256ELj1ELb1EJPiS1_jEEvDpT3_.kd
    .uniform_work_group_size: 1
    .uses_dynamic_stack: false
    .vgpr_count:     4
    .vgpr_spill_count: 0
    .wavefront_size: 32
  - .args:
      - .address_space:  global
        .offset:         0
        .size:           8
        .value_kind:     global_buffer
      - .address_space:  global
        .offset:         8
        .size:           8
        .value_kind:     global_buffer
      - .offset:         16
        .size:           4
        .value_kind:     by_value
    .group_segment_fixed_size: 2048
    .kernarg_segment_align: 8
    .kernarg_segment_size: 20
    .language:       OpenCL C
    .language_version:
      - 2
      - 0
    .max_flat_workgroup_size: 256
    .name:           _Z6kernelI14subtract_rightLj256ELj3ELb1EJPiS1_jEEvDpT3_
    .private_segment_fixed_size: 0
    .sgpr_count:     11
    .sgpr_spill_count: 0
    .symbol:         _Z6kernelI14subtract_rightLj256ELj3ELb1EJPiS1_jEEvDpT3_.kd
    .uniform_work_group_size: 1
    .uses_dynamic_stack: false
    .vgpr_count:     8
    .vgpr_spill_count: 0
    .wavefront_size: 32
  - .args:
      - .address_space:  global
        .offset:         0
        .size:           8
        .value_kind:     global_buffer
      - .address_space:  global
        .offset:         8
        .size:           8
        .value_kind:     global_buffer
      - .offset:         16
        .size:           4
        .value_kind:     by_value
    .group_segment_fixed_size: 2048
    .kernarg_segment_align: 8
    .kernarg_segment_size: 20
    .language:       OpenCL C
    .language_version:
      - 2
      - 0
    .max_flat_workgroup_size: 256
    .name:           _Z6kernelI14subtract_rightLj256ELj4ELb1EJPiS1_jEEvDpT3_
    .private_segment_fixed_size: 0
    .sgpr_count:     11
    .sgpr_spill_count: 0
    .symbol:         _Z6kernelI14subtract_rightLj256ELj4ELb1EJPiS1_jEEvDpT3_.kd
    .uniform_work_group_size: 1
    .uses_dynamic_stack: false
    .vgpr_count:     10
    .vgpr_spill_count: 0
    .wavefront_size: 32
  - .args:
      - .address_space:  global
        .offset:         0
        .size:           8
        .value_kind:     global_buffer
      - .address_space:  global
        .offset:         8
        .size:           8
        .value_kind:     global_buffer
      - .offset:         16
        .size:           4
        .value_kind:     by_value
    .group_segment_fixed_size: 2048
    .kernarg_segment_align: 8
    .kernarg_segment_size: 20
    .language:       OpenCL C
    .language_version:
      - 2
      - 0
    .max_flat_workgroup_size: 256
    .name:           _Z6kernelI14subtract_rightLj256ELj8ELb1EJPiS1_jEEvDpT3_
    .private_segment_fixed_size: 0
    .sgpr_count:     11
    .sgpr_spill_count: 0
    .symbol:         _Z6kernelI14subtract_rightLj256ELj8ELb1EJPiS1_jEEvDpT3_.kd
    .uniform_work_group_size: 1
    .uses_dynamic_stack: false
    .vgpr_count:     15
    .vgpr_spill_count: 0
    .wavefront_size: 32
  - .args:
      - .address_space:  global
        .offset:         0
        .size:           8
        .value_kind:     global_buffer
      - .address_space:  global
        .offset:         8
        .size:           8
        .value_kind:     global_buffer
      - .offset:         16
        .size:           4
        .value_kind:     by_value
    .group_segment_fixed_size: 2048
    .kernarg_segment_align: 8
    .kernarg_segment_size: 20
    .language:       OpenCL C
    .language_version:
      - 2
      - 0
    .max_flat_workgroup_size: 256
    .name:           _Z6kernelI14subtract_rightLj256ELj16ELb1EJPiS1_jEEvDpT3_
    .private_segment_fixed_size: 0
    .sgpr_count:     11
    .sgpr_spill_count: 0
    .symbol:         _Z6kernelI14subtract_rightLj256ELj16ELb1EJPiS1_jEEvDpT3_.kd
    .uniform_work_group_size: 1
    .uses_dynamic_stack: false
    .vgpr_count:     34
    .vgpr_spill_count: 0
    .wavefront_size: 32
  - .args:
      - .address_space:  global
        .offset:         0
        .size:           8
        .value_kind:     global_buffer
      - .address_space:  global
        .offset:         8
        .size:           8
        .value_kind:     global_buffer
      - .offset:         16
        .size:           4
        .value_kind:     by_value
    .group_segment_fixed_size: 2048
    .kernarg_segment_align: 8
    .kernarg_segment_size: 20
    .language:       OpenCL C
    .language_version:
      - 2
      - 0
    .max_flat_workgroup_size: 256
    .name:           _Z6kernelI14subtract_rightLj256ELj32ELb1EJPiS1_jEEvDpT3_
    .private_segment_fixed_size: 0
    .sgpr_count:     11
    .sgpr_spill_count: 0
    .symbol:         _Z6kernelI14subtract_rightLj256ELj32ELb1EJPiS1_jEEvDpT3_.kd
    .uniform_work_group_size: 1
    .uses_dynamic_stack: false
    .vgpr_count:     62
    .vgpr_spill_count: 0
    .wavefront_size: 32
  - .args:
      - .address_space:  global
        .offset:         0
        .size:           8
        .value_kind:     global_buffer
      - .address_space:  global
        .offset:         8
        .size:           8
        .value_kind:     global_buffer
      - .offset:         16
        .size:           4
        .value_kind:     by_value
    .group_segment_fixed_size: 2048
    .kernarg_segment_align: 8
    .kernarg_segment_size: 20
    .language:       OpenCL C
    .language_version:
      - 2
      - 0
    .max_flat_workgroup_size: 256
    .name:           _Z6kernelI14subtract_rightLj256ELj1ELb1EJPfS1_jEEvDpT3_
    .private_segment_fixed_size: 0
    .sgpr_count:     11
    .sgpr_spill_count: 0
    .symbol:         _Z6kernelI14subtract_rightLj256ELj1ELb1EJPfS1_jEEvDpT3_.kd
    .uniform_work_group_size: 1
    .uses_dynamic_stack: false
    .vgpr_count:     4
    .vgpr_spill_count: 0
    .wavefront_size: 32
  - .args:
      - .address_space:  global
        .offset:         0
        .size:           8
        .value_kind:     global_buffer
      - .address_space:  global
        .offset:         8
        .size:           8
        .value_kind:     global_buffer
      - .offset:         16
        .size:           4
        .value_kind:     by_value
    .group_segment_fixed_size: 2048
    .kernarg_segment_align: 8
    .kernarg_segment_size: 20
    .language:       OpenCL C
    .language_version:
      - 2
      - 0
    .max_flat_workgroup_size: 256
    .name:           _Z6kernelI14subtract_rightLj256ELj3ELb1EJPfS1_jEEvDpT3_
    .private_segment_fixed_size: 0
    .sgpr_count:     11
    .sgpr_spill_count: 0
    .symbol:         _Z6kernelI14subtract_rightLj256ELj3ELb1EJPfS1_jEEvDpT3_.kd
    .uniform_work_group_size: 1
    .uses_dynamic_stack: false
    .vgpr_count:     9
    .vgpr_spill_count: 0
    .wavefront_size: 32
  - .args:
      - .address_space:  global
        .offset:         0
        .size:           8
        .value_kind:     global_buffer
      - .address_space:  global
        .offset:         8
        .size:           8
        .value_kind:     global_buffer
      - .offset:         16
        .size:           4
        .value_kind:     by_value
    .group_segment_fixed_size: 2048
    .kernarg_segment_align: 8
    .kernarg_segment_size: 20
    .language:       OpenCL C
    .language_version:
      - 2
      - 0
    .max_flat_workgroup_size: 256
    .name:           _Z6kernelI14subtract_rightLj256ELj4ELb1EJPfS1_jEEvDpT3_
    .private_segment_fixed_size: 0
    .sgpr_count:     11
    .sgpr_spill_count: 0
    .symbol:         _Z6kernelI14subtract_rightLj256ELj4ELb1EJPfS1_jEEvDpT3_.kd
    .uniform_work_group_size: 1
    .uses_dynamic_stack: false
    .vgpr_count:     10
    .vgpr_spill_count: 0
    .wavefront_size: 32
  - .args:
      - .address_space:  global
        .offset:         0
        .size:           8
        .value_kind:     global_buffer
      - .address_space:  global
        .offset:         8
        .size:           8
        .value_kind:     global_buffer
      - .offset:         16
        .size:           4
        .value_kind:     by_value
    .group_segment_fixed_size: 2048
    .kernarg_segment_align: 8
    .kernarg_segment_size: 20
    .language:       OpenCL C
    .language_version:
      - 2
      - 0
    .max_flat_workgroup_size: 256
    .name:           _Z6kernelI14subtract_rightLj256ELj8ELb1EJPfS1_jEEvDpT3_
    .private_segment_fixed_size: 0
    .sgpr_count:     11
    .sgpr_spill_count: 0
    .symbol:         _Z6kernelI14subtract_rightLj256ELj8ELb1EJPfS1_jEEvDpT3_.kd
    .uniform_work_group_size: 1
    .uses_dynamic_stack: false
    .vgpr_count:     20
    .vgpr_spill_count: 0
    .wavefront_size: 32
  - .args:
      - .address_space:  global
        .offset:         0
        .size:           8
        .value_kind:     global_buffer
      - .address_space:  global
        .offset:         8
        .size:           8
        .value_kind:     global_buffer
      - .offset:         16
        .size:           4
        .value_kind:     by_value
    .group_segment_fixed_size: 2048
    .kernarg_segment_align: 8
    .kernarg_segment_size: 20
    .language:       OpenCL C
    .language_version:
      - 2
      - 0
    .max_flat_workgroup_size: 256
    .name:           _Z6kernelI14subtract_rightLj256ELj16ELb1EJPfS1_jEEvDpT3_
    .private_segment_fixed_size: 0
    .sgpr_count:     11
    .sgpr_spill_count: 0
    .symbol:         _Z6kernelI14subtract_rightLj256ELj16ELb1EJPfS1_jEEvDpT3_.kd
    .uniform_work_group_size: 1
    .uses_dynamic_stack: false
    .vgpr_count:     54
    .vgpr_spill_count: 0
    .wavefront_size: 32
  - .args:
      - .address_space:  global
        .offset:         0
        .size:           8
        .value_kind:     global_buffer
      - .address_space:  global
        .offset:         8
        .size:           8
        .value_kind:     global_buffer
      - .offset:         16
        .size:           4
        .value_kind:     by_value
    .group_segment_fixed_size: 2048
    .kernarg_segment_align: 8
    .kernarg_segment_size: 20
    .language:       OpenCL C
    .language_version:
      - 2
      - 0
    .max_flat_workgroup_size: 256
    .name:           _Z6kernelI14subtract_rightLj256ELj32ELb1EJPfS1_jEEvDpT3_
    .private_segment_fixed_size: 0
    .sgpr_count:     11
    .sgpr_spill_count: 0
    .symbol:         _Z6kernelI14subtract_rightLj256ELj32ELb1EJPfS1_jEEvDpT3_.kd
    .uniform_work_group_size: 1
    .uses_dynamic_stack: false
    .vgpr_count:     62
    .vgpr_spill_count: 0
    .wavefront_size: 32
  - .args:
      - .address_space:  global
        .offset:         0
        .size:           8
        .value_kind:     global_buffer
      - .address_space:  global
        .offset:         8
        .size:           8
        .value_kind:     global_buffer
      - .offset:         16
        .size:           4
        .value_kind:     by_value
    .group_segment_fixed_size: 512
    .kernarg_segment_align: 8
    .kernarg_segment_size: 20
    .language:       OpenCL C
    .language_version:
      - 2
      - 0
    .max_flat_workgroup_size: 256
    .name:           _Z6kernelI14subtract_rightLj256ELj1ELb1EJPaS1_jEEvDpT3_
    .private_segment_fixed_size: 0
    .sgpr_count:     11
    .sgpr_spill_count: 0
    .symbol:         _Z6kernelI14subtract_rightLj256ELj1ELb1EJPaS1_jEEvDpT3_.kd
    .uniform_work_group_size: 1
    .uses_dynamic_stack: false
    .vgpr_count:     4
    .vgpr_spill_count: 0
    .wavefront_size: 32
  - .args:
      - .address_space:  global
        .offset:         0
        .size:           8
        .value_kind:     global_buffer
      - .address_space:  global
        .offset:         8
        .size:           8
        .value_kind:     global_buffer
      - .offset:         16
        .size:           4
        .value_kind:     by_value
    .group_segment_fixed_size: 512
    .kernarg_segment_align: 8
    .kernarg_segment_size: 20
    .language:       OpenCL C
    .language_version:
      - 2
      - 0
    .max_flat_workgroup_size: 256
    .name:           _Z6kernelI14subtract_rightLj256ELj3ELb1EJPaS1_jEEvDpT3_
    .private_segment_fixed_size: 0
    .sgpr_count:     11
    .sgpr_spill_count: 0
    .symbol:         _Z6kernelI14subtract_rightLj256ELj3ELb1EJPaS1_jEEvDpT3_.kd
    .uniform_work_group_size: 1
    .uses_dynamic_stack: false
    .vgpr_count:     8
    .vgpr_spill_count: 0
    .wavefront_size: 32
  - .args:
      - .address_space:  global
        .offset:         0
        .size:           8
        .value_kind:     global_buffer
      - .address_space:  global
        .offset:         8
        .size:           8
        .value_kind:     global_buffer
      - .offset:         16
        .size:           4
        .value_kind:     by_value
    .group_segment_fixed_size: 512
    .kernarg_segment_align: 8
    .kernarg_segment_size: 20
    .language:       OpenCL C
    .language_version:
      - 2
      - 0
    .max_flat_workgroup_size: 256
    .name:           _Z6kernelI14subtract_rightLj256ELj4ELb1EJPaS1_jEEvDpT3_
    .private_segment_fixed_size: 0
    .sgpr_count:     11
    .sgpr_spill_count: 0
    .symbol:         _Z6kernelI14subtract_rightLj256ELj4ELb1EJPaS1_jEEvDpT3_.kd
    .uniform_work_group_size: 1
    .uses_dynamic_stack: false
    .vgpr_count:     10
    .vgpr_spill_count: 0
    .wavefront_size: 32
  - .args:
      - .address_space:  global
        .offset:         0
        .size:           8
        .value_kind:     global_buffer
      - .address_space:  global
        .offset:         8
        .size:           8
        .value_kind:     global_buffer
      - .offset:         16
        .size:           4
        .value_kind:     by_value
    .group_segment_fixed_size: 512
    .kernarg_segment_align: 8
    .kernarg_segment_size: 20
    .language:       OpenCL C
    .language_version:
      - 2
      - 0
    .max_flat_workgroup_size: 256
    .name:           _Z6kernelI14subtract_rightLj256ELj8ELb1EJPaS1_jEEvDpT3_
    .private_segment_fixed_size: 0
    .sgpr_count:     11
    .sgpr_spill_count: 0
    .symbol:         _Z6kernelI14subtract_rightLj256ELj8ELb1EJPaS1_jEEvDpT3_.kd
    .uniform_work_group_size: 1
    .uses_dynamic_stack: false
    .vgpr_count:     14
    .vgpr_spill_count: 0
    .wavefront_size: 32
  - .args:
      - .address_space:  global
        .offset:         0
        .size:           8
        .value_kind:     global_buffer
      - .address_space:  global
        .offset:         8
        .size:           8
        .value_kind:     global_buffer
      - .offset:         16
        .size:           4
        .value_kind:     by_value
    .group_segment_fixed_size: 512
    .kernarg_segment_align: 8
    .kernarg_segment_size: 20
    .language:       OpenCL C
    .language_version:
      - 2
      - 0
    .max_flat_workgroup_size: 256
    .name:           _Z6kernelI14subtract_rightLj256ELj16ELb1EJPaS1_jEEvDpT3_
    .private_segment_fixed_size: 0
    .sgpr_count:     11
    .sgpr_spill_count: 0
    .symbol:         _Z6kernelI14subtract_rightLj256ELj16ELb1EJPaS1_jEEvDpT3_.kd
    .uniform_work_group_size: 1
    .uses_dynamic_stack: false
    .vgpr_count:     21
    .vgpr_spill_count: 0
    .wavefront_size: 32
  - .args:
      - .address_space:  global
        .offset:         0
        .size:           8
        .value_kind:     global_buffer
      - .address_space:  global
        .offset:         8
        .size:           8
        .value_kind:     global_buffer
      - .offset:         16
        .size:           4
        .value_kind:     by_value
    .group_segment_fixed_size: 512
    .kernarg_segment_align: 8
    .kernarg_segment_size: 20
    .language:       OpenCL C
    .language_version:
      - 2
      - 0
    .max_flat_workgroup_size: 256
    .name:           _Z6kernelI14subtract_rightLj256ELj32ELb1EJPaS1_jEEvDpT3_
    .private_segment_fixed_size: 0
    .sgpr_count:     11
    .sgpr_spill_count: 0
    .symbol:         _Z6kernelI14subtract_rightLj256ELj32ELb1EJPaS1_jEEvDpT3_.kd
    .uniform_work_group_size: 1
    .uses_dynamic_stack: false
    .vgpr_count:     35
    .vgpr_spill_count: 0
    .wavefront_size: 32
  - .args:
      - .address_space:  global
        .offset:         0
        .size:           8
        .value_kind:     global_buffer
      - .address_space:  global
        .offset:         8
        .size:           8
        .value_kind:     global_buffer
      - .offset:         16
        .size:           4
        .value_kind:     by_value
    .group_segment_fixed_size: 4096
    .kernarg_segment_align: 8
    .kernarg_segment_size: 20
    .language:       OpenCL C
    .language_version:
      - 2
      - 0
    .max_flat_workgroup_size: 256
    .name:           _Z6kernelI14subtract_rightLj256ELj1ELb1EJPxS1_jEEvDpT3_
    .private_segment_fixed_size: 0
    .sgpr_count:     11
    .sgpr_spill_count: 0
    .symbol:         _Z6kernelI14subtract_rightLj256ELj1ELb1EJPxS1_jEEvDpT3_.kd
    .uniform_work_group_size: 1
    .uses_dynamic_stack: false
    .vgpr_count:     6
    .vgpr_spill_count: 0
    .wavefront_size: 32
  - .args:
      - .address_space:  global
        .offset:         0
        .size:           8
        .value_kind:     global_buffer
      - .address_space:  global
        .offset:         8
        .size:           8
        .value_kind:     global_buffer
      - .offset:         16
        .size:           4
        .value_kind:     by_value
    .group_segment_fixed_size: 4096
    .kernarg_segment_align: 8
    .kernarg_segment_size: 20
    .language:       OpenCL C
    .language_version:
      - 2
      - 0
    .max_flat_workgroup_size: 256
    .name:           _Z6kernelI14subtract_rightLj256ELj3ELb1EJPxS1_jEEvDpT3_
    .private_segment_fixed_size: 0
    .sgpr_count:     11
    .sgpr_spill_count: 0
    .symbol:         _Z6kernelI14subtract_rightLj256ELj3ELb1EJPxS1_jEEvDpT3_.kd
    .uniform_work_group_size: 1
    .uses_dynamic_stack: false
    .vgpr_count:     14
    .vgpr_spill_count: 0
    .wavefront_size: 32
  - .args:
      - .address_space:  global
        .offset:         0
        .size:           8
        .value_kind:     global_buffer
      - .address_space:  global
        .offset:         8
        .size:           8
        .value_kind:     global_buffer
      - .offset:         16
        .size:           4
        .value_kind:     by_value
    .group_segment_fixed_size: 4096
    .kernarg_segment_align: 8
    .kernarg_segment_size: 20
    .language:       OpenCL C
    .language_version:
      - 2
      - 0
    .max_flat_workgroup_size: 256
    .name:           _Z6kernelI14subtract_rightLj256ELj4ELb1EJPxS1_jEEvDpT3_
    .private_segment_fixed_size: 0
    .sgpr_count:     11
    .sgpr_spill_count: 0
    .symbol:         _Z6kernelI14subtract_rightLj256ELj4ELb1EJPxS1_jEEvDpT3_.kd
    .uniform_work_group_size: 1
    .uses_dynamic_stack: false
    .vgpr_count:     18
    .vgpr_spill_count: 0
    .wavefront_size: 32
  - .args:
      - .address_space:  global
        .offset:         0
        .size:           8
        .value_kind:     global_buffer
      - .address_space:  global
        .offset:         8
        .size:           8
        .value_kind:     global_buffer
      - .offset:         16
        .size:           4
        .value_kind:     by_value
    .group_segment_fixed_size: 4096
    .kernarg_segment_align: 8
    .kernarg_segment_size: 20
    .language:       OpenCL C
    .language_version:
      - 2
      - 0
    .max_flat_workgroup_size: 256
    .name:           _Z6kernelI14subtract_rightLj256ELj8ELb1EJPxS1_jEEvDpT3_
    .private_segment_fixed_size: 0
    .sgpr_count:     11
    .sgpr_spill_count: 0
    .symbol:         _Z6kernelI14subtract_rightLj256ELj8ELb1EJPxS1_jEEvDpT3_.kd
    .uniform_work_group_size: 1
    .uses_dynamic_stack: false
    .vgpr_count:     34
    .vgpr_spill_count: 0
    .wavefront_size: 32
  - .args:
      - .address_space:  global
        .offset:         0
        .size:           8
        .value_kind:     global_buffer
      - .address_space:  global
        .offset:         8
        .size:           8
        .value_kind:     global_buffer
      - .offset:         16
        .size:           4
        .value_kind:     by_value
    .group_segment_fixed_size: 4096
    .kernarg_segment_align: 8
    .kernarg_segment_size: 20
    .language:       OpenCL C
    .language_version:
      - 2
      - 0
    .max_flat_workgroup_size: 256
    .name:           _Z6kernelI14subtract_rightLj256ELj16ELb1EJPxS1_jEEvDpT3_
    .private_segment_fixed_size: 0
    .sgpr_count:     11
    .sgpr_spill_count: 0
    .symbol:         _Z6kernelI14subtract_rightLj256ELj16ELb1EJPxS1_jEEvDpT3_.kd
    .uniform_work_group_size: 1
    .uses_dynamic_stack: false
    .vgpr_count:     62
    .vgpr_spill_count: 0
    .wavefront_size: 32
  - .args:
      - .address_space:  global
        .offset:         0
        .size:           8
        .value_kind:     global_buffer
      - .address_space:  global
        .offset:         8
        .size:           8
        .value_kind:     global_buffer
      - .offset:         16
        .size:           4
        .value_kind:     by_value
    .group_segment_fixed_size: 4096
    .kernarg_segment_align: 8
    .kernarg_segment_size: 20
    .language:       OpenCL C
    .language_version:
      - 2
      - 0
    .max_flat_workgroup_size: 256
    .name:           _Z6kernelI14subtract_rightLj256ELj32ELb1EJPxS1_jEEvDpT3_
    .private_segment_fixed_size: 0
    .sgpr_count:     11
    .sgpr_spill_count: 0
    .symbol:         _Z6kernelI14subtract_rightLj256ELj32ELb1EJPxS1_jEEvDpT3_.kd
    .uniform_work_group_size: 1
    .uses_dynamic_stack: false
    .vgpr_count:     78
    .vgpr_spill_count: 0
    .wavefront_size: 32
  - .args:
      - .address_space:  global
        .offset:         0
        .size:           8
        .value_kind:     global_buffer
      - .address_space:  global
        .offset:         8
        .size:           8
        .value_kind:     global_buffer
      - .offset:         16
        .size:           4
        .value_kind:     by_value
    .group_segment_fixed_size: 4096
    .kernarg_segment_align: 8
    .kernarg_segment_size: 20
    .language:       OpenCL C
    .language_version:
      - 2
      - 0
    .max_flat_workgroup_size: 256
    .name:           _Z6kernelI14subtract_rightLj256ELj1ELb1EJPdS1_jEEvDpT3_
    .private_segment_fixed_size: 0
    .sgpr_count:     11
    .sgpr_spill_count: 0
    .symbol:         _Z6kernelI14subtract_rightLj256ELj1ELb1EJPdS1_jEEvDpT3_.kd
    .uniform_work_group_size: 1
    .uses_dynamic_stack: false
    .vgpr_count:     6
    .vgpr_spill_count: 0
    .wavefront_size: 32
  - .args:
      - .address_space:  global
        .offset:         0
        .size:           8
        .value_kind:     global_buffer
      - .address_space:  global
        .offset:         8
        .size:           8
        .value_kind:     global_buffer
      - .offset:         16
        .size:           4
        .value_kind:     by_value
    .group_segment_fixed_size: 4096
    .kernarg_segment_align: 8
    .kernarg_segment_size: 20
    .language:       OpenCL C
    .language_version:
      - 2
      - 0
    .max_flat_workgroup_size: 256
    .name:           _Z6kernelI14subtract_rightLj256ELj3ELb1EJPdS1_jEEvDpT3_
    .private_segment_fixed_size: 0
    .sgpr_count:     11
    .sgpr_spill_count: 0
    .symbol:         _Z6kernelI14subtract_rightLj256ELj3ELb1EJPdS1_jEEvDpT3_.kd
    .uniform_work_group_size: 1
    .uses_dynamic_stack: false
    .vgpr_count:     14
    .vgpr_spill_count: 0
    .wavefront_size: 32
  - .args:
      - .address_space:  global
        .offset:         0
        .size:           8
        .value_kind:     global_buffer
      - .address_space:  global
        .offset:         8
        .size:           8
        .value_kind:     global_buffer
      - .offset:         16
        .size:           4
        .value_kind:     by_value
    .group_segment_fixed_size: 4096
    .kernarg_segment_align: 8
    .kernarg_segment_size: 20
    .language:       OpenCL C
    .language_version:
      - 2
      - 0
    .max_flat_workgroup_size: 256
    .name:           _Z6kernelI14subtract_rightLj256ELj4ELb1EJPdS1_jEEvDpT3_
    .private_segment_fixed_size: 0
    .sgpr_count:     11
    .sgpr_spill_count: 0
    .symbol:         _Z6kernelI14subtract_rightLj256ELj4ELb1EJPdS1_jEEvDpT3_.kd
    .uniform_work_group_size: 1
    .uses_dynamic_stack: false
    .vgpr_count:     18
    .vgpr_spill_count: 0
    .wavefront_size: 32
  - .args:
      - .address_space:  global
        .offset:         0
        .size:           8
        .value_kind:     global_buffer
      - .address_space:  global
        .offset:         8
        .size:           8
        .value_kind:     global_buffer
      - .offset:         16
        .size:           4
        .value_kind:     by_value
    .group_segment_fixed_size: 4096
    .kernarg_segment_align: 8
    .kernarg_segment_size: 20
    .language:       OpenCL C
    .language_version:
      - 2
      - 0
    .max_flat_workgroup_size: 256
    .name:           _Z6kernelI14subtract_rightLj256ELj8ELb1EJPdS1_jEEvDpT3_
    .private_segment_fixed_size: 0
    .sgpr_count:     11
    .sgpr_spill_count: 0
    .symbol:         _Z6kernelI14subtract_rightLj256ELj8ELb1EJPdS1_jEEvDpT3_.kd
    .uniform_work_group_size: 1
    .uses_dynamic_stack: false
    .vgpr_count:     34
    .vgpr_spill_count: 0
    .wavefront_size: 32
  - .args:
      - .address_space:  global
        .offset:         0
        .size:           8
        .value_kind:     global_buffer
      - .address_space:  global
        .offset:         8
        .size:           8
        .value_kind:     global_buffer
      - .offset:         16
        .size:           4
        .value_kind:     by_value
    .group_segment_fixed_size: 4096
    .kernarg_segment_align: 8
    .kernarg_segment_size: 20
    .language:       OpenCL C
    .language_version:
      - 2
      - 0
    .max_flat_workgroup_size: 256
    .name:           _Z6kernelI14subtract_rightLj256ELj16ELb1EJPdS1_jEEvDpT3_
    .private_segment_fixed_size: 0
    .sgpr_count:     11
    .sgpr_spill_count: 0
    .symbol:         _Z6kernelI14subtract_rightLj256ELj16ELb1EJPdS1_jEEvDpT3_.kd
    .uniform_work_group_size: 1
    .uses_dynamic_stack: false
    .vgpr_count:     62
    .vgpr_spill_count: 0
    .wavefront_size: 32
  - .args:
      - .address_space:  global
        .offset:         0
        .size:           8
        .value_kind:     global_buffer
      - .address_space:  global
        .offset:         8
        .size:           8
        .value_kind:     global_buffer
      - .offset:         16
        .size:           4
        .value_kind:     by_value
    .group_segment_fixed_size: 4096
    .kernarg_segment_align: 8
    .kernarg_segment_size: 20
    .language:       OpenCL C
    .language_version:
      - 2
      - 0
    .max_flat_workgroup_size: 256
    .name:           _Z6kernelI14subtract_rightLj256ELj32ELb1EJPdS1_jEEvDpT3_
    .private_segment_fixed_size: 0
    .sgpr_count:     11
    .sgpr_spill_count: 0
    .symbol:         _Z6kernelI14subtract_rightLj256ELj32ELb1EJPdS1_jEEvDpT3_.kd
    .uniform_work_group_size: 1
    .uses_dynamic_stack: false
    .vgpr_count:     78
    .vgpr_spill_count: 0
    .wavefront_size: 32
  - .args:
      - .address_space:  global
        .offset:         0
        .size:           8
        .value_kind:     global_buffer
      - .address_space:  global
        .offset:         8
        .size:           8
        .value_kind:     global_buffer
      - .address_space:  global
        .offset:         16
        .size:           8
        .value_kind:     global_buffer
      - .offset:         24
        .size:           4
        .value_kind:     by_value
    .group_segment_fixed_size: 2048
    .kernarg_segment_align: 8
    .kernarg_segment_size: 28
    .language:       OpenCL C
    .language_version:
      - 2
      - 0
    .max_flat_workgroup_size: 256
    .name:           _Z6kernelI26subtract_left_partial_tileLj256ELj1ELb0EJPiS1_S1_jEEvDpT3_
    .private_segment_fixed_size: 0
    .sgpr_count:     15
    .sgpr_spill_count: 0
    .symbol:         _Z6kernelI26subtract_left_partial_tileLj256ELj1ELb0EJPiS1_S1_jEEvDpT3_.kd
    .uniform_work_group_size: 1
    .uses_dynamic_stack: false
    .vgpr_count:     5
    .vgpr_spill_count: 0
    .wavefront_size: 32
  - .args:
      - .address_space:  global
        .offset:         0
        .size:           8
        .value_kind:     global_buffer
      - .address_space:  global
        .offset:         8
        .size:           8
        .value_kind:     global_buffer
      - .address_space:  global
        .offset:         16
        .size:           8
        .value_kind:     global_buffer
      - .offset:         24
        .size:           4
        .value_kind:     by_value
    .group_segment_fixed_size: 2048
    .kernarg_segment_align: 8
    .kernarg_segment_size: 28
    .language:       OpenCL C
    .language_version:
      - 2
      - 0
    .max_flat_workgroup_size: 256
    .name:           _Z6kernelI26subtract_left_partial_tileLj256ELj3ELb0EJPiS1_S1_jEEvDpT3_
    .private_segment_fixed_size: 0
    .sgpr_count:     15
    .sgpr_spill_count: 0
    .symbol:         _Z6kernelI26subtract_left_partial_tileLj256ELj3ELb0EJPiS1_S1_jEEvDpT3_.kd
    .uniform_work_group_size: 1
    .uses_dynamic_stack: false
    .vgpr_count:     12
    .vgpr_spill_count: 0
    .wavefront_size: 32
  - .args:
      - .address_space:  global
        .offset:         0
        .size:           8
        .value_kind:     global_buffer
      - .address_space:  global
        .offset:         8
        .size:           8
        .value_kind:     global_buffer
      - .address_space:  global
        .offset:         16
        .size:           8
        .value_kind:     global_buffer
      - .offset:         24
        .size:           4
        .value_kind:     by_value
    .group_segment_fixed_size: 2048
    .kernarg_segment_align: 8
    .kernarg_segment_size: 28
    .language:       OpenCL C
    .language_version:
      - 2
      - 0
    .max_flat_workgroup_size: 256
    .name:           _Z6kernelI26subtract_left_partial_tileLj256ELj4ELb0EJPiS1_S1_jEEvDpT3_
    .private_segment_fixed_size: 0
    .sgpr_count:     15
    .sgpr_spill_count: 0
    .symbol:         _Z6kernelI26subtract_left_partial_tileLj256ELj4ELb0EJPiS1_S1_jEEvDpT3_.kd
    .uniform_work_group_size: 1
    .uses_dynamic_stack: false
    .vgpr_count:     14
    .vgpr_spill_count: 0
    .wavefront_size: 32
  - .args:
      - .address_space:  global
        .offset:         0
        .size:           8
        .value_kind:     global_buffer
      - .address_space:  global
        .offset:         8
        .size:           8
        .value_kind:     global_buffer
      - .address_space:  global
        .offset:         16
        .size:           8
        .value_kind:     global_buffer
      - .offset:         24
        .size:           4
        .value_kind:     by_value
    .group_segment_fixed_size: 2048
    .kernarg_segment_align: 8
    .kernarg_segment_size: 28
    .language:       OpenCL C
    .language_version:
      - 2
      - 0
    .max_flat_workgroup_size: 256
    .name:           _Z6kernelI26subtract_left_partial_tileLj256ELj8ELb0EJPiS1_S1_jEEvDpT3_
    .private_segment_fixed_size: 0
    .sgpr_count:     15
    .sgpr_spill_count: 0
    .symbol:         _Z6kernelI26subtract_left_partial_tileLj256ELj8ELb0EJPiS1_S1_jEEvDpT3_.kd
    .uniform_work_group_size: 1
    .uses_dynamic_stack: false
    .vgpr_count:     27
    .vgpr_spill_count: 0
    .wavefront_size: 32
  - .args:
      - .address_space:  global
        .offset:         0
        .size:           8
        .value_kind:     global_buffer
      - .address_space:  global
        .offset:         8
        .size:           8
        .value_kind:     global_buffer
      - .address_space:  global
        .offset:         16
        .size:           8
        .value_kind:     global_buffer
      - .offset:         24
        .size:           4
        .value_kind:     by_value
    .group_segment_fixed_size: 2048
    .kernarg_segment_align: 8
    .kernarg_segment_size: 28
    .language:       OpenCL C
    .language_version:
      - 2
      - 0
    .max_flat_workgroup_size: 256
    .name:           _Z6kernelI26subtract_left_partial_tileLj256ELj16ELb0EJPiS1_S1_jEEvDpT3_
    .private_segment_fixed_size: 0
    .sgpr_count:     15
    .sgpr_spill_count: 0
    .symbol:         _Z6kernelI26subtract_left_partial_tileLj256ELj16ELb0EJPiS1_S1_jEEvDpT3_.kd
    .uniform_work_group_size: 1
    .uses_dynamic_stack: false
    .vgpr_count:     51
    .vgpr_spill_count: 0
    .wavefront_size: 32
  - .args:
      - .address_space:  global
        .offset:         0
        .size:           8
        .value_kind:     global_buffer
      - .address_space:  global
        .offset:         8
        .size:           8
        .value_kind:     global_buffer
      - .address_space:  global
        .offset:         16
        .size:           8
        .value_kind:     global_buffer
      - .offset:         24
        .size:           4
        .value_kind:     by_value
    .group_segment_fixed_size: 2048
    .kernarg_segment_align: 8
    .kernarg_segment_size: 28
    .language:       OpenCL C
    .language_version:
      - 2
      - 0
    .max_flat_workgroup_size: 256
    .name:           _Z6kernelI26subtract_left_partial_tileLj256ELj32ELb0EJPiS1_S1_jEEvDpT3_
    .private_segment_fixed_size: 0
    .sgpr_count:     15
    .sgpr_spill_count: 0
    .symbol:         _Z6kernelI26subtract_left_partial_tileLj256ELj32ELb0EJPiS1_S1_jEEvDpT3_.kd
    .uniform_work_group_size: 1
    .uses_dynamic_stack: false
    .vgpr_count:     75
    .vgpr_spill_count: 0
    .wavefront_size: 32
  - .args:
      - .address_space:  global
        .offset:         0
        .size:           8
        .value_kind:     global_buffer
      - .address_space:  global
        .offset:         8
        .size:           8
        .value_kind:     global_buffer
      - .address_space:  global
        .offset:         16
        .size:           8
        .value_kind:     global_buffer
      - .offset:         24
        .size:           4
        .value_kind:     by_value
    .group_segment_fixed_size: 2048
    .kernarg_segment_align: 8
    .kernarg_segment_size: 28
    .language:       OpenCL C
    .language_version:
      - 2
      - 0
    .max_flat_workgroup_size: 256
    .name:           _Z6kernelI26subtract_left_partial_tileLj256ELj1ELb0EJPfPiS1_jEEvDpT3_
    .private_segment_fixed_size: 0
    .sgpr_count:     15
    .sgpr_spill_count: 0
    .symbol:         _Z6kernelI26subtract_left_partial_tileLj256ELj1ELb0EJPfPiS1_jEEvDpT3_.kd
    .uniform_work_group_size: 1
    .uses_dynamic_stack: false
    .vgpr_count:     5
    .vgpr_spill_count: 0
    .wavefront_size: 32
  - .args:
      - .address_space:  global
        .offset:         0
        .size:           8
        .value_kind:     global_buffer
      - .address_space:  global
        .offset:         8
        .size:           8
        .value_kind:     global_buffer
      - .address_space:  global
        .offset:         16
        .size:           8
        .value_kind:     global_buffer
      - .offset:         24
        .size:           4
        .value_kind:     by_value
    .group_segment_fixed_size: 2048
    .kernarg_segment_align: 8
    .kernarg_segment_size: 28
    .language:       OpenCL C
    .language_version:
      - 2
      - 0
    .max_flat_workgroup_size: 256
    .name:           _Z6kernelI26subtract_left_partial_tileLj256ELj3ELb0EJPfPiS1_jEEvDpT3_
    .private_segment_fixed_size: 0
    .sgpr_count:     15
    .sgpr_spill_count: 0
    .symbol:         _Z6kernelI26subtract_left_partial_tileLj256ELj3ELb0EJPfPiS1_jEEvDpT3_.kd
    .uniform_work_group_size: 1
    .uses_dynamic_stack: false
    .vgpr_count:     14
    .vgpr_spill_count: 0
    .wavefront_size: 32
  - .args:
      - .address_space:  global
        .offset:         0
        .size:           8
        .value_kind:     global_buffer
      - .address_space:  global
        .offset:         8
        .size:           8
        .value_kind:     global_buffer
      - .address_space:  global
        .offset:         16
        .size:           8
        .value_kind:     global_buffer
      - .offset:         24
        .size:           4
        .value_kind:     by_value
    .group_segment_fixed_size: 2048
    .kernarg_segment_align: 8
    .kernarg_segment_size: 28
    .language:       OpenCL C
    .language_version:
      - 2
      - 0
    .max_flat_workgroup_size: 256
    .name:           _Z6kernelI26subtract_left_partial_tileLj256ELj4ELb0EJPfPiS1_jEEvDpT3_
    .private_segment_fixed_size: 0
    .sgpr_count:     15
    .sgpr_spill_count: 0
    .symbol:         _Z6kernelI26subtract_left_partial_tileLj256ELj4ELb0EJPfPiS1_jEEvDpT3_.kd
    .uniform_work_group_size: 1
    .uses_dynamic_stack: false
    .vgpr_count:     17
    .vgpr_spill_count: 0
    .wavefront_size: 32
  - .args:
      - .address_space:  global
        .offset:         0
        .size:           8
        .value_kind:     global_buffer
      - .address_space:  global
        .offset:         8
        .size:           8
        .value_kind:     global_buffer
      - .address_space:  global
        .offset:         16
        .size:           8
        .value_kind:     global_buffer
      - .offset:         24
        .size:           4
        .value_kind:     by_value
    .group_segment_fixed_size: 2048
    .kernarg_segment_align: 8
    .kernarg_segment_size: 28
    .language:       OpenCL C
    .language_version:
      - 2
      - 0
    .max_flat_workgroup_size: 256
    .name:           _Z6kernelI26subtract_left_partial_tileLj256ELj8ELb0EJPfPiS1_jEEvDpT3_
    .private_segment_fixed_size: 0
    .sgpr_count:     15
    .sgpr_spill_count: 0
    .symbol:         _Z6kernelI26subtract_left_partial_tileLj256ELj8ELb0EJPfPiS1_jEEvDpT3_.kd
    .uniform_work_group_size: 1
    .uses_dynamic_stack: false
    .vgpr_count:     34
    .vgpr_spill_count: 0
    .wavefront_size: 32
  - .args:
      - .address_space:  global
        .offset:         0
        .size:           8
        .value_kind:     global_buffer
      - .address_space:  global
        .offset:         8
        .size:           8
        .value_kind:     global_buffer
      - .address_space:  global
        .offset:         16
        .size:           8
        .value_kind:     global_buffer
      - .offset:         24
        .size:           4
        .value_kind:     by_value
    .group_segment_fixed_size: 2048
    .kernarg_segment_align: 8
    .kernarg_segment_size: 28
    .language:       OpenCL C
    .language_version:
      - 2
      - 0
    .max_flat_workgroup_size: 256
    .name:           _Z6kernelI26subtract_left_partial_tileLj256ELj16ELb0EJPfPiS1_jEEvDpT3_
    .private_segment_fixed_size: 0
    .sgpr_count:     15
    .sgpr_spill_count: 0
    .symbol:         _Z6kernelI26subtract_left_partial_tileLj256ELj16ELb0EJPfPiS1_jEEvDpT3_.kd
    .uniform_work_group_size: 1
    .uses_dynamic_stack: false
    .vgpr_count:     53
    .vgpr_spill_count: 0
    .wavefront_size: 32
  - .args:
      - .address_space:  global
        .offset:         0
        .size:           8
        .value_kind:     global_buffer
      - .address_space:  global
        .offset:         8
        .size:           8
        .value_kind:     global_buffer
      - .address_space:  global
        .offset:         16
        .size:           8
        .value_kind:     global_buffer
      - .offset:         24
        .size:           4
        .value_kind:     by_value
    .group_segment_fixed_size: 2048
    .kernarg_segment_align: 8
    .kernarg_segment_size: 28
    .language:       OpenCL C
    .language_version:
      - 2
      - 0
    .max_flat_workgroup_size: 256
    .name:           _Z6kernelI26subtract_left_partial_tileLj256ELj32ELb0EJPfPiS1_jEEvDpT3_
    .private_segment_fixed_size: 0
    .sgpr_count:     17
    .sgpr_spill_count: 0
    .symbol:         _Z6kernelI26subtract_left_partial_tileLj256ELj32ELb0EJPfPiS1_jEEvDpT3_.kd
    .uniform_work_group_size: 1
    .uses_dynamic_stack: false
    .vgpr_count:     62
    .vgpr_spill_count: 0
    .wavefront_size: 32
  - .args:
      - .address_space:  global
        .offset:         0
        .size:           8
        .value_kind:     global_buffer
      - .address_space:  global
        .offset:         8
        .size:           8
        .value_kind:     global_buffer
      - .address_space:  global
        .offset:         16
        .size:           8
        .value_kind:     global_buffer
      - .offset:         24
        .size:           4
        .value_kind:     by_value
    .group_segment_fixed_size: 512
    .kernarg_segment_align: 8
    .kernarg_segment_size: 28
    .language:       OpenCL C
    .language_version:
      - 2
      - 0
    .max_flat_workgroup_size: 256
    .name:           _Z6kernelI26subtract_left_partial_tileLj256ELj1ELb0EJPaPiS1_jEEvDpT3_
    .private_segment_fixed_size: 0
    .sgpr_count:     14
    .sgpr_spill_count: 0
    .symbol:         _Z6kernelI26subtract_left_partial_tileLj256ELj1ELb0EJPaPiS1_jEEvDpT3_.kd
    .uniform_work_group_size: 1
    .uses_dynamic_stack: false
    .vgpr_count:     5
    .vgpr_spill_count: 0
    .wavefront_size: 32
  - .args:
      - .address_space:  global
        .offset:         0
        .size:           8
        .value_kind:     global_buffer
      - .address_space:  global
        .offset:         8
        .size:           8
        .value_kind:     global_buffer
      - .address_space:  global
        .offset:         16
        .size:           8
        .value_kind:     global_buffer
      - .offset:         24
        .size:           4
        .value_kind:     by_value
    .group_segment_fixed_size: 512
    .kernarg_segment_align: 8
    .kernarg_segment_size: 28
    .language:       OpenCL C
    .language_version:
      - 2
      - 0
    .max_flat_workgroup_size: 256
    .name:           _Z6kernelI26subtract_left_partial_tileLj256ELj3ELb0EJPaPiS1_jEEvDpT3_
    .private_segment_fixed_size: 0
    .sgpr_count:     12
    .sgpr_spill_count: 0
    .symbol:         _Z6kernelI26subtract_left_partial_tileLj256ELj3ELb0EJPaPiS1_jEEvDpT3_.kd
    .uniform_work_group_size: 1
    .uses_dynamic_stack: false
    .vgpr_count:     13
    .vgpr_spill_count: 0
    .wavefront_size: 32
  - .args:
      - .address_space:  global
        .offset:         0
        .size:           8
        .value_kind:     global_buffer
      - .address_space:  global
        .offset:         8
        .size:           8
        .value_kind:     global_buffer
      - .address_space:  global
        .offset:         16
        .size:           8
        .value_kind:     global_buffer
      - .offset:         24
        .size:           4
        .value_kind:     by_value
    .group_segment_fixed_size: 512
    .kernarg_segment_align: 8
    .kernarg_segment_size: 28
    .language:       OpenCL C
    .language_version:
      - 2
      - 0
    .max_flat_workgroup_size: 256
    .name:           _Z6kernelI26subtract_left_partial_tileLj256ELj4ELb0EJPaPiS1_jEEvDpT3_
    .private_segment_fixed_size: 0
    .sgpr_count:     12
    .sgpr_spill_count: 0
    .symbol:         _Z6kernelI26subtract_left_partial_tileLj256ELj4ELb0EJPaPiS1_jEEvDpT3_.kd
    .uniform_work_group_size: 1
    .uses_dynamic_stack: false
    .vgpr_count:     15
    .vgpr_spill_count: 0
    .wavefront_size: 32
  - .args:
      - .address_space:  global
        .offset:         0
        .size:           8
        .value_kind:     global_buffer
      - .address_space:  global
        .offset:         8
        .size:           8
        .value_kind:     global_buffer
      - .address_space:  global
        .offset:         16
        .size:           8
        .value_kind:     global_buffer
      - .offset:         24
        .size:           4
        .value_kind:     by_value
    .group_segment_fixed_size: 512
    .kernarg_segment_align: 8
    .kernarg_segment_size: 28
    .language:       OpenCL C
    .language_version:
      - 2
      - 0
    .max_flat_workgroup_size: 256
    .name:           _Z6kernelI26subtract_left_partial_tileLj256ELj8ELb0EJPaPiS1_jEEvDpT3_
    .private_segment_fixed_size: 0
    .sgpr_count:     13
    .sgpr_spill_count: 0
    .symbol:         _Z6kernelI26subtract_left_partial_tileLj256ELj8ELb0EJPaPiS1_jEEvDpT3_.kd
    .uniform_work_group_size: 1
    .uses_dynamic_stack: false
    .vgpr_count:     26
    .vgpr_spill_count: 0
    .wavefront_size: 32
  - .args:
      - .address_space:  global
        .offset:         0
        .size:           8
        .value_kind:     global_buffer
      - .address_space:  global
        .offset:         8
        .size:           8
        .value_kind:     global_buffer
      - .address_space:  global
        .offset:         16
        .size:           8
        .value_kind:     global_buffer
      - .offset:         24
        .size:           4
        .value_kind:     by_value
    .group_segment_fixed_size: 512
    .kernarg_segment_align: 8
    .kernarg_segment_size: 28
    .language:       OpenCL C
    .language_version:
      - 2
      - 0
    .max_flat_workgroup_size: 256
    .name:           _Z6kernelI26subtract_left_partial_tileLj256ELj16ELb0EJPaPiS1_jEEvDpT3_
    .private_segment_fixed_size: 0
    .sgpr_count:     14
    .sgpr_spill_count: 0
    .symbol:         _Z6kernelI26subtract_left_partial_tileLj256ELj16ELb0EJPaPiS1_jEEvDpT3_.kd
    .uniform_work_group_size: 1
    .uses_dynamic_stack: false
    .vgpr_count:     50
    .vgpr_spill_count: 0
    .wavefront_size: 32
  - .args:
      - .address_space:  global
        .offset:         0
        .size:           8
        .value_kind:     global_buffer
      - .address_space:  global
        .offset:         8
        .size:           8
        .value_kind:     global_buffer
      - .address_space:  global
        .offset:         16
        .size:           8
        .value_kind:     global_buffer
      - .offset:         24
        .size:           4
        .value_kind:     by_value
    .group_segment_fixed_size: 512
    .kernarg_segment_align: 8
    .kernarg_segment_size: 28
    .language:       OpenCL C
    .language_version:
      - 2
      - 0
    .max_flat_workgroup_size: 256
    .name:           _Z6kernelI26subtract_left_partial_tileLj256ELj32ELb0EJPaPiS1_jEEvDpT3_
    .private_segment_fixed_size: 0
    .sgpr_count:     14
    .sgpr_spill_count: 0
    .symbol:         _Z6kernelI26subtract_left_partial_tileLj256ELj32ELb0EJPaPiS1_jEEvDpT3_.kd
    .uniform_work_group_size: 1
    .uses_dynamic_stack: false
    .vgpr_count:     81
    .vgpr_spill_count: 0
    .wavefront_size: 32
  - .args:
      - .address_space:  global
        .offset:         0
        .size:           8
        .value_kind:     global_buffer
      - .address_space:  global
        .offset:         8
        .size:           8
        .value_kind:     global_buffer
      - .address_space:  global
        .offset:         16
        .size:           8
        .value_kind:     global_buffer
      - .offset:         24
        .size:           4
        .value_kind:     by_value
    .group_segment_fixed_size: 4096
    .kernarg_segment_align: 8
    .kernarg_segment_size: 28
    .language:       OpenCL C
    .language_version:
      - 2
      - 0
    .max_flat_workgroup_size: 256
    .name:           _Z6kernelI26subtract_left_partial_tileLj256ELj1ELb0EJPxPiS1_jEEvDpT3_
    .private_segment_fixed_size: 0
    .sgpr_count:     15
    .sgpr_spill_count: 0
    .symbol:         _Z6kernelI26subtract_left_partial_tileLj256ELj1ELb0EJPxPiS1_jEEvDpT3_.kd
    .uniform_work_group_size: 1
    .uses_dynamic_stack: false
    .vgpr_count:     7
    .vgpr_spill_count: 0
    .wavefront_size: 32
  - .args:
      - .address_space:  global
        .offset:         0
        .size:           8
        .value_kind:     global_buffer
      - .address_space:  global
        .offset:         8
        .size:           8
        .value_kind:     global_buffer
      - .address_space:  global
        .offset:         16
        .size:           8
        .value_kind:     global_buffer
      - .offset:         24
        .size:           4
        .value_kind:     by_value
    .group_segment_fixed_size: 4096
    .kernarg_segment_align: 8
    .kernarg_segment_size: 28
    .language:       OpenCL C
    .language_version:
      - 2
      - 0
    .max_flat_workgroup_size: 256
    .name:           _Z6kernelI26subtract_left_partial_tileLj256ELj3ELb0EJPxPiS1_jEEvDpT3_
    .private_segment_fixed_size: 0
    .sgpr_count:     15
    .sgpr_spill_count: 0
    .symbol:         _Z6kernelI26subtract_left_partial_tileLj256ELj3ELb0EJPxPiS1_jEEvDpT3_.kd
    .uniform_work_group_size: 1
    .uses_dynamic_stack: false
    .vgpr_count:     18
    .vgpr_spill_count: 0
    .wavefront_size: 32
  - .args:
      - .address_space:  global
        .offset:         0
        .size:           8
        .value_kind:     global_buffer
      - .address_space:  global
        .offset:         8
        .size:           8
        .value_kind:     global_buffer
      - .address_space:  global
        .offset:         16
        .size:           8
        .value_kind:     global_buffer
      - .offset:         24
        .size:           4
        .value_kind:     by_value
    .group_segment_fixed_size: 4096
    .kernarg_segment_align: 8
    .kernarg_segment_size: 28
    .language:       OpenCL C
    .language_version:
      - 2
      - 0
    .max_flat_workgroup_size: 256
    .name:           _Z6kernelI26subtract_left_partial_tileLj256ELj4ELb0EJPxPiS1_jEEvDpT3_
    .private_segment_fixed_size: 0
    .sgpr_count:     18
    .sgpr_spill_count: 0
    .symbol:         _Z6kernelI26subtract_left_partial_tileLj256ELj4ELb0EJPxPiS1_jEEvDpT3_.kd
    .uniform_work_group_size: 1
    .uses_dynamic_stack: false
    .vgpr_count:     24
    .vgpr_spill_count: 0
    .wavefront_size: 32
  - .args:
      - .address_space:  global
        .offset:         0
        .size:           8
        .value_kind:     global_buffer
      - .address_space:  global
        .offset:         8
        .size:           8
        .value_kind:     global_buffer
      - .address_space:  global
        .offset:         16
        .size:           8
        .value_kind:     global_buffer
      - .offset:         24
        .size:           4
        .value_kind:     by_value
    .group_segment_fixed_size: 4096
    .kernarg_segment_align: 8
    .kernarg_segment_size: 28
    .language:       OpenCL C
    .language_version:
      - 2
      - 0
    .max_flat_workgroup_size: 256
    .name:           _Z6kernelI26subtract_left_partial_tileLj256ELj8ELb0EJPxPiS1_jEEvDpT3_
    .private_segment_fixed_size: 0
    .sgpr_count:     16
    .sgpr_spill_count: 0
    .symbol:         _Z6kernelI26subtract_left_partial_tileLj256ELj8ELb0EJPxPiS1_jEEvDpT3_.kd
    .uniform_work_group_size: 1
    .uses_dynamic_stack: false
    .vgpr_count:     42
    .vgpr_spill_count: 0
    .wavefront_size: 32
  - .args:
      - .address_space:  global
        .offset:         0
        .size:           8
        .value_kind:     global_buffer
      - .address_space:  global
        .offset:         8
        .size:           8
        .value_kind:     global_buffer
      - .address_space:  global
        .offset:         16
        .size:           8
        .value_kind:     global_buffer
      - .offset:         24
        .size:           4
        .value_kind:     by_value
    .group_segment_fixed_size: 4096
    .kernarg_segment_align: 8
    .kernarg_segment_size: 28
    .language:       OpenCL C
    .language_version:
      - 2
      - 0
    .max_flat_workgroup_size: 256
    .name:           _Z6kernelI26subtract_left_partial_tileLj256ELj16ELb0EJPxPiS1_jEEvDpT3_
    .private_segment_fixed_size: 0
    .sgpr_count:     16
    .sgpr_spill_count: 0
    .symbol:         _Z6kernelI26subtract_left_partial_tileLj256ELj16ELb0EJPxPiS1_jEEvDpT3_.kd
    .uniform_work_group_size: 1
    .uses_dynamic_stack: false
    .vgpr_count:     62
    .vgpr_spill_count: 0
    .wavefront_size: 32
  - .args:
      - .address_space:  global
        .offset:         0
        .size:           8
        .value_kind:     global_buffer
      - .address_space:  global
        .offset:         8
        .size:           8
        .value_kind:     global_buffer
      - .address_space:  global
        .offset:         16
        .size:           8
        .value_kind:     global_buffer
      - .offset:         24
        .size:           4
        .value_kind:     by_value
    .group_segment_fixed_size: 4096
    .kernarg_segment_align: 8
    .kernarg_segment_size: 28
    .language:       OpenCL C
    .language_version:
      - 2
      - 0
    .max_flat_workgroup_size: 256
    .name:           _Z6kernelI26subtract_left_partial_tileLj256ELj32ELb0EJPxPiS1_jEEvDpT3_
    .private_segment_fixed_size: 0
    .sgpr_count:     16
    .sgpr_spill_count: 0
    .symbol:         _Z6kernelI26subtract_left_partial_tileLj256ELj32ELb0EJPxPiS1_jEEvDpT3_.kd
    .uniform_work_group_size: 1
    .uses_dynamic_stack: false
    .vgpr_count:     110
    .vgpr_spill_count: 0
    .wavefront_size: 32
  - .args:
      - .address_space:  global
        .offset:         0
        .size:           8
        .value_kind:     global_buffer
      - .address_space:  global
        .offset:         8
        .size:           8
        .value_kind:     global_buffer
      - .address_space:  global
        .offset:         16
        .size:           8
        .value_kind:     global_buffer
      - .offset:         24
        .size:           4
        .value_kind:     by_value
    .group_segment_fixed_size: 4096
    .kernarg_segment_align: 8
    .kernarg_segment_size: 28
    .language:       OpenCL C
    .language_version:
      - 2
      - 0
    .max_flat_workgroup_size: 256
    .name:           _Z6kernelI26subtract_left_partial_tileLj256ELj1ELb0EJPdPiS1_jEEvDpT3_
    .private_segment_fixed_size: 0
    .sgpr_count:     15
    .sgpr_spill_count: 0
    .symbol:         _Z6kernelI26subtract_left_partial_tileLj256ELj1ELb0EJPdPiS1_jEEvDpT3_.kd
    .uniform_work_group_size: 1
    .uses_dynamic_stack: false
    .vgpr_count:     7
    .vgpr_spill_count: 0
    .wavefront_size: 32
  - .args:
      - .address_space:  global
        .offset:         0
        .size:           8
        .value_kind:     global_buffer
      - .address_space:  global
        .offset:         8
        .size:           8
        .value_kind:     global_buffer
      - .address_space:  global
        .offset:         16
        .size:           8
        .value_kind:     global_buffer
      - .offset:         24
        .size:           4
        .value_kind:     by_value
    .group_segment_fixed_size: 4096
    .kernarg_segment_align: 8
    .kernarg_segment_size: 28
    .language:       OpenCL C
    .language_version:
      - 2
      - 0
    .max_flat_workgroup_size: 256
    .name:           _Z6kernelI26subtract_left_partial_tileLj256ELj3ELb0EJPdPiS1_jEEvDpT3_
    .private_segment_fixed_size: 0
    .sgpr_count:     15
    .sgpr_spill_count: 0
    .symbol:         _Z6kernelI26subtract_left_partial_tileLj256ELj3ELb0EJPdPiS1_jEEvDpT3_.kd
    .uniform_work_group_size: 1
    .uses_dynamic_stack: false
    .vgpr_count:     18
    .vgpr_spill_count: 0
    .wavefront_size: 32
  - .args:
      - .address_space:  global
        .offset:         0
        .size:           8
        .value_kind:     global_buffer
      - .address_space:  global
        .offset:         8
        .size:           8
        .value_kind:     global_buffer
      - .address_space:  global
        .offset:         16
        .size:           8
        .value_kind:     global_buffer
      - .offset:         24
        .size:           4
        .value_kind:     by_value
    .group_segment_fixed_size: 4096
    .kernarg_segment_align: 8
    .kernarg_segment_size: 28
    .language:       OpenCL C
    .language_version:
      - 2
      - 0
    .max_flat_workgroup_size: 256
    .name:           _Z6kernelI26subtract_left_partial_tileLj256ELj4ELb0EJPdPiS1_jEEvDpT3_
    .private_segment_fixed_size: 0
    .sgpr_count:     18
    .sgpr_spill_count: 0
    .symbol:         _Z6kernelI26subtract_left_partial_tileLj256ELj4ELb0EJPdPiS1_jEEvDpT3_.kd
    .uniform_work_group_size: 1
    .uses_dynamic_stack: false
    .vgpr_count:     24
    .vgpr_spill_count: 0
    .wavefront_size: 32
  - .args:
      - .address_space:  global
        .offset:         0
        .size:           8
        .value_kind:     global_buffer
      - .address_space:  global
        .offset:         8
        .size:           8
        .value_kind:     global_buffer
      - .address_space:  global
        .offset:         16
        .size:           8
        .value_kind:     global_buffer
      - .offset:         24
        .size:           4
        .value_kind:     by_value
    .group_segment_fixed_size: 4096
    .kernarg_segment_align: 8
    .kernarg_segment_size: 28
    .language:       OpenCL C
    .language_version:
      - 2
      - 0
    .max_flat_workgroup_size: 256
    .name:           _Z6kernelI26subtract_left_partial_tileLj256ELj8ELb0EJPdPiS1_jEEvDpT3_
    .private_segment_fixed_size: 0
    .sgpr_count:     16
    .sgpr_spill_count: 0
    .symbol:         _Z6kernelI26subtract_left_partial_tileLj256ELj8ELb0EJPdPiS1_jEEvDpT3_.kd
    .uniform_work_group_size: 1
    .uses_dynamic_stack: false
    .vgpr_count:     42
    .vgpr_spill_count: 0
    .wavefront_size: 32
  - .args:
      - .address_space:  global
        .offset:         0
        .size:           8
        .value_kind:     global_buffer
      - .address_space:  global
        .offset:         8
        .size:           8
        .value_kind:     global_buffer
      - .address_space:  global
        .offset:         16
        .size:           8
        .value_kind:     global_buffer
      - .offset:         24
        .size:           4
        .value_kind:     by_value
    .group_segment_fixed_size: 4096
    .kernarg_segment_align: 8
    .kernarg_segment_size: 28
    .language:       OpenCL C
    .language_version:
      - 2
      - 0
    .max_flat_workgroup_size: 256
    .name:           _Z6kernelI26subtract_left_partial_tileLj256ELj16ELb0EJPdPiS1_jEEvDpT3_
    .private_segment_fixed_size: 0
    .sgpr_count:     18
    .sgpr_spill_count: 0
    .symbol:         _Z6kernelI26subtract_left_partial_tileLj256ELj16ELb0EJPdPiS1_jEEvDpT3_.kd
    .uniform_work_group_size: 1
    .uses_dynamic_stack: false
    .vgpr_count:     80
    .vgpr_spill_count: 0
    .wavefront_size: 32
  - .args:
      - .address_space:  global
        .offset:         0
        .size:           8
        .value_kind:     global_buffer
      - .address_space:  global
        .offset:         8
        .size:           8
        .value_kind:     global_buffer
      - .address_space:  global
        .offset:         16
        .size:           8
        .value_kind:     global_buffer
      - .offset:         24
        .size:           4
        .value_kind:     by_value
    .group_segment_fixed_size: 4096
    .kernarg_segment_align: 8
    .kernarg_segment_size: 28
    .language:       OpenCL C
    .language_version:
      - 2
      - 0
    .max_flat_workgroup_size: 256
    .name:           _Z6kernelI26subtract_left_partial_tileLj256ELj32ELb0EJPdPiS1_jEEvDpT3_
    .private_segment_fixed_size: 0
    .sgpr_count:     17
    .sgpr_spill_count: 0
    .symbol:         _Z6kernelI26subtract_left_partial_tileLj256ELj32ELb0EJPdPiS1_jEEvDpT3_.kd
    .uniform_work_group_size: 1
    .uses_dynamic_stack: false
    .vgpr_count:     160
    .vgpr_spill_count: 0
    .wavefront_size: 32
  - .args:
      - .address_space:  global
        .offset:         0
        .size:           8
        .value_kind:     global_buffer
      - .address_space:  global
        .offset:         8
        .size:           8
        .value_kind:     global_buffer
      - .address_space:  global
        .offset:         16
        .size:           8
        .value_kind:     global_buffer
      - .offset:         24
        .size:           4
        .value_kind:     by_value
    .group_segment_fixed_size: 2048
    .kernarg_segment_align: 8
    .kernarg_segment_size: 28
    .language:       OpenCL C
    .language_version:
      - 2
      - 0
    .max_flat_workgroup_size: 256
    .name:           _Z6kernelI26subtract_left_partial_tileLj256ELj1ELb1EJPiS1_S1_jEEvDpT3_
    .private_segment_fixed_size: 0
    .sgpr_count:     15
    .sgpr_spill_count: 0
    .symbol:         _Z6kernelI26subtract_left_partial_tileLj256ELj1ELb1EJPiS1_S1_jEEvDpT3_.kd
    .uniform_work_group_size: 1
    .uses_dynamic_stack: false
    .vgpr_count:     5
    .vgpr_spill_count: 0
    .wavefront_size: 32
  - .args:
      - .address_space:  global
        .offset:         0
        .size:           8
        .value_kind:     global_buffer
      - .address_space:  global
        .offset:         8
        .size:           8
        .value_kind:     global_buffer
      - .address_space:  global
        .offset:         16
        .size:           8
        .value_kind:     global_buffer
      - .offset:         24
        .size:           4
        .value_kind:     by_value
    .group_segment_fixed_size: 2048
    .kernarg_segment_align: 8
    .kernarg_segment_size: 28
    .language:       OpenCL C
    .language_version:
      - 2
      - 0
    .max_flat_workgroup_size: 256
    .name:           _Z6kernelI26subtract_left_partial_tileLj256ELj3ELb1EJPiS1_S1_jEEvDpT3_
    .private_segment_fixed_size: 0
    .sgpr_count:     15
    .sgpr_spill_count: 0
    .symbol:         _Z6kernelI26subtract_left_partial_tileLj256ELj3ELb1EJPiS1_S1_jEEvDpT3_.kd
    .uniform_work_group_size: 1
    .uses_dynamic_stack: false
    .vgpr_count:     12
    .vgpr_spill_count: 0
    .wavefront_size: 32
  - .args:
      - .address_space:  global
        .offset:         0
        .size:           8
        .value_kind:     global_buffer
      - .address_space:  global
        .offset:         8
        .size:           8
        .value_kind:     global_buffer
      - .address_space:  global
        .offset:         16
        .size:           8
        .value_kind:     global_buffer
      - .offset:         24
        .size:           4
        .value_kind:     by_value
    .group_segment_fixed_size: 2048
    .kernarg_segment_align: 8
    .kernarg_segment_size: 28
    .language:       OpenCL C
    .language_version:
      - 2
      - 0
    .max_flat_workgroup_size: 256
    .name:           _Z6kernelI26subtract_left_partial_tileLj256ELj4ELb1EJPiS1_S1_jEEvDpT3_
    .private_segment_fixed_size: 0
    .sgpr_count:     15
    .sgpr_spill_count: 0
    .symbol:         _Z6kernelI26subtract_left_partial_tileLj256ELj4ELb1EJPiS1_S1_jEEvDpT3_.kd
    .uniform_work_group_size: 1
    .uses_dynamic_stack: false
    .vgpr_count:     14
    .vgpr_spill_count: 0
    .wavefront_size: 32
  - .args:
      - .address_space:  global
        .offset:         0
        .size:           8
        .value_kind:     global_buffer
      - .address_space:  global
        .offset:         8
        .size:           8
        .value_kind:     global_buffer
      - .address_space:  global
        .offset:         16
        .size:           8
        .value_kind:     global_buffer
      - .offset:         24
        .size:           4
        .value_kind:     by_value
    .group_segment_fixed_size: 2048
    .kernarg_segment_align: 8
    .kernarg_segment_size: 28
    .language:       OpenCL C
    .language_version:
      - 2
      - 0
    .max_flat_workgroup_size: 256
    .name:           _Z6kernelI26subtract_left_partial_tileLj256ELj8ELb1EJPiS1_S1_jEEvDpT3_
    .private_segment_fixed_size: 0
    .sgpr_count:     15
    .sgpr_spill_count: 0
    .symbol:         _Z6kernelI26subtract_left_partial_tileLj256ELj8ELb1EJPiS1_S1_jEEvDpT3_.kd
    .uniform_work_group_size: 1
    .uses_dynamic_stack: false
    .vgpr_count:     27
    .vgpr_spill_count: 0
    .wavefront_size: 32
  - .args:
      - .address_space:  global
        .offset:         0
        .size:           8
        .value_kind:     global_buffer
      - .address_space:  global
        .offset:         8
        .size:           8
        .value_kind:     global_buffer
      - .address_space:  global
        .offset:         16
        .size:           8
        .value_kind:     global_buffer
      - .offset:         24
        .size:           4
        .value_kind:     by_value
    .group_segment_fixed_size: 2048
    .kernarg_segment_align: 8
    .kernarg_segment_size: 28
    .language:       OpenCL C
    .language_version:
      - 2
      - 0
    .max_flat_workgroup_size: 256
    .name:           _Z6kernelI26subtract_left_partial_tileLj256ELj16ELb1EJPiS1_S1_jEEvDpT3_
    .private_segment_fixed_size: 0
    .sgpr_count:     15
    .sgpr_spill_count: 0
    .symbol:         _Z6kernelI26subtract_left_partial_tileLj256ELj16ELb1EJPiS1_S1_jEEvDpT3_.kd
    .uniform_work_group_size: 1
    .uses_dynamic_stack: false
    .vgpr_count:     51
    .vgpr_spill_count: 0
    .wavefront_size: 32
  - .args:
      - .address_space:  global
        .offset:         0
        .size:           8
        .value_kind:     global_buffer
      - .address_space:  global
        .offset:         8
        .size:           8
        .value_kind:     global_buffer
      - .address_space:  global
        .offset:         16
        .size:           8
        .value_kind:     global_buffer
      - .offset:         24
        .size:           4
        .value_kind:     by_value
    .group_segment_fixed_size: 2048
    .kernarg_segment_align: 8
    .kernarg_segment_size: 28
    .language:       OpenCL C
    .language_version:
      - 2
      - 0
    .max_flat_workgroup_size: 256
    .name:           _Z6kernelI26subtract_left_partial_tileLj256ELj32ELb1EJPiS1_S1_jEEvDpT3_
    .private_segment_fixed_size: 0
    .sgpr_count:     15
    .sgpr_spill_count: 0
    .symbol:         _Z6kernelI26subtract_left_partial_tileLj256ELj32ELb1EJPiS1_S1_jEEvDpT3_.kd
    .uniform_work_group_size: 1
    .uses_dynamic_stack: false
    .vgpr_count:     63
    .vgpr_spill_count: 0
    .wavefront_size: 32
  - .args:
      - .address_space:  global
        .offset:         0
        .size:           8
        .value_kind:     global_buffer
      - .address_space:  global
        .offset:         8
        .size:           8
        .value_kind:     global_buffer
      - .address_space:  global
        .offset:         16
        .size:           8
        .value_kind:     global_buffer
      - .offset:         24
        .size:           4
        .value_kind:     by_value
    .group_segment_fixed_size: 2048
    .kernarg_segment_align: 8
    .kernarg_segment_size: 28
    .language:       OpenCL C
    .language_version:
      - 2
      - 0
    .max_flat_workgroup_size: 256
    .name:           _Z6kernelI26subtract_left_partial_tileLj256ELj1ELb1EJPfPiS1_jEEvDpT3_
    .private_segment_fixed_size: 0
    .sgpr_count:     15
    .sgpr_spill_count: 0
    .symbol:         _Z6kernelI26subtract_left_partial_tileLj256ELj1ELb1EJPfPiS1_jEEvDpT3_.kd
    .uniform_work_group_size: 1
    .uses_dynamic_stack: false
    .vgpr_count:     5
    .vgpr_spill_count: 0
    .wavefront_size: 32
  - .args:
      - .address_space:  global
        .offset:         0
        .size:           8
        .value_kind:     global_buffer
      - .address_space:  global
        .offset:         8
        .size:           8
        .value_kind:     global_buffer
      - .address_space:  global
        .offset:         16
        .size:           8
        .value_kind:     global_buffer
      - .offset:         24
        .size:           4
        .value_kind:     by_value
    .group_segment_fixed_size: 2048
    .kernarg_segment_align: 8
    .kernarg_segment_size: 28
    .language:       OpenCL C
    .language_version:
      - 2
      - 0
    .max_flat_workgroup_size: 256
    .name:           _Z6kernelI26subtract_left_partial_tileLj256ELj3ELb1EJPfPiS1_jEEvDpT3_
    .private_segment_fixed_size: 0
    .sgpr_count:     15
    .sgpr_spill_count: 0
    .symbol:         _Z6kernelI26subtract_left_partial_tileLj256ELj3ELb1EJPfPiS1_jEEvDpT3_.kd
    .uniform_work_group_size: 1
    .uses_dynamic_stack: false
    .vgpr_count:     13
    .vgpr_spill_count: 0
    .wavefront_size: 32
  - .args:
      - .address_space:  global
        .offset:         0
        .size:           8
        .value_kind:     global_buffer
      - .address_space:  global
        .offset:         8
        .size:           8
        .value_kind:     global_buffer
      - .address_space:  global
        .offset:         16
        .size:           8
        .value_kind:     global_buffer
      - .offset:         24
        .size:           4
        .value_kind:     by_value
    .group_segment_fixed_size: 2048
    .kernarg_segment_align: 8
    .kernarg_segment_size: 28
    .language:       OpenCL C
    .language_version:
      - 2
      - 0
    .max_flat_workgroup_size: 256
    .name:           _Z6kernelI26subtract_left_partial_tileLj256ELj4ELb1EJPfPiS1_jEEvDpT3_
    .private_segment_fixed_size: 0
    .sgpr_count:     15
    .sgpr_spill_count: 0
    .symbol:         _Z6kernelI26subtract_left_partial_tileLj256ELj4ELb1EJPfPiS1_jEEvDpT3_.kd
    .uniform_work_group_size: 1
    .uses_dynamic_stack: false
    .vgpr_count:     15
    .vgpr_spill_count: 0
    .wavefront_size: 32
  - .args:
      - .address_space:  global
        .offset:         0
        .size:           8
        .value_kind:     global_buffer
      - .address_space:  global
        .offset:         8
        .size:           8
        .value_kind:     global_buffer
      - .address_space:  global
        .offset:         16
        .size:           8
        .value_kind:     global_buffer
      - .offset:         24
        .size:           4
        .value_kind:     by_value
    .group_segment_fixed_size: 2048
    .kernarg_segment_align: 8
    .kernarg_segment_size: 28
    .language:       OpenCL C
    .language_version:
      - 2
      - 0
    .max_flat_workgroup_size: 256
    .name:           _Z6kernelI26subtract_left_partial_tileLj256ELj8ELb1EJPfPiS1_jEEvDpT3_
    .private_segment_fixed_size: 0
    .sgpr_count:     15
    .sgpr_spill_count: 0
    .symbol:         _Z6kernelI26subtract_left_partial_tileLj256ELj8ELb1EJPfPiS1_jEEvDpT3_.kd
    .uniform_work_group_size: 1
    .uses_dynamic_stack: false
    .vgpr_count:     32
    .vgpr_spill_count: 0
    .wavefront_size: 32
  - .args:
      - .address_space:  global
        .offset:         0
        .size:           8
        .value_kind:     global_buffer
      - .address_space:  global
        .offset:         8
        .size:           8
        .value_kind:     global_buffer
      - .address_space:  global
        .offset:         16
        .size:           8
        .value_kind:     global_buffer
      - .offset:         24
        .size:           4
        .value_kind:     by_value
    .group_segment_fixed_size: 2048
    .kernarg_segment_align: 8
    .kernarg_segment_size: 28
    .language:       OpenCL C
    .language_version:
      - 2
      - 0
    .max_flat_workgroup_size: 256
    .name:           _Z6kernelI26subtract_left_partial_tileLj256ELj16ELb1EJPfPiS1_jEEvDpT3_
    .private_segment_fixed_size: 0
    .sgpr_count:     15
    .sgpr_spill_count: 0
    .symbol:         _Z6kernelI26subtract_left_partial_tileLj256ELj16ELb1EJPfPiS1_jEEvDpT3_.kd
    .uniform_work_group_size: 1
    .uses_dynamic_stack: false
    .vgpr_count:     54
    .vgpr_spill_count: 0
    .wavefront_size: 32
  - .args:
      - .address_space:  global
        .offset:         0
        .size:           8
        .value_kind:     global_buffer
      - .address_space:  global
        .offset:         8
        .size:           8
        .value_kind:     global_buffer
      - .address_space:  global
        .offset:         16
        .size:           8
        .value_kind:     global_buffer
      - .offset:         24
        .size:           4
        .value_kind:     by_value
    .group_segment_fixed_size: 2048
    .kernarg_segment_align: 8
    .kernarg_segment_size: 28
    .language:       OpenCL C
    .language_version:
      - 2
      - 0
    .max_flat_workgroup_size: 256
    .name:           _Z6kernelI26subtract_left_partial_tileLj256ELj32ELb1EJPfPiS1_jEEvDpT3_
    .private_segment_fixed_size: 0
    .sgpr_count:     16
    .sgpr_spill_count: 0
    .symbol:         _Z6kernelI26subtract_left_partial_tileLj256ELj32ELb1EJPfPiS1_jEEvDpT3_.kd
    .uniform_work_group_size: 1
    .uses_dynamic_stack: false
    .vgpr_count:     62
    .vgpr_spill_count: 0
    .wavefront_size: 32
  - .args:
      - .address_space:  global
        .offset:         0
        .size:           8
        .value_kind:     global_buffer
      - .address_space:  global
        .offset:         8
        .size:           8
        .value_kind:     global_buffer
      - .address_space:  global
        .offset:         16
        .size:           8
        .value_kind:     global_buffer
      - .offset:         24
        .size:           4
        .value_kind:     by_value
    .group_segment_fixed_size: 512
    .kernarg_segment_align: 8
    .kernarg_segment_size: 28
    .language:       OpenCL C
    .language_version:
      - 2
      - 0
    .max_flat_workgroup_size: 256
    .name:           _Z6kernelI26subtract_left_partial_tileLj256ELj1ELb1EJPaPiS1_jEEvDpT3_
    .private_segment_fixed_size: 0
    .sgpr_count:     14
    .sgpr_spill_count: 0
    .symbol:         _Z6kernelI26subtract_left_partial_tileLj256ELj1ELb1EJPaPiS1_jEEvDpT3_.kd
    .uniform_work_group_size: 1
    .uses_dynamic_stack: false
    .vgpr_count:     5
    .vgpr_spill_count: 0
    .wavefront_size: 32
  - .args:
      - .address_space:  global
        .offset:         0
        .size:           8
        .value_kind:     global_buffer
      - .address_space:  global
        .offset:         8
        .size:           8
        .value_kind:     global_buffer
      - .address_space:  global
        .offset:         16
        .size:           8
        .value_kind:     global_buffer
      - .offset:         24
        .size:           4
        .value_kind:     by_value
    .group_segment_fixed_size: 512
    .kernarg_segment_align: 8
    .kernarg_segment_size: 28
    .language:       OpenCL C
    .language_version:
      - 2
      - 0
    .max_flat_workgroup_size: 256
    .name:           _Z6kernelI26subtract_left_partial_tileLj256ELj3ELb1EJPaPiS1_jEEvDpT3_
    .private_segment_fixed_size: 0
    .sgpr_count:     12
    .sgpr_spill_count: 0
    .symbol:         _Z6kernelI26subtract_left_partial_tileLj256ELj3ELb1EJPaPiS1_jEEvDpT3_.kd
    .uniform_work_group_size: 1
    .uses_dynamic_stack: false
    .vgpr_count:     14
    .vgpr_spill_count: 0
    .wavefront_size: 32
  - .args:
      - .address_space:  global
        .offset:         0
        .size:           8
        .value_kind:     global_buffer
      - .address_space:  global
        .offset:         8
        .size:           8
        .value_kind:     global_buffer
      - .address_space:  global
        .offset:         16
        .size:           8
        .value_kind:     global_buffer
      - .offset:         24
        .size:           4
        .value_kind:     by_value
    .group_segment_fixed_size: 512
    .kernarg_segment_align: 8
    .kernarg_segment_size: 28
    .language:       OpenCL C
    .language_version:
      - 2
      - 0
    .max_flat_workgroup_size: 256
    .name:           _Z6kernelI26subtract_left_partial_tileLj256ELj4ELb1EJPaPiS1_jEEvDpT3_
    .private_segment_fixed_size: 0
    .sgpr_count:     12
    .sgpr_spill_count: 0
    .symbol:         _Z6kernelI26subtract_left_partial_tileLj256ELj4ELb1EJPaPiS1_jEEvDpT3_.kd
    .uniform_work_group_size: 1
    .uses_dynamic_stack: false
    .vgpr_count:     17
    .vgpr_spill_count: 0
    .wavefront_size: 32
  - .args:
      - .address_space:  global
        .offset:         0
        .size:           8
        .value_kind:     global_buffer
      - .address_space:  global
        .offset:         8
        .size:           8
        .value_kind:     global_buffer
      - .address_space:  global
        .offset:         16
        .size:           8
        .value_kind:     global_buffer
      - .offset:         24
        .size:           4
        .value_kind:     by_value
    .group_segment_fixed_size: 512
    .kernarg_segment_align: 8
    .kernarg_segment_size: 28
    .language:       OpenCL C
    .language_version:
      - 2
      - 0
    .max_flat_workgroup_size: 256
    .name:           _Z6kernelI26subtract_left_partial_tileLj256ELj8ELb1EJPaPiS1_jEEvDpT3_
    .private_segment_fixed_size: 0
    .sgpr_count:     13
    .sgpr_spill_count: 0
    .symbol:         _Z6kernelI26subtract_left_partial_tileLj256ELj8ELb1EJPaPiS1_jEEvDpT3_.kd
    .uniform_work_group_size: 1
    .uses_dynamic_stack: false
    .vgpr_count:     30
    .vgpr_spill_count: 0
    .wavefront_size: 32
  - .args:
      - .address_space:  global
        .offset:         0
        .size:           8
        .value_kind:     global_buffer
      - .address_space:  global
        .offset:         8
        .size:           8
        .value_kind:     global_buffer
      - .address_space:  global
        .offset:         16
        .size:           8
        .value_kind:     global_buffer
      - .offset:         24
        .size:           4
        .value_kind:     by_value
    .group_segment_fixed_size: 512
    .kernarg_segment_align: 8
    .kernarg_segment_size: 28
    .language:       OpenCL C
    .language_version:
      - 2
      - 0
    .max_flat_workgroup_size: 256
    .name:           _Z6kernelI26subtract_left_partial_tileLj256ELj16ELb1EJPaPiS1_jEEvDpT3_
    .private_segment_fixed_size: 0
    .sgpr_count:     14
    .sgpr_spill_count: 0
    .symbol:         _Z6kernelI26subtract_left_partial_tileLj256ELj16ELb1EJPaPiS1_jEEvDpT3_.kd
    .uniform_work_group_size: 1
    .uses_dynamic_stack: false
    .vgpr_count:     54
    .vgpr_spill_count: 0
    .wavefront_size: 32
  - .args:
      - .address_space:  global
        .offset:         0
        .size:           8
        .value_kind:     global_buffer
      - .address_space:  global
        .offset:         8
        .size:           8
        .value_kind:     global_buffer
      - .address_space:  global
        .offset:         16
        .size:           8
        .value_kind:     global_buffer
      - .offset:         24
        .size:           4
        .value_kind:     by_value
    .group_segment_fixed_size: 512
    .kernarg_segment_align: 8
    .kernarg_segment_size: 28
    .language:       OpenCL C
    .language_version:
      - 2
      - 0
    .max_flat_workgroup_size: 256
    .name:           _Z6kernelI26subtract_left_partial_tileLj256ELj32ELb1EJPaPiS1_jEEvDpT3_
    .private_segment_fixed_size: 0
    .sgpr_count:     14
    .sgpr_spill_count: 0
    .symbol:         _Z6kernelI26subtract_left_partial_tileLj256ELj32ELb1EJPaPiS1_jEEvDpT3_.kd
    .uniform_work_group_size: 1
    .uses_dynamic_stack: false
    .vgpr_count:     64
    .vgpr_spill_count: 0
    .wavefront_size: 32
  - .args:
      - .address_space:  global
        .offset:         0
        .size:           8
        .value_kind:     global_buffer
      - .address_space:  global
        .offset:         8
        .size:           8
        .value_kind:     global_buffer
      - .address_space:  global
        .offset:         16
        .size:           8
        .value_kind:     global_buffer
      - .offset:         24
        .size:           4
        .value_kind:     by_value
    .group_segment_fixed_size: 4096
    .kernarg_segment_align: 8
    .kernarg_segment_size: 28
    .language:       OpenCL C
    .language_version:
      - 2
      - 0
    .max_flat_workgroup_size: 256
    .name:           _Z6kernelI26subtract_left_partial_tileLj256ELj1ELb1EJPxPiS1_jEEvDpT3_
    .private_segment_fixed_size: 0
    .sgpr_count:     15
    .sgpr_spill_count: 0
    .symbol:         _Z6kernelI26subtract_left_partial_tileLj256ELj1ELb1EJPxPiS1_jEEvDpT3_.kd
    .uniform_work_group_size: 1
    .uses_dynamic_stack: false
    .vgpr_count:     7
    .vgpr_spill_count: 0
    .wavefront_size: 32
  - .args:
      - .address_space:  global
        .offset:         0
        .size:           8
        .value_kind:     global_buffer
      - .address_space:  global
        .offset:         8
        .size:           8
        .value_kind:     global_buffer
      - .address_space:  global
        .offset:         16
        .size:           8
        .value_kind:     global_buffer
      - .offset:         24
        .size:           4
        .value_kind:     by_value
    .group_segment_fixed_size: 4096
    .kernarg_segment_align: 8
    .kernarg_segment_size: 28
    .language:       OpenCL C
    .language_version:
      - 2
      - 0
    .max_flat_workgroup_size: 256
    .name:           _Z6kernelI26subtract_left_partial_tileLj256ELj3ELb1EJPxPiS1_jEEvDpT3_
    .private_segment_fixed_size: 0
    .sgpr_count:     18
    .sgpr_spill_count: 0
    .symbol:         _Z6kernelI26subtract_left_partial_tileLj256ELj3ELb1EJPxPiS1_jEEvDpT3_.kd
    .uniform_work_group_size: 1
    .uses_dynamic_stack: false
    .vgpr_count:     18
    .vgpr_spill_count: 0
    .wavefront_size: 32
  - .args:
      - .address_space:  global
        .offset:         0
        .size:           8
        .value_kind:     global_buffer
      - .address_space:  global
        .offset:         8
        .size:           8
        .value_kind:     global_buffer
      - .address_space:  global
        .offset:         16
        .size:           8
        .value_kind:     global_buffer
      - .offset:         24
        .size:           4
        .value_kind:     by_value
    .group_segment_fixed_size: 4096
    .kernarg_segment_align: 8
    .kernarg_segment_size: 28
    .language:       OpenCL C
    .language_version:
      - 2
      - 0
    .max_flat_workgroup_size: 256
    .name:           _Z6kernelI26subtract_left_partial_tileLj256ELj4ELb1EJPxPiS1_jEEvDpT3_
    .private_segment_fixed_size: 0
    .sgpr_count:     18
    .sgpr_spill_count: 0
    .symbol:         _Z6kernelI26subtract_left_partial_tileLj256ELj4ELb1EJPxPiS1_jEEvDpT3_.kd
    .uniform_work_group_size: 1
    .uses_dynamic_stack: false
    .vgpr_count:     24
    .vgpr_spill_count: 0
    .wavefront_size: 32
  - .args:
      - .address_space:  global
        .offset:         0
        .size:           8
        .value_kind:     global_buffer
      - .address_space:  global
        .offset:         8
        .size:           8
        .value_kind:     global_buffer
      - .address_space:  global
        .offset:         16
        .size:           8
        .value_kind:     global_buffer
      - .offset:         24
        .size:           4
        .value_kind:     by_value
    .group_segment_fixed_size: 4096
    .kernarg_segment_align: 8
    .kernarg_segment_size: 28
    .language:       OpenCL C
    .language_version:
      - 2
      - 0
    .max_flat_workgroup_size: 256
    .name:           _Z6kernelI26subtract_left_partial_tileLj256ELj8ELb1EJPxPiS1_jEEvDpT3_
    .private_segment_fixed_size: 0
    .sgpr_count:     16
    .sgpr_spill_count: 0
    .symbol:         _Z6kernelI26subtract_left_partial_tileLj256ELj8ELb1EJPxPiS1_jEEvDpT3_.kd
    .uniform_work_group_size: 1
    .uses_dynamic_stack: false
    .vgpr_count:     42
    .vgpr_spill_count: 0
    .wavefront_size: 32
  - .args:
      - .address_space:  global
        .offset:         0
        .size:           8
        .value_kind:     global_buffer
      - .address_space:  global
        .offset:         8
        .size:           8
        .value_kind:     global_buffer
      - .address_space:  global
        .offset:         16
        .size:           8
        .value_kind:     global_buffer
      - .offset:         24
        .size:           4
        .value_kind:     by_value
    .group_segment_fixed_size: 4096
    .kernarg_segment_align: 8
    .kernarg_segment_size: 28
    .language:       OpenCL C
    .language_version:
      - 2
      - 0
    .max_flat_workgroup_size: 256
    .name:           _Z6kernelI26subtract_left_partial_tileLj256ELj16ELb1EJPxPiS1_jEEvDpT3_
    .private_segment_fixed_size: 0
    .sgpr_count:     16
    .sgpr_spill_count: 0
    .symbol:         _Z6kernelI26subtract_left_partial_tileLj256ELj16ELb1EJPxPiS1_jEEvDpT3_.kd
    .uniform_work_group_size: 1
    .uses_dynamic_stack: false
    .vgpr_count:     62
    .vgpr_spill_count: 0
    .wavefront_size: 32
  - .args:
      - .address_space:  global
        .offset:         0
        .size:           8
        .value_kind:     global_buffer
      - .address_space:  global
        .offset:         8
        .size:           8
        .value_kind:     global_buffer
      - .address_space:  global
        .offset:         16
        .size:           8
        .value_kind:     global_buffer
      - .offset:         24
        .size:           4
        .value_kind:     by_value
    .group_segment_fixed_size: 4096
    .kernarg_segment_align: 8
    .kernarg_segment_size: 28
    .language:       OpenCL C
    .language_version:
      - 2
      - 0
    .max_flat_workgroup_size: 256
    .name:           _Z6kernelI26subtract_left_partial_tileLj256ELj32ELb1EJPxPiS1_jEEvDpT3_
    .private_segment_fixed_size: 0
    .sgpr_count:     16
    .sgpr_spill_count: 0
    .symbol:         _Z6kernelI26subtract_left_partial_tileLj256ELj32ELb1EJPxPiS1_jEEvDpT3_.kd
    .uniform_work_group_size: 1
    .uses_dynamic_stack: false
    .vgpr_count:     110
    .vgpr_spill_count: 0
    .wavefront_size: 32
  - .args:
      - .address_space:  global
        .offset:         0
        .size:           8
        .value_kind:     global_buffer
      - .address_space:  global
        .offset:         8
        .size:           8
        .value_kind:     global_buffer
      - .address_space:  global
        .offset:         16
        .size:           8
        .value_kind:     global_buffer
      - .offset:         24
        .size:           4
        .value_kind:     by_value
    .group_segment_fixed_size: 4096
    .kernarg_segment_align: 8
    .kernarg_segment_size: 28
    .language:       OpenCL C
    .language_version:
      - 2
      - 0
    .max_flat_workgroup_size: 256
    .name:           _Z6kernelI26subtract_left_partial_tileLj256ELj1ELb1EJPdPiS1_jEEvDpT3_
    .private_segment_fixed_size: 0
    .sgpr_count:     15
    .sgpr_spill_count: 0
    .symbol:         _Z6kernelI26subtract_left_partial_tileLj256ELj1ELb1EJPdPiS1_jEEvDpT3_.kd
    .uniform_work_group_size: 1
    .uses_dynamic_stack: false
    .vgpr_count:     7
    .vgpr_spill_count: 0
    .wavefront_size: 32
  - .args:
      - .address_space:  global
        .offset:         0
        .size:           8
        .value_kind:     global_buffer
      - .address_space:  global
        .offset:         8
        .size:           8
        .value_kind:     global_buffer
      - .address_space:  global
        .offset:         16
        .size:           8
        .value_kind:     global_buffer
      - .offset:         24
        .size:           4
        .value_kind:     by_value
    .group_segment_fixed_size: 4096
    .kernarg_segment_align: 8
    .kernarg_segment_size: 28
    .language:       OpenCL C
    .language_version:
      - 2
      - 0
    .max_flat_workgroup_size: 256
    .name:           _Z6kernelI26subtract_left_partial_tileLj256ELj3ELb1EJPdPiS1_jEEvDpT3_
    .private_segment_fixed_size: 0
    .sgpr_count:     18
    .sgpr_spill_count: 0
    .symbol:         _Z6kernelI26subtract_left_partial_tileLj256ELj3ELb1EJPdPiS1_jEEvDpT3_.kd
    .uniform_work_group_size: 1
    .uses_dynamic_stack: false
    .vgpr_count:     18
    .vgpr_spill_count: 0
    .wavefront_size: 32
  - .args:
      - .address_space:  global
        .offset:         0
        .size:           8
        .value_kind:     global_buffer
      - .address_space:  global
        .offset:         8
        .size:           8
        .value_kind:     global_buffer
      - .address_space:  global
        .offset:         16
        .size:           8
        .value_kind:     global_buffer
      - .offset:         24
        .size:           4
        .value_kind:     by_value
    .group_segment_fixed_size: 4096
    .kernarg_segment_align: 8
    .kernarg_segment_size: 28
    .language:       OpenCL C
    .language_version:
      - 2
      - 0
    .max_flat_workgroup_size: 256
    .name:           _Z6kernelI26subtract_left_partial_tileLj256ELj4ELb1EJPdPiS1_jEEvDpT3_
    .private_segment_fixed_size: 0
    .sgpr_count:     18
    .sgpr_spill_count: 0
    .symbol:         _Z6kernelI26subtract_left_partial_tileLj256ELj4ELb1EJPdPiS1_jEEvDpT3_.kd
    .uniform_work_group_size: 1
    .uses_dynamic_stack: false
    .vgpr_count:     24
    .vgpr_spill_count: 0
    .wavefront_size: 32
  - .args:
      - .address_space:  global
        .offset:         0
        .size:           8
        .value_kind:     global_buffer
      - .address_space:  global
        .offset:         8
        .size:           8
        .value_kind:     global_buffer
      - .address_space:  global
        .offset:         16
        .size:           8
        .value_kind:     global_buffer
      - .offset:         24
        .size:           4
        .value_kind:     by_value
    .group_segment_fixed_size: 4096
    .kernarg_segment_align: 8
    .kernarg_segment_size: 28
    .language:       OpenCL C
    .language_version:
      - 2
      - 0
    .max_flat_workgroup_size: 256
    .name:           _Z6kernelI26subtract_left_partial_tileLj256ELj8ELb1EJPdPiS1_jEEvDpT3_
    .private_segment_fixed_size: 0
    .sgpr_count:     16
    .sgpr_spill_count: 0
    .symbol:         _Z6kernelI26subtract_left_partial_tileLj256ELj8ELb1EJPdPiS1_jEEvDpT3_.kd
    .uniform_work_group_size: 1
    .uses_dynamic_stack: false
    .vgpr_count:     42
    .vgpr_spill_count: 0
    .wavefront_size: 32
  - .args:
      - .address_space:  global
        .offset:         0
        .size:           8
        .value_kind:     global_buffer
      - .address_space:  global
        .offset:         8
        .size:           8
        .value_kind:     global_buffer
      - .address_space:  global
        .offset:         16
        .size:           8
        .value_kind:     global_buffer
      - .offset:         24
        .size:           4
        .value_kind:     by_value
    .group_segment_fixed_size: 4096
    .kernarg_segment_align: 8
    .kernarg_segment_size: 28
    .language:       OpenCL C
    .language_version:
      - 2
      - 0
    .max_flat_workgroup_size: 256
    .name:           _Z6kernelI26subtract_left_partial_tileLj256ELj16ELb1EJPdPiS1_jEEvDpT3_
    .private_segment_fixed_size: 0
    .sgpr_count:     17
    .sgpr_spill_count: 0
    .symbol:         _Z6kernelI26subtract_left_partial_tileLj256ELj16ELb1EJPdPiS1_jEEvDpT3_.kd
    .uniform_work_group_size: 1
    .uses_dynamic_stack: false
    .vgpr_count:     80
    .vgpr_spill_count: 0
    .wavefront_size: 32
  - .args:
      - .address_space:  global
        .offset:         0
        .size:           8
        .value_kind:     global_buffer
      - .address_space:  global
        .offset:         8
        .size:           8
        .value_kind:     global_buffer
      - .address_space:  global
        .offset:         16
        .size:           8
        .value_kind:     global_buffer
      - .offset:         24
        .size:           4
        .value_kind:     by_value
    .group_segment_fixed_size: 4096
    .kernarg_segment_align: 8
    .kernarg_segment_size: 28
    .language:       OpenCL C
    .language_version:
      - 2
      - 0
    .max_flat_workgroup_size: 256
    .name:           _Z6kernelI26subtract_left_partial_tileLj256ELj32ELb1EJPdPiS1_jEEvDpT3_
    .private_segment_fixed_size: 0
    .sgpr_count:     17
    .sgpr_spill_count: 0
    .symbol:         _Z6kernelI26subtract_left_partial_tileLj256ELj32ELb1EJPdPiS1_jEEvDpT3_.kd
    .uniform_work_group_size: 1
    .uses_dynamic_stack: false
    .vgpr_count:     160
    .vgpr_spill_count: 0
    .wavefront_size: 32
  - .args:
      - .address_space:  global
        .offset:         0
        .size:           8
        .value_kind:     global_buffer
      - .address_space:  global
        .offset:         8
        .size:           8
        .value_kind:     global_buffer
      - .address_space:  global
        .offset:         16
        .size:           8
        .value_kind:     global_buffer
      - .offset:         24
        .size:           4
        .value_kind:     by_value
    .group_segment_fixed_size: 2048
    .kernarg_segment_align: 8
    .kernarg_segment_size: 28
    .language:       OpenCL C
    .language_version:
      - 2
      - 0
    .max_flat_workgroup_size: 256
    .name:           _Z6kernelI27subtract_right_partial_tileLj256ELj1ELb0EJPiS1_S1_jEEvDpT3_
    .private_segment_fixed_size: 0
    .sgpr_count:     13
    .sgpr_spill_count: 0
    .symbol:         _Z6kernelI27subtract_right_partial_tileLj256ELj1ELb0EJPiS1_S1_jEEvDpT3_.kd
    .uniform_work_group_size: 1
    .uses_dynamic_stack: false
    .vgpr_count:     5
    .vgpr_spill_count: 0
    .wavefront_size: 32
  - .args:
      - .address_space:  global
        .offset:         0
        .size:           8
        .value_kind:     global_buffer
      - .address_space:  global
        .offset:         8
        .size:           8
        .value_kind:     global_buffer
      - .address_space:  global
        .offset:         16
        .size:           8
        .value_kind:     global_buffer
      - .offset:         24
        .size:           4
        .value_kind:     by_value
    .group_segment_fixed_size: 2048
    .kernarg_segment_align: 8
    .kernarg_segment_size: 28
    .language:       OpenCL C
    .language_version:
      - 2
      - 0
    .max_flat_workgroup_size: 256
    .name:           _Z6kernelI27subtract_right_partial_tileLj256ELj3ELb0EJPiS1_S1_jEEvDpT3_
    .private_segment_fixed_size: 0
    .sgpr_count:     15
    .sgpr_spill_count: 0
    .symbol:         _Z6kernelI27subtract_right_partial_tileLj256ELj3ELb0EJPiS1_S1_jEEvDpT3_.kd
    .uniform_work_group_size: 1
    .uses_dynamic_stack: false
    .vgpr_count:     11
    .vgpr_spill_count: 0
    .wavefront_size: 32
  - .args:
      - .address_space:  global
        .offset:         0
        .size:           8
        .value_kind:     global_buffer
      - .address_space:  global
        .offset:         8
        .size:           8
        .value_kind:     global_buffer
      - .address_space:  global
        .offset:         16
        .size:           8
        .value_kind:     global_buffer
      - .offset:         24
        .size:           4
        .value_kind:     by_value
    .group_segment_fixed_size: 2048
    .kernarg_segment_align: 8
    .kernarg_segment_size: 28
    .language:       OpenCL C
    .language_version:
      - 2
      - 0
    .max_flat_workgroup_size: 256
    .name:           _Z6kernelI27subtract_right_partial_tileLj256ELj4ELb0EJPiS1_S1_jEEvDpT3_
    .private_segment_fixed_size: 0
    .sgpr_count:     15
    .sgpr_spill_count: 0
    .symbol:         _Z6kernelI27subtract_right_partial_tileLj256ELj4ELb0EJPiS1_S1_jEEvDpT3_.kd
    .uniform_work_group_size: 1
    .uses_dynamic_stack: false
    .vgpr_count:     14
    .vgpr_spill_count: 0
    .wavefront_size: 32
  - .args:
      - .address_space:  global
        .offset:         0
        .size:           8
        .value_kind:     global_buffer
      - .address_space:  global
        .offset:         8
        .size:           8
        .value_kind:     global_buffer
      - .address_space:  global
        .offset:         16
        .size:           8
        .value_kind:     global_buffer
      - .offset:         24
        .size:           4
        .value_kind:     by_value
    .group_segment_fixed_size: 2048
    .kernarg_segment_align: 8
    .kernarg_segment_size: 28
    .language:       OpenCL C
    .language_version:
      - 2
      - 0
    .max_flat_workgroup_size: 256
    .name:           _Z6kernelI27subtract_right_partial_tileLj256ELj8ELb0EJPiS1_S1_jEEvDpT3_
    .private_segment_fixed_size: 0
    .sgpr_count:     13
    .sgpr_spill_count: 0
    .symbol:         _Z6kernelI27subtract_right_partial_tileLj256ELj8ELb0EJPiS1_S1_jEEvDpT3_.kd
    .uniform_work_group_size: 1
    .uses_dynamic_stack: false
    .vgpr_count:     26
    .vgpr_spill_count: 0
    .wavefront_size: 32
  - .args:
      - .address_space:  global
        .offset:         0
        .size:           8
        .value_kind:     global_buffer
      - .address_space:  global
        .offset:         8
        .size:           8
        .value_kind:     global_buffer
      - .address_space:  global
        .offset:         16
        .size:           8
        .value_kind:     global_buffer
      - .offset:         24
        .size:           4
        .value_kind:     by_value
    .group_segment_fixed_size: 2048
    .kernarg_segment_align: 8
    .kernarg_segment_size: 28
    .language:       OpenCL C
    .language_version:
      - 2
      - 0
    .max_flat_workgroup_size: 256
    .name:           _Z6kernelI27subtract_right_partial_tileLj256ELj16ELb0EJPiS1_S1_jEEvDpT3_
    .private_segment_fixed_size: 0
    .sgpr_count:     15
    .sgpr_spill_count: 0
    .symbol:         _Z6kernelI27subtract_right_partial_tileLj256ELj16ELb0EJPiS1_S1_jEEvDpT3_.kd
    .uniform_work_group_size: 1
    .uses_dynamic_stack: false
    .vgpr_count:     50
    .vgpr_spill_count: 0
    .wavefront_size: 32
  - .args:
      - .address_space:  global
        .offset:         0
        .size:           8
        .value_kind:     global_buffer
      - .address_space:  global
        .offset:         8
        .size:           8
        .value_kind:     global_buffer
      - .address_space:  global
        .offset:         16
        .size:           8
        .value_kind:     global_buffer
      - .offset:         24
        .size:           4
        .value_kind:     by_value
    .group_segment_fixed_size: 2048
    .kernarg_segment_align: 8
    .kernarg_segment_size: 28
    .language:       OpenCL C
    .language_version:
      - 2
      - 0
    .max_flat_workgroup_size: 256
    .name:           _Z6kernelI27subtract_right_partial_tileLj256ELj32ELb0EJPiS1_S1_jEEvDpT3_
    .private_segment_fixed_size: 0
    .sgpr_count:     15
    .sgpr_spill_count: 0
    .symbol:         _Z6kernelI27subtract_right_partial_tileLj256ELj32ELb0EJPiS1_S1_jEEvDpT3_.kd
    .uniform_work_group_size: 1
    .uses_dynamic_stack: false
    .vgpr_count:     79
    .vgpr_spill_count: 0
    .wavefront_size: 32
  - .args:
      - .address_space:  global
        .offset:         0
        .size:           8
        .value_kind:     global_buffer
      - .address_space:  global
        .offset:         8
        .size:           8
        .value_kind:     global_buffer
      - .address_space:  global
        .offset:         16
        .size:           8
        .value_kind:     global_buffer
      - .offset:         24
        .size:           4
        .value_kind:     by_value
    .group_segment_fixed_size: 2048
    .kernarg_segment_align: 8
    .kernarg_segment_size: 28
    .language:       OpenCL C
    .language_version:
      - 2
      - 0
    .max_flat_workgroup_size: 256
    .name:           _Z6kernelI27subtract_right_partial_tileLj256ELj1ELb0EJPfPiS1_jEEvDpT3_
    .private_segment_fixed_size: 0
    .sgpr_count:     13
    .sgpr_spill_count: 0
    .symbol:         _Z6kernelI27subtract_right_partial_tileLj256ELj1ELb0EJPfPiS1_jEEvDpT3_.kd
    .uniform_work_group_size: 1
    .uses_dynamic_stack: false
    .vgpr_count:     5
    .vgpr_spill_count: 0
    .wavefront_size: 32
  - .args:
      - .address_space:  global
        .offset:         0
        .size:           8
        .value_kind:     global_buffer
      - .address_space:  global
        .offset:         8
        .size:           8
        .value_kind:     global_buffer
      - .address_space:  global
        .offset:         16
        .size:           8
        .value_kind:     global_buffer
      - .offset:         24
        .size:           4
        .value_kind:     by_value
    .group_segment_fixed_size: 2048
    .kernarg_segment_align: 8
    .kernarg_segment_size: 28
    .language:       OpenCL C
    .language_version:
      - 2
      - 0
    .max_flat_workgroup_size: 256
    .name:           _Z6kernelI27subtract_right_partial_tileLj256ELj3ELb0EJPfPiS1_jEEvDpT3_
    .private_segment_fixed_size: 0
    .sgpr_count:     15
    .sgpr_spill_count: 0
    .symbol:         _Z6kernelI27subtract_right_partial_tileLj256ELj3ELb0EJPfPiS1_jEEvDpT3_.kd
    .uniform_work_group_size: 1
    .uses_dynamic_stack: false
    .vgpr_count:     11
    .vgpr_spill_count: 0
    .wavefront_size: 32
  - .args:
      - .address_space:  global
        .offset:         0
        .size:           8
        .value_kind:     global_buffer
      - .address_space:  global
        .offset:         8
        .size:           8
        .value_kind:     global_buffer
      - .address_space:  global
        .offset:         16
        .size:           8
        .value_kind:     global_buffer
      - .offset:         24
        .size:           4
        .value_kind:     by_value
    .group_segment_fixed_size: 2048
    .kernarg_segment_align: 8
    .kernarg_segment_size: 28
    .language:       OpenCL C
    .language_version:
      - 2
      - 0
    .max_flat_workgroup_size: 256
    .name:           _Z6kernelI27subtract_right_partial_tileLj256ELj4ELb0EJPfPiS1_jEEvDpT3_
    .private_segment_fixed_size: 0
    .sgpr_count:     15
    .sgpr_spill_count: 0
    .symbol:         _Z6kernelI27subtract_right_partial_tileLj256ELj4ELb0EJPfPiS1_jEEvDpT3_.kd
    .uniform_work_group_size: 1
    .uses_dynamic_stack: false
    .vgpr_count:     14
    .vgpr_spill_count: 0
    .wavefront_size: 32
  - .args:
      - .address_space:  global
        .offset:         0
        .size:           8
        .value_kind:     global_buffer
      - .address_space:  global
        .offset:         8
        .size:           8
        .value_kind:     global_buffer
      - .address_space:  global
        .offset:         16
        .size:           8
        .value_kind:     global_buffer
      - .offset:         24
        .size:           4
        .value_kind:     by_value
    .group_segment_fixed_size: 2048
    .kernarg_segment_align: 8
    .kernarg_segment_size: 28
    .language:       OpenCL C
    .language_version:
      - 2
      - 0
    .max_flat_workgroup_size: 256
    .name:           _Z6kernelI27subtract_right_partial_tileLj256ELj8ELb0EJPfPiS1_jEEvDpT3_
    .private_segment_fixed_size: 0
    .sgpr_count:     13
    .sgpr_spill_count: 0
    .symbol:         _Z6kernelI27subtract_right_partial_tileLj256ELj8ELb0EJPfPiS1_jEEvDpT3_.kd
    .uniform_work_group_size: 1
    .uses_dynamic_stack: false
    .vgpr_count:     32
    .vgpr_spill_count: 0
    .wavefront_size: 32
  - .args:
      - .address_space:  global
        .offset:         0
        .size:           8
        .value_kind:     global_buffer
      - .address_space:  global
        .offset:         8
        .size:           8
        .value_kind:     global_buffer
      - .address_space:  global
        .offset:         16
        .size:           8
        .value_kind:     global_buffer
      - .offset:         24
        .size:           4
        .value_kind:     by_value
    .group_segment_fixed_size: 2048
    .kernarg_segment_align: 8
    .kernarg_segment_size: 28
    .language:       OpenCL C
    .language_version:
      - 2
      - 0
    .max_flat_workgroup_size: 256
    .name:           _Z6kernelI27subtract_right_partial_tileLj256ELj16ELb0EJPfPiS1_jEEvDpT3_
    .private_segment_fixed_size: 0
    .sgpr_count:     15
    .sgpr_spill_count: 0
    .symbol:         _Z6kernelI27subtract_right_partial_tileLj256ELj16ELb0EJPfPiS1_jEEvDpT3_.kd
    .uniform_work_group_size: 1
    .uses_dynamic_stack: false
    .vgpr_count:     50
    .vgpr_spill_count: 0
    .wavefront_size: 32
  - .args:
      - .address_space:  global
        .offset:         0
        .size:           8
        .value_kind:     global_buffer
      - .address_space:  global
        .offset:         8
        .size:           8
        .value_kind:     global_buffer
      - .address_space:  global
        .offset:         16
        .size:           8
        .value_kind:     global_buffer
      - .offset:         24
        .size:           4
        .value_kind:     by_value
    .group_segment_fixed_size: 2048
    .kernarg_segment_align: 8
    .kernarg_segment_size: 28
    .language:       OpenCL C
    .language_version:
      - 2
      - 0
    .max_flat_workgroup_size: 256
    .name:           _Z6kernelI27subtract_right_partial_tileLj256ELj32ELb0EJPfPiS1_jEEvDpT3_
    .private_segment_fixed_size: 0
    .sgpr_count:     15
    .sgpr_spill_count: 0
    .symbol:         _Z6kernelI27subtract_right_partial_tileLj256ELj32ELb0EJPfPiS1_jEEvDpT3_.kd
    .uniform_work_group_size: 1
    .uses_dynamic_stack: false
    .vgpr_count:     98
    .vgpr_spill_count: 0
    .wavefront_size: 32
  - .args:
      - .address_space:  global
        .offset:         0
        .size:           8
        .value_kind:     global_buffer
      - .address_space:  global
        .offset:         8
        .size:           8
        .value_kind:     global_buffer
      - .address_space:  global
        .offset:         16
        .size:           8
        .value_kind:     global_buffer
      - .offset:         24
        .size:           4
        .value_kind:     by_value
    .group_segment_fixed_size: 512
    .kernarg_segment_align: 8
    .kernarg_segment_size: 28
    .language:       OpenCL C
    .language_version:
      - 2
      - 0
    .max_flat_workgroup_size: 256
    .name:           _Z6kernelI27subtract_right_partial_tileLj256ELj1ELb0EJPaPiS1_jEEvDpT3_
    .private_segment_fixed_size: 0
    .sgpr_count:     12
    .sgpr_spill_count: 0
    .symbol:         _Z6kernelI27subtract_right_partial_tileLj256ELj1ELb0EJPaPiS1_jEEvDpT3_.kd
    .uniform_work_group_size: 1
    .uses_dynamic_stack: false
    .vgpr_count:     5
    .vgpr_spill_count: 0
    .wavefront_size: 32
  - .args:
      - .address_space:  global
        .offset:         0
        .size:           8
        .value_kind:     global_buffer
      - .address_space:  global
        .offset:         8
        .size:           8
        .value_kind:     global_buffer
      - .address_space:  global
        .offset:         16
        .size:           8
        .value_kind:     global_buffer
      - .offset:         24
        .size:           4
        .value_kind:     by_value
    .group_segment_fixed_size: 512
    .kernarg_segment_align: 8
    .kernarg_segment_size: 28
    .language:       OpenCL C
    .language_version:
      - 2
      - 0
    .max_flat_workgroup_size: 256
    .name:           _Z6kernelI27subtract_right_partial_tileLj256ELj3ELb0EJPaPiS1_jEEvDpT3_
    .private_segment_fixed_size: 0
    .sgpr_count:     12
    .sgpr_spill_count: 0
    .symbol:         _Z6kernelI27subtract_right_partial_tileLj256ELj3ELb0EJPaPiS1_jEEvDpT3_.kd
    .uniform_work_group_size: 1
    .uses_dynamic_stack: false
    .vgpr_count:     12
    .vgpr_spill_count: 0
    .wavefront_size: 32
  - .args:
      - .address_space:  global
        .offset:         0
        .size:           8
        .value_kind:     global_buffer
      - .address_space:  global
        .offset:         8
        .size:           8
        .value_kind:     global_buffer
      - .address_space:  global
        .offset:         16
        .size:           8
        .value_kind:     global_buffer
      - .offset:         24
        .size:           4
        .value_kind:     by_value
    .group_segment_fixed_size: 512
    .kernarg_segment_align: 8
    .kernarg_segment_size: 28
    .language:       OpenCL C
    .language_version:
      - 2
      - 0
    .max_flat_workgroup_size: 256
    .name:           _Z6kernelI27subtract_right_partial_tileLj256ELj4ELb0EJPaPiS1_jEEvDpT3_
    .private_segment_fixed_size: 0
    .sgpr_count:     12
    .sgpr_spill_count: 0
    .symbol:         _Z6kernelI27subtract_right_partial_tileLj256ELj4ELb0EJPaPiS1_jEEvDpT3_.kd
    .uniform_work_group_size: 1
    .uses_dynamic_stack: false
    .vgpr_count:     14
    .vgpr_spill_count: 0
    .wavefront_size: 32
  - .args:
      - .address_space:  global
        .offset:         0
        .size:           8
        .value_kind:     global_buffer
      - .address_space:  global
        .offset:         8
        .size:           8
        .value_kind:     global_buffer
      - .address_space:  global
        .offset:         16
        .size:           8
        .value_kind:     global_buffer
      - .offset:         24
        .size:           4
        .value_kind:     by_value
    .group_segment_fixed_size: 512
    .kernarg_segment_align: 8
    .kernarg_segment_size: 28
    .language:       OpenCL C
    .language_version:
      - 2
      - 0
    .max_flat_workgroup_size: 256
    .name:           _Z6kernelI27subtract_right_partial_tileLj256ELj8ELb0EJPaPiS1_jEEvDpT3_
    .private_segment_fixed_size: 0
    .sgpr_count:     12
    .sgpr_spill_count: 0
    .symbol:         _Z6kernelI27subtract_right_partial_tileLj256ELj8ELb0EJPaPiS1_jEEvDpT3_.kd
    .uniform_work_group_size: 1
    .uses_dynamic_stack: false
    .vgpr_count:     23
    .vgpr_spill_count: 0
    .wavefront_size: 32
  - .args:
      - .address_space:  global
        .offset:         0
        .size:           8
        .value_kind:     global_buffer
      - .address_space:  global
        .offset:         8
        .size:           8
        .value_kind:     global_buffer
      - .address_space:  global
        .offset:         16
        .size:           8
        .value_kind:     global_buffer
      - .offset:         24
        .size:           4
        .value_kind:     by_value
    .group_segment_fixed_size: 512
    .kernarg_segment_align: 8
    .kernarg_segment_size: 28
    .language:       OpenCL C
    .language_version:
      - 2
      - 0
    .max_flat_workgroup_size: 256
    .name:           _Z6kernelI27subtract_right_partial_tileLj256ELj16ELb0EJPaPiS1_jEEvDpT3_
    .private_segment_fixed_size: 0
    .sgpr_count:     14
    .sgpr_spill_count: 0
    .symbol:         _Z6kernelI27subtract_right_partial_tileLj256ELj16ELb0EJPaPiS1_jEEvDpT3_.kd
    .uniform_work_group_size: 1
    .uses_dynamic_stack: false
    .vgpr_count:     49
    .vgpr_spill_count: 0
    .wavefront_size: 32
  - .args:
      - .address_space:  global
        .offset:         0
        .size:           8
        .value_kind:     global_buffer
      - .address_space:  global
        .offset:         8
        .size:           8
        .value_kind:     global_buffer
      - .address_space:  global
        .offset:         16
        .size:           8
        .value_kind:     global_buffer
      - .offset:         24
        .size:           4
        .value_kind:     by_value
    .group_segment_fixed_size: 512
    .kernarg_segment_align: 8
    .kernarg_segment_size: 28
    .language:       OpenCL C
    .language_version:
      - 2
      - 0
    .max_flat_workgroup_size: 256
    .name:           _Z6kernelI27subtract_right_partial_tileLj256ELj32ELb0EJPaPiS1_jEEvDpT3_
    .private_segment_fixed_size: 0
    .sgpr_count:     14
    .sgpr_spill_count: 0
    .symbol:         _Z6kernelI27subtract_right_partial_tileLj256ELj32ELb0EJPaPiS1_jEEvDpT3_.kd
    .uniform_work_group_size: 1
    .uses_dynamic_stack: false
    .vgpr_count:     81
    .vgpr_spill_count: 0
    .wavefront_size: 32
  - .args:
      - .address_space:  global
        .offset:         0
        .size:           8
        .value_kind:     global_buffer
      - .address_space:  global
        .offset:         8
        .size:           8
        .value_kind:     global_buffer
      - .address_space:  global
        .offset:         16
        .size:           8
        .value_kind:     global_buffer
      - .offset:         24
        .size:           4
        .value_kind:     by_value
    .group_segment_fixed_size: 4096
    .kernarg_segment_align: 8
    .kernarg_segment_size: 28
    .language:       OpenCL C
    .language_version:
      - 2
      - 0
    .max_flat_workgroup_size: 256
    .name:           _Z6kernelI27subtract_right_partial_tileLj256ELj1ELb0EJPxPiS1_jEEvDpT3_
    .private_segment_fixed_size: 0
    .sgpr_count:     13
    .sgpr_spill_count: 0
    .symbol:         _Z6kernelI27subtract_right_partial_tileLj256ELj1ELb0EJPxPiS1_jEEvDpT3_.kd
    .uniform_work_group_size: 1
    .uses_dynamic_stack: false
    .vgpr_count:     7
    .vgpr_spill_count: 0
    .wavefront_size: 32
  - .args:
      - .address_space:  global
        .offset:         0
        .size:           8
        .value_kind:     global_buffer
      - .address_space:  global
        .offset:         8
        .size:           8
        .value_kind:     global_buffer
      - .address_space:  global
        .offset:         16
        .size:           8
        .value_kind:     global_buffer
      - .offset:         24
        .size:           4
        .value_kind:     by_value
    .group_segment_fixed_size: 4096
    .kernarg_segment_align: 8
    .kernarg_segment_size: 28
    .language:       OpenCL C
    .language_version:
      - 2
      - 0
    .max_flat_workgroup_size: 256
    .name:           _Z6kernelI27subtract_right_partial_tileLj256ELj3ELb0EJPxPiS1_jEEvDpT3_
    .private_segment_fixed_size: 0
    .sgpr_count:     15
    .sgpr_spill_count: 0
    .symbol:         _Z6kernelI27subtract_right_partial_tileLj256ELj3ELb0EJPxPiS1_jEEvDpT3_.kd
    .uniform_work_group_size: 1
    .uses_dynamic_stack: false
    .vgpr_count:     18
    .vgpr_spill_count: 0
    .wavefront_size: 32
  - .args:
      - .address_space:  global
        .offset:         0
        .size:           8
        .value_kind:     global_buffer
      - .address_space:  global
        .offset:         8
        .size:           8
        .value_kind:     global_buffer
      - .address_space:  global
        .offset:         16
        .size:           8
        .value_kind:     global_buffer
      - .offset:         24
        .size:           4
        .value_kind:     by_value
    .group_segment_fixed_size: 4096
    .kernarg_segment_align: 8
    .kernarg_segment_size: 28
    .language:       OpenCL C
    .language_version:
      - 2
      - 0
    .max_flat_workgroup_size: 256
    .name:           _Z6kernelI27subtract_right_partial_tileLj256ELj4ELb0EJPxPiS1_jEEvDpT3_
    .private_segment_fixed_size: 0
    .sgpr_count:     15
    .sgpr_spill_count: 0
    .symbol:         _Z6kernelI27subtract_right_partial_tileLj256ELj4ELb0EJPxPiS1_jEEvDpT3_.kd
    .uniform_work_group_size: 1
    .uses_dynamic_stack: false
    .vgpr_count:     22
    .vgpr_spill_count: 0
    .wavefront_size: 32
  - .args:
      - .address_space:  global
        .offset:         0
        .size:           8
        .value_kind:     global_buffer
      - .address_space:  global
        .offset:         8
        .size:           8
        .value_kind:     global_buffer
      - .address_space:  global
        .offset:         16
        .size:           8
        .value_kind:     global_buffer
      - .offset:         24
        .size:           4
        .value_kind:     by_value
    .group_segment_fixed_size: 4096
    .kernarg_segment_align: 8
    .kernarg_segment_size: 28
    .language:       OpenCL C
    .language_version:
      - 2
      - 0
    .max_flat_workgroup_size: 256
    .name:           _Z6kernelI27subtract_right_partial_tileLj256ELj8ELb0EJPxPiS1_jEEvDpT3_
    .private_segment_fixed_size: 0
    .sgpr_count:     13
    .sgpr_spill_count: 0
    .symbol:         _Z6kernelI27subtract_right_partial_tileLj256ELj8ELb0EJPxPiS1_jEEvDpT3_.kd
    .uniform_work_group_size: 1
    .uses_dynamic_stack: false
    .vgpr_count:     42
    .vgpr_spill_count: 0
    .wavefront_size: 32
  - .args:
      - .address_space:  global
        .offset:         0
        .size:           8
        .value_kind:     global_buffer
      - .address_space:  global
        .offset:         8
        .size:           8
        .value_kind:     global_buffer
      - .address_space:  global
        .offset:         16
        .size:           8
        .value_kind:     global_buffer
      - .offset:         24
        .size:           4
        .value_kind:     by_value
    .group_segment_fixed_size: 4096
    .kernarg_segment_align: 8
    .kernarg_segment_size: 28
    .language:       OpenCL C
    .language_version:
      - 2
      - 0
    .max_flat_workgroup_size: 256
    .name:           _Z6kernelI27subtract_right_partial_tileLj256ELj16ELb0EJPxPiS1_jEEvDpT3_
    .private_segment_fixed_size: 0
    .sgpr_count:     15
    .sgpr_spill_count: 0
    .symbol:         _Z6kernelI27subtract_right_partial_tileLj256ELj16ELb0EJPxPiS1_jEEvDpT3_.kd
    .uniform_work_group_size: 1
    .uses_dynamic_stack: false
    .vgpr_count:     62
    .vgpr_spill_count: 0
    .wavefront_size: 32
  - .args:
      - .address_space:  global
        .offset:         0
        .size:           8
        .value_kind:     global_buffer
      - .address_space:  global
        .offset:         8
        .size:           8
        .value_kind:     global_buffer
      - .address_space:  global
        .offset:         16
        .size:           8
        .value_kind:     global_buffer
      - .offset:         24
        .size:           4
        .value_kind:     by_value
    .group_segment_fixed_size: 4096
    .kernarg_segment_align: 8
    .kernarg_segment_size: 28
    .language:       OpenCL C
    .language_version:
      - 2
      - 0
    .max_flat_workgroup_size: 256
    .name:           _Z6kernelI27subtract_right_partial_tileLj256ELj32ELb0EJPxPiS1_jEEvDpT3_
    .private_segment_fixed_size: 0
    .sgpr_count:     15
    .sgpr_spill_count: 0
    .symbol:         _Z6kernelI27subtract_right_partial_tileLj256ELj32ELb0EJPxPiS1_jEEvDpT3_.kd
    .uniform_work_group_size: 1
    .uses_dynamic_stack: false
    .vgpr_count:     110
    .vgpr_spill_count: 0
    .wavefront_size: 32
  - .args:
      - .address_space:  global
        .offset:         0
        .size:           8
        .value_kind:     global_buffer
      - .address_space:  global
        .offset:         8
        .size:           8
        .value_kind:     global_buffer
      - .address_space:  global
        .offset:         16
        .size:           8
        .value_kind:     global_buffer
      - .offset:         24
        .size:           4
        .value_kind:     by_value
    .group_segment_fixed_size: 4096
    .kernarg_segment_align: 8
    .kernarg_segment_size: 28
    .language:       OpenCL C
    .language_version:
      - 2
      - 0
    .max_flat_workgroup_size: 256
    .name:           _Z6kernelI27subtract_right_partial_tileLj256ELj1ELb0EJPdPiS1_jEEvDpT3_
    .private_segment_fixed_size: 0
    .sgpr_count:     13
    .sgpr_spill_count: 0
    .symbol:         _Z6kernelI27subtract_right_partial_tileLj256ELj1ELb0EJPdPiS1_jEEvDpT3_.kd
    .uniform_work_group_size: 1
    .uses_dynamic_stack: false
    .vgpr_count:     7
    .vgpr_spill_count: 0
    .wavefront_size: 32
  - .args:
      - .address_space:  global
        .offset:         0
        .size:           8
        .value_kind:     global_buffer
      - .address_space:  global
        .offset:         8
        .size:           8
        .value_kind:     global_buffer
      - .address_space:  global
        .offset:         16
        .size:           8
        .value_kind:     global_buffer
      - .offset:         24
        .size:           4
        .value_kind:     by_value
    .group_segment_fixed_size: 4096
    .kernarg_segment_align: 8
    .kernarg_segment_size: 28
    .language:       OpenCL C
    .language_version:
      - 2
      - 0
    .max_flat_workgroup_size: 256
    .name:           _Z6kernelI27subtract_right_partial_tileLj256ELj3ELb0EJPdPiS1_jEEvDpT3_
    .private_segment_fixed_size: 0
    .sgpr_count:     15
    .sgpr_spill_count: 0
    .symbol:         _Z6kernelI27subtract_right_partial_tileLj256ELj3ELb0EJPdPiS1_jEEvDpT3_.kd
    .uniform_work_group_size: 1
    .uses_dynamic_stack: false
    .vgpr_count:     18
    .vgpr_spill_count: 0
    .wavefront_size: 32
  - .args:
      - .address_space:  global
        .offset:         0
        .size:           8
        .value_kind:     global_buffer
      - .address_space:  global
        .offset:         8
        .size:           8
        .value_kind:     global_buffer
      - .address_space:  global
        .offset:         16
        .size:           8
        .value_kind:     global_buffer
      - .offset:         24
        .size:           4
        .value_kind:     by_value
    .group_segment_fixed_size: 4096
    .kernarg_segment_align: 8
    .kernarg_segment_size: 28
    .language:       OpenCL C
    .language_version:
      - 2
      - 0
    .max_flat_workgroup_size: 256
    .name:           _Z6kernelI27subtract_right_partial_tileLj256ELj4ELb0EJPdPiS1_jEEvDpT3_
    .private_segment_fixed_size: 0
    .sgpr_count:     15
    .sgpr_spill_count: 0
    .symbol:         _Z6kernelI27subtract_right_partial_tileLj256ELj4ELb0EJPdPiS1_jEEvDpT3_.kd
    .uniform_work_group_size: 1
    .uses_dynamic_stack: false
    .vgpr_count:     22
    .vgpr_spill_count: 0
    .wavefront_size: 32
  - .args:
      - .address_space:  global
        .offset:         0
        .size:           8
        .value_kind:     global_buffer
      - .address_space:  global
        .offset:         8
        .size:           8
        .value_kind:     global_buffer
      - .address_space:  global
        .offset:         16
        .size:           8
        .value_kind:     global_buffer
      - .offset:         24
        .size:           4
        .value_kind:     by_value
    .group_segment_fixed_size: 4096
    .kernarg_segment_align: 8
    .kernarg_segment_size: 28
    .language:       OpenCL C
    .language_version:
      - 2
      - 0
    .max_flat_workgroup_size: 256
    .name:           _Z6kernelI27subtract_right_partial_tileLj256ELj8ELb0EJPdPiS1_jEEvDpT3_
    .private_segment_fixed_size: 0
    .sgpr_count:     16
    .sgpr_spill_count: 0
    .symbol:         _Z6kernelI27subtract_right_partial_tileLj256ELj8ELb0EJPdPiS1_jEEvDpT3_.kd
    .uniform_work_group_size: 1
    .uses_dynamic_stack: false
    .vgpr_count:     42
    .vgpr_spill_count: 0
    .wavefront_size: 32
  - .args:
      - .address_space:  global
        .offset:         0
        .size:           8
        .value_kind:     global_buffer
      - .address_space:  global
        .offset:         8
        .size:           8
        .value_kind:     global_buffer
      - .address_space:  global
        .offset:         16
        .size:           8
        .value_kind:     global_buffer
      - .offset:         24
        .size:           4
        .value_kind:     by_value
    .group_segment_fixed_size: 4096
    .kernarg_segment_align: 8
    .kernarg_segment_size: 28
    .language:       OpenCL C
    .language_version:
      - 2
      - 0
    .max_flat_workgroup_size: 256
    .name:           _Z6kernelI27subtract_right_partial_tileLj256ELj16ELb0EJPdPiS1_jEEvDpT3_
    .private_segment_fixed_size: 0
    .sgpr_count:     17
    .sgpr_spill_count: 0
    .symbol:         _Z6kernelI27subtract_right_partial_tileLj256ELj16ELb0EJPdPiS1_jEEvDpT3_.kd
    .uniform_work_group_size: 1
    .uses_dynamic_stack: false
    .vgpr_count:     82
    .vgpr_spill_count: 0
    .wavefront_size: 32
  - .args:
      - .address_space:  global
        .offset:         0
        .size:           8
        .value_kind:     global_buffer
      - .address_space:  global
        .offset:         8
        .size:           8
        .value_kind:     global_buffer
      - .address_space:  global
        .offset:         16
        .size:           8
        .value_kind:     global_buffer
      - .offset:         24
        .size:           4
        .value_kind:     by_value
    .group_segment_fixed_size: 4096
    .kernarg_segment_align: 8
    .kernarg_segment_size: 28
    .language:       OpenCL C
    .language_version:
      - 2
      - 0
    .max_flat_workgroup_size: 256
    .name:           _Z6kernelI27subtract_right_partial_tileLj256ELj32ELb0EJPdPiS1_jEEvDpT3_
    .private_segment_fixed_size: 0
    .sgpr_count:     16
    .sgpr_spill_count: 0
    .symbol:         _Z6kernelI27subtract_right_partial_tileLj256ELj32ELb0EJPdPiS1_jEEvDpT3_.kd
    .uniform_work_group_size: 1
    .uses_dynamic_stack: false
    .vgpr_count:     162
    .vgpr_spill_count: 0
    .wavefront_size: 32
  - .args:
      - .address_space:  global
        .offset:         0
        .size:           8
        .value_kind:     global_buffer
      - .address_space:  global
        .offset:         8
        .size:           8
        .value_kind:     global_buffer
      - .address_space:  global
        .offset:         16
        .size:           8
        .value_kind:     global_buffer
      - .offset:         24
        .size:           4
        .value_kind:     by_value
    .group_segment_fixed_size: 2048
    .kernarg_segment_align: 8
    .kernarg_segment_size: 28
    .language:       OpenCL C
    .language_version:
      - 2
      - 0
    .max_flat_workgroup_size: 256
    .name:           _Z6kernelI27subtract_right_partial_tileLj256ELj1ELb1EJPiS1_S1_jEEvDpT3_
    .private_segment_fixed_size: 0
    .sgpr_count:     13
    .sgpr_spill_count: 0
    .symbol:         _Z6kernelI27subtract_right_partial_tileLj256ELj1ELb1EJPiS1_S1_jEEvDpT3_.kd
    .uniform_work_group_size: 1
    .uses_dynamic_stack: false
    .vgpr_count:     5
    .vgpr_spill_count: 0
    .wavefront_size: 32
  - .args:
      - .address_space:  global
        .offset:         0
        .size:           8
        .value_kind:     global_buffer
      - .address_space:  global
        .offset:         8
        .size:           8
        .value_kind:     global_buffer
      - .address_space:  global
        .offset:         16
        .size:           8
        .value_kind:     global_buffer
      - .offset:         24
        .size:           4
        .value_kind:     by_value
    .group_segment_fixed_size: 2048
    .kernarg_segment_align: 8
    .kernarg_segment_size: 28
    .language:       OpenCL C
    .language_version:
      - 2
      - 0
    .max_flat_workgroup_size: 256
    .name:           _Z6kernelI27subtract_right_partial_tileLj256ELj3ELb1EJPiS1_S1_jEEvDpT3_
    .private_segment_fixed_size: 0
    .sgpr_count:     15
    .sgpr_spill_count: 0
    .symbol:         _Z6kernelI27subtract_right_partial_tileLj256ELj3ELb1EJPiS1_S1_jEEvDpT3_.kd
    .uniform_work_group_size: 1
    .uses_dynamic_stack: false
    .vgpr_count:     11
    .vgpr_spill_count: 0
    .wavefront_size: 32
  - .args:
      - .address_space:  global
        .offset:         0
        .size:           8
        .value_kind:     global_buffer
      - .address_space:  global
        .offset:         8
        .size:           8
        .value_kind:     global_buffer
      - .address_space:  global
        .offset:         16
        .size:           8
        .value_kind:     global_buffer
      - .offset:         24
        .size:           4
        .value_kind:     by_value
    .group_segment_fixed_size: 2048
    .kernarg_segment_align: 8
    .kernarg_segment_size: 28
    .language:       OpenCL C
    .language_version:
      - 2
      - 0
    .max_flat_workgroup_size: 256
    .name:           _Z6kernelI27subtract_right_partial_tileLj256ELj4ELb1EJPiS1_S1_jEEvDpT3_
    .private_segment_fixed_size: 0
    .sgpr_count:     15
    .sgpr_spill_count: 0
    .symbol:         _Z6kernelI27subtract_right_partial_tileLj256ELj4ELb1EJPiS1_S1_jEEvDpT3_.kd
    .uniform_work_group_size: 1
    .uses_dynamic_stack: false
    .vgpr_count:     14
    .vgpr_spill_count: 0
    .wavefront_size: 32
  - .args:
      - .address_space:  global
        .offset:         0
        .size:           8
        .value_kind:     global_buffer
      - .address_space:  global
        .offset:         8
        .size:           8
        .value_kind:     global_buffer
      - .address_space:  global
        .offset:         16
        .size:           8
        .value_kind:     global_buffer
      - .offset:         24
        .size:           4
        .value_kind:     by_value
    .group_segment_fixed_size: 2048
    .kernarg_segment_align: 8
    .kernarg_segment_size: 28
    .language:       OpenCL C
    .language_version:
      - 2
      - 0
    .max_flat_workgroup_size: 256
    .name:           _Z6kernelI27subtract_right_partial_tileLj256ELj8ELb1EJPiS1_S1_jEEvDpT3_
    .private_segment_fixed_size: 0
    .sgpr_count:     13
    .sgpr_spill_count: 0
    .symbol:         _Z6kernelI27subtract_right_partial_tileLj256ELj8ELb1EJPiS1_S1_jEEvDpT3_.kd
    .uniform_work_group_size: 1
    .uses_dynamic_stack: false
    .vgpr_count:     26
    .vgpr_spill_count: 0
    .wavefront_size: 32
  - .args:
      - .address_space:  global
        .offset:         0
        .size:           8
        .value_kind:     global_buffer
      - .address_space:  global
        .offset:         8
        .size:           8
        .value_kind:     global_buffer
      - .address_space:  global
        .offset:         16
        .size:           8
        .value_kind:     global_buffer
      - .offset:         24
        .size:           4
        .value_kind:     by_value
    .group_segment_fixed_size: 2048
    .kernarg_segment_align: 8
    .kernarg_segment_size: 28
    .language:       OpenCL C
    .language_version:
      - 2
      - 0
    .max_flat_workgroup_size: 256
    .name:           _Z6kernelI27subtract_right_partial_tileLj256ELj16ELb1EJPiS1_S1_jEEvDpT3_
    .private_segment_fixed_size: 0
    .sgpr_count:     15
    .sgpr_spill_count: 0
    .symbol:         _Z6kernelI27subtract_right_partial_tileLj256ELj16ELb1EJPiS1_S1_jEEvDpT3_.kd
    .uniform_work_group_size: 1
    .uses_dynamic_stack: false
    .vgpr_count:     50
    .vgpr_spill_count: 0
    .wavefront_size: 32
  - .args:
      - .address_space:  global
        .offset:         0
        .size:           8
        .value_kind:     global_buffer
      - .address_space:  global
        .offset:         8
        .size:           8
        .value_kind:     global_buffer
      - .address_space:  global
        .offset:         16
        .size:           8
        .value_kind:     global_buffer
      - .offset:         24
        .size:           4
        .value_kind:     by_value
    .group_segment_fixed_size: 2048
    .kernarg_segment_align: 8
    .kernarg_segment_size: 28
    .language:       OpenCL C
    .language_version:
      - 2
      - 0
    .max_flat_workgroup_size: 256
    .name:           _Z6kernelI27subtract_right_partial_tileLj256ELj32ELb1EJPiS1_S1_jEEvDpT3_
    .private_segment_fixed_size: 0
    .sgpr_count:     15
    .sgpr_spill_count: 0
    .symbol:         _Z6kernelI27subtract_right_partial_tileLj256ELj32ELb1EJPiS1_S1_jEEvDpT3_.kd
    .uniform_work_group_size: 1
    .uses_dynamic_stack: false
    .vgpr_count:     79
    .vgpr_spill_count: 0
    .wavefront_size: 32
  - .args:
      - .address_space:  global
        .offset:         0
        .size:           8
        .value_kind:     global_buffer
      - .address_space:  global
        .offset:         8
        .size:           8
        .value_kind:     global_buffer
      - .address_space:  global
        .offset:         16
        .size:           8
        .value_kind:     global_buffer
      - .offset:         24
        .size:           4
        .value_kind:     by_value
    .group_segment_fixed_size: 2048
    .kernarg_segment_align: 8
    .kernarg_segment_size: 28
    .language:       OpenCL C
    .language_version:
      - 2
      - 0
    .max_flat_workgroup_size: 256
    .name:           _Z6kernelI27subtract_right_partial_tileLj256ELj1ELb1EJPfPiS1_jEEvDpT3_
    .private_segment_fixed_size: 0
    .sgpr_count:     13
    .sgpr_spill_count: 0
    .symbol:         _Z6kernelI27subtract_right_partial_tileLj256ELj1ELb1EJPfPiS1_jEEvDpT3_.kd
    .uniform_work_group_size: 1
    .uses_dynamic_stack: false
    .vgpr_count:     5
    .vgpr_spill_count: 0
    .wavefront_size: 32
  - .args:
      - .address_space:  global
        .offset:         0
        .size:           8
        .value_kind:     global_buffer
      - .address_space:  global
        .offset:         8
        .size:           8
        .value_kind:     global_buffer
      - .address_space:  global
        .offset:         16
        .size:           8
        .value_kind:     global_buffer
      - .offset:         24
        .size:           4
        .value_kind:     by_value
    .group_segment_fixed_size: 2048
    .kernarg_segment_align: 8
    .kernarg_segment_size: 28
    .language:       OpenCL C
    .language_version:
      - 2
      - 0
    .max_flat_workgroup_size: 256
    .name:           _Z6kernelI27subtract_right_partial_tileLj256ELj3ELb1EJPfPiS1_jEEvDpT3_
    .private_segment_fixed_size: 0
    .sgpr_count:     15
    .sgpr_spill_count: 0
    .symbol:         _Z6kernelI27subtract_right_partial_tileLj256ELj3ELb1EJPfPiS1_jEEvDpT3_.kd
    .uniform_work_group_size: 1
    .uses_dynamic_stack: false
    .vgpr_count:     11
    .vgpr_spill_count: 0
    .wavefront_size: 32
  - .args:
      - .address_space:  global
        .offset:         0
        .size:           8
        .value_kind:     global_buffer
      - .address_space:  global
        .offset:         8
        .size:           8
        .value_kind:     global_buffer
      - .address_space:  global
        .offset:         16
        .size:           8
        .value_kind:     global_buffer
      - .offset:         24
        .size:           4
        .value_kind:     by_value
    .group_segment_fixed_size: 2048
    .kernarg_segment_align: 8
    .kernarg_segment_size: 28
    .language:       OpenCL C
    .language_version:
      - 2
      - 0
    .max_flat_workgroup_size: 256
    .name:           _Z6kernelI27subtract_right_partial_tileLj256ELj4ELb1EJPfPiS1_jEEvDpT3_
    .private_segment_fixed_size: 0
    .sgpr_count:     15
    .sgpr_spill_count: 0
    .symbol:         _Z6kernelI27subtract_right_partial_tileLj256ELj4ELb1EJPfPiS1_jEEvDpT3_.kd
    .uniform_work_group_size: 1
    .uses_dynamic_stack: false
    .vgpr_count:     14
    .vgpr_spill_count: 0
    .wavefront_size: 32
  - .args:
      - .address_space:  global
        .offset:         0
        .size:           8
        .value_kind:     global_buffer
      - .address_space:  global
        .offset:         8
        .size:           8
        .value_kind:     global_buffer
      - .address_space:  global
        .offset:         16
        .size:           8
        .value_kind:     global_buffer
      - .offset:         24
        .size:           4
        .value_kind:     by_value
    .group_segment_fixed_size: 2048
    .kernarg_segment_align: 8
    .kernarg_segment_size: 28
    .language:       OpenCL C
    .language_version:
      - 2
      - 0
    .max_flat_workgroup_size: 256
    .name:           _Z6kernelI27subtract_right_partial_tileLj256ELj8ELb1EJPfPiS1_jEEvDpT3_
    .private_segment_fixed_size: 0
    .sgpr_count:     13
    .sgpr_spill_count: 0
    .symbol:         _Z6kernelI27subtract_right_partial_tileLj256ELj8ELb1EJPfPiS1_jEEvDpT3_.kd
    .uniform_work_group_size: 1
    .uses_dynamic_stack: false
    .vgpr_count:     32
    .vgpr_spill_count: 0
    .wavefront_size: 32
  - .args:
      - .address_space:  global
        .offset:         0
        .size:           8
        .value_kind:     global_buffer
      - .address_space:  global
        .offset:         8
        .size:           8
        .value_kind:     global_buffer
      - .address_space:  global
        .offset:         16
        .size:           8
        .value_kind:     global_buffer
      - .offset:         24
        .size:           4
        .value_kind:     by_value
    .group_segment_fixed_size: 2048
    .kernarg_segment_align: 8
    .kernarg_segment_size: 28
    .language:       OpenCL C
    .language_version:
      - 2
      - 0
    .max_flat_workgroup_size: 256
    .name:           _Z6kernelI27subtract_right_partial_tileLj256ELj16ELb1EJPfPiS1_jEEvDpT3_
    .private_segment_fixed_size: 0
    .sgpr_count:     15
    .sgpr_spill_count: 0
    .symbol:         _Z6kernelI27subtract_right_partial_tileLj256ELj16ELb1EJPfPiS1_jEEvDpT3_.kd
    .uniform_work_group_size: 1
    .uses_dynamic_stack: false
    .vgpr_count:     50
    .vgpr_spill_count: 0
    .wavefront_size: 32
  - .args:
      - .address_space:  global
        .offset:         0
        .size:           8
        .value_kind:     global_buffer
      - .address_space:  global
        .offset:         8
        .size:           8
        .value_kind:     global_buffer
      - .address_space:  global
        .offset:         16
        .size:           8
        .value_kind:     global_buffer
      - .offset:         24
        .size:           4
        .value_kind:     by_value
    .group_segment_fixed_size: 2048
    .kernarg_segment_align: 8
    .kernarg_segment_size: 28
    .language:       OpenCL C
    .language_version:
      - 2
      - 0
    .max_flat_workgroup_size: 256
    .name:           _Z6kernelI27subtract_right_partial_tileLj256ELj32ELb1EJPfPiS1_jEEvDpT3_
    .private_segment_fixed_size: 0
    .sgpr_count:     15
    .sgpr_spill_count: 0
    .symbol:         _Z6kernelI27subtract_right_partial_tileLj256ELj32ELb1EJPfPiS1_jEEvDpT3_.kd
    .uniform_work_group_size: 1
    .uses_dynamic_stack: false
    .vgpr_count:     98
    .vgpr_spill_count: 0
    .wavefront_size: 32
  - .args:
      - .address_space:  global
        .offset:         0
        .size:           8
        .value_kind:     global_buffer
      - .address_space:  global
        .offset:         8
        .size:           8
        .value_kind:     global_buffer
      - .address_space:  global
        .offset:         16
        .size:           8
        .value_kind:     global_buffer
      - .offset:         24
        .size:           4
        .value_kind:     by_value
    .group_segment_fixed_size: 512
    .kernarg_segment_align: 8
    .kernarg_segment_size: 28
    .language:       OpenCL C
    .language_version:
      - 2
      - 0
    .max_flat_workgroup_size: 256
    .name:           _Z6kernelI27subtract_right_partial_tileLj256ELj1ELb1EJPaPiS1_jEEvDpT3_
    .private_segment_fixed_size: 0
    .sgpr_count:     12
    .sgpr_spill_count: 0
    .symbol:         _Z6kernelI27subtract_right_partial_tileLj256ELj1ELb1EJPaPiS1_jEEvDpT3_.kd
    .uniform_work_group_size: 1
    .uses_dynamic_stack: false
    .vgpr_count:     5
    .vgpr_spill_count: 0
    .wavefront_size: 32
  - .args:
      - .address_space:  global
        .offset:         0
        .size:           8
        .value_kind:     global_buffer
      - .address_space:  global
        .offset:         8
        .size:           8
        .value_kind:     global_buffer
      - .address_space:  global
        .offset:         16
        .size:           8
        .value_kind:     global_buffer
      - .offset:         24
        .size:           4
        .value_kind:     by_value
    .group_segment_fixed_size: 512
    .kernarg_segment_align: 8
    .kernarg_segment_size: 28
    .language:       OpenCL C
    .language_version:
      - 2
      - 0
    .max_flat_workgroup_size: 256
    .name:           _Z6kernelI27subtract_right_partial_tileLj256ELj3ELb1EJPaPiS1_jEEvDpT3_
    .private_segment_fixed_size: 0
    .sgpr_count:     12
    .sgpr_spill_count: 0
    .symbol:         _Z6kernelI27subtract_right_partial_tileLj256ELj3ELb1EJPaPiS1_jEEvDpT3_.kd
    .uniform_work_group_size: 1
    .uses_dynamic_stack: false
    .vgpr_count:     12
    .vgpr_spill_count: 0
    .wavefront_size: 32
  - .args:
      - .address_space:  global
        .offset:         0
        .size:           8
        .value_kind:     global_buffer
      - .address_space:  global
        .offset:         8
        .size:           8
        .value_kind:     global_buffer
      - .address_space:  global
        .offset:         16
        .size:           8
        .value_kind:     global_buffer
      - .offset:         24
        .size:           4
        .value_kind:     by_value
    .group_segment_fixed_size: 512
    .kernarg_segment_align: 8
    .kernarg_segment_size: 28
    .language:       OpenCL C
    .language_version:
      - 2
      - 0
    .max_flat_workgroup_size: 256
    .name:           _Z6kernelI27subtract_right_partial_tileLj256ELj4ELb1EJPaPiS1_jEEvDpT3_
    .private_segment_fixed_size: 0
    .sgpr_count:     12
    .sgpr_spill_count: 0
    .symbol:         _Z6kernelI27subtract_right_partial_tileLj256ELj4ELb1EJPaPiS1_jEEvDpT3_.kd
    .uniform_work_group_size: 1
    .uses_dynamic_stack: false
    .vgpr_count:     14
    .vgpr_spill_count: 0
    .wavefront_size: 32
  - .args:
      - .address_space:  global
        .offset:         0
        .size:           8
        .value_kind:     global_buffer
      - .address_space:  global
        .offset:         8
        .size:           8
        .value_kind:     global_buffer
      - .address_space:  global
        .offset:         16
        .size:           8
        .value_kind:     global_buffer
      - .offset:         24
        .size:           4
        .value_kind:     by_value
    .group_segment_fixed_size: 512
    .kernarg_segment_align: 8
    .kernarg_segment_size: 28
    .language:       OpenCL C
    .language_version:
      - 2
      - 0
    .max_flat_workgroup_size: 256
    .name:           _Z6kernelI27subtract_right_partial_tileLj256ELj8ELb1EJPaPiS1_jEEvDpT3_
    .private_segment_fixed_size: 0
    .sgpr_count:     12
    .sgpr_spill_count: 0
    .symbol:         _Z6kernelI27subtract_right_partial_tileLj256ELj8ELb1EJPaPiS1_jEEvDpT3_.kd
    .uniform_work_group_size: 1
    .uses_dynamic_stack: false
    .vgpr_count:     23
    .vgpr_spill_count: 0
    .wavefront_size: 32
  - .args:
      - .address_space:  global
        .offset:         0
        .size:           8
        .value_kind:     global_buffer
      - .address_space:  global
        .offset:         8
        .size:           8
        .value_kind:     global_buffer
      - .address_space:  global
        .offset:         16
        .size:           8
        .value_kind:     global_buffer
      - .offset:         24
        .size:           4
        .value_kind:     by_value
    .group_segment_fixed_size: 512
    .kernarg_segment_align: 8
    .kernarg_segment_size: 28
    .language:       OpenCL C
    .language_version:
      - 2
      - 0
    .max_flat_workgroup_size: 256
    .name:           _Z6kernelI27subtract_right_partial_tileLj256ELj16ELb1EJPaPiS1_jEEvDpT3_
    .private_segment_fixed_size: 0
    .sgpr_count:     14
    .sgpr_spill_count: 0
    .symbol:         _Z6kernelI27subtract_right_partial_tileLj256ELj16ELb1EJPaPiS1_jEEvDpT3_.kd
    .uniform_work_group_size: 1
    .uses_dynamic_stack: false
    .vgpr_count:     49
    .vgpr_spill_count: 0
    .wavefront_size: 32
  - .args:
      - .address_space:  global
        .offset:         0
        .size:           8
        .value_kind:     global_buffer
      - .address_space:  global
        .offset:         8
        .size:           8
        .value_kind:     global_buffer
      - .address_space:  global
        .offset:         16
        .size:           8
        .value_kind:     global_buffer
      - .offset:         24
        .size:           4
        .value_kind:     by_value
    .group_segment_fixed_size: 512
    .kernarg_segment_align: 8
    .kernarg_segment_size: 28
    .language:       OpenCL C
    .language_version:
      - 2
      - 0
    .max_flat_workgroup_size: 256
    .name:           _Z6kernelI27subtract_right_partial_tileLj256ELj32ELb1EJPaPiS1_jEEvDpT3_
    .private_segment_fixed_size: 0
    .sgpr_count:     14
    .sgpr_spill_count: 0
    .symbol:         _Z6kernelI27subtract_right_partial_tileLj256ELj32ELb1EJPaPiS1_jEEvDpT3_.kd
    .uniform_work_group_size: 1
    .uses_dynamic_stack: false
    .vgpr_count:     81
    .vgpr_spill_count: 0
    .wavefront_size: 32
  - .args:
      - .address_space:  global
        .offset:         0
        .size:           8
        .value_kind:     global_buffer
      - .address_space:  global
        .offset:         8
        .size:           8
        .value_kind:     global_buffer
      - .address_space:  global
        .offset:         16
        .size:           8
        .value_kind:     global_buffer
      - .offset:         24
        .size:           4
        .value_kind:     by_value
    .group_segment_fixed_size: 4096
    .kernarg_segment_align: 8
    .kernarg_segment_size: 28
    .language:       OpenCL C
    .language_version:
      - 2
      - 0
    .max_flat_workgroup_size: 256
    .name:           _Z6kernelI27subtract_right_partial_tileLj256ELj1ELb1EJPxPiS1_jEEvDpT3_
    .private_segment_fixed_size: 0
    .sgpr_count:     13
    .sgpr_spill_count: 0
    .symbol:         _Z6kernelI27subtract_right_partial_tileLj256ELj1ELb1EJPxPiS1_jEEvDpT3_.kd
    .uniform_work_group_size: 1
    .uses_dynamic_stack: false
    .vgpr_count:     7
    .vgpr_spill_count: 0
    .wavefront_size: 32
  - .args:
      - .address_space:  global
        .offset:         0
        .size:           8
        .value_kind:     global_buffer
      - .address_space:  global
        .offset:         8
        .size:           8
        .value_kind:     global_buffer
      - .address_space:  global
        .offset:         16
        .size:           8
        .value_kind:     global_buffer
      - .offset:         24
        .size:           4
        .value_kind:     by_value
    .group_segment_fixed_size: 4096
    .kernarg_segment_align: 8
    .kernarg_segment_size: 28
    .language:       OpenCL C
    .language_version:
      - 2
      - 0
    .max_flat_workgroup_size: 256
    .name:           _Z6kernelI27subtract_right_partial_tileLj256ELj3ELb1EJPxPiS1_jEEvDpT3_
    .private_segment_fixed_size: 0
    .sgpr_count:     15
    .sgpr_spill_count: 0
    .symbol:         _Z6kernelI27subtract_right_partial_tileLj256ELj3ELb1EJPxPiS1_jEEvDpT3_.kd
    .uniform_work_group_size: 1
    .uses_dynamic_stack: false
    .vgpr_count:     18
    .vgpr_spill_count: 0
    .wavefront_size: 32
  - .args:
      - .address_space:  global
        .offset:         0
        .size:           8
        .value_kind:     global_buffer
      - .address_space:  global
        .offset:         8
        .size:           8
        .value_kind:     global_buffer
      - .address_space:  global
        .offset:         16
        .size:           8
        .value_kind:     global_buffer
      - .offset:         24
        .size:           4
        .value_kind:     by_value
    .group_segment_fixed_size: 4096
    .kernarg_segment_align: 8
    .kernarg_segment_size: 28
    .language:       OpenCL C
    .language_version:
      - 2
      - 0
    .max_flat_workgroup_size: 256
    .name:           _Z6kernelI27subtract_right_partial_tileLj256ELj4ELb1EJPxPiS1_jEEvDpT3_
    .private_segment_fixed_size: 0
    .sgpr_count:     15
    .sgpr_spill_count: 0
    .symbol:         _Z6kernelI27subtract_right_partial_tileLj256ELj4ELb1EJPxPiS1_jEEvDpT3_.kd
    .uniform_work_group_size: 1
    .uses_dynamic_stack: false
    .vgpr_count:     22
    .vgpr_spill_count: 0
    .wavefront_size: 32
  - .args:
      - .address_space:  global
        .offset:         0
        .size:           8
        .value_kind:     global_buffer
      - .address_space:  global
        .offset:         8
        .size:           8
        .value_kind:     global_buffer
      - .address_space:  global
        .offset:         16
        .size:           8
        .value_kind:     global_buffer
      - .offset:         24
        .size:           4
        .value_kind:     by_value
    .group_segment_fixed_size: 4096
    .kernarg_segment_align: 8
    .kernarg_segment_size: 28
    .language:       OpenCL C
    .language_version:
      - 2
      - 0
    .max_flat_workgroup_size: 256
    .name:           _Z6kernelI27subtract_right_partial_tileLj256ELj8ELb1EJPxPiS1_jEEvDpT3_
    .private_segment_fixed_size: 0
    .sgpr_count:     13
    .sgpr_spill_count: 0
    .symbol:         _Z6kernelI27subtract_right_partial_tileLj256ELj8ELb1EJPxPiS1_jEEvDpT3_.kd
    .uniform_work_group_size: 1
    .uses_dynamic_stack: false
    .vgpr_count:     42
    .vgpr_spill_count: 0
    .wavefront_size: 32
  - .args:
      - .address_space:  global
        .offset:         0
        .size:           8
        .value_kind:     global_buffer
      - .address_space:  global
        .offset:         8
        .size:           8
        .value_kind:     global_buffer
      - .address_space:  global
        .offset:         16
        .size:           8
        .value_kind:     global_buffer
      - .offset:         24
        .size:           4
        .value_kind:     by_value
    .group_segment_fixed_size: 4096
    .kernarg_segment_align: 8
    .kernarg_segment_size: 28
    .language:       OpenCL C
    .language_version:
      - 2
      - 0
    .max_flat_workgroup_size: 256
    .name:           _Z6kernelI27subtract_right_partial_tileLj256ELj16ELb1EJPxPiS1_jEEvDpT3_
    .private_segment_fixed_size: 0
    .sgpr_count:     15
    .sgpr_spill_count: 0
    .symbol:         _Z6kernelI27subtract_right_partial_tileLj256ELj16ELb1EJPxPiS1_jEEvDpT3_.kd
    .uniform_work_group_size: 1
    .uses_dynamic_stack: false
    .vgpr_count:     62
    .vgpr_spill_count: 0
    .wavefront_size: 32
  - .args:
      - .address_space:  global
        .offset:         0
        .size:           8
        .value_kind:     global_buffer
      - .address_space:  global
        .offset:         8
        .size:           8
        .value_kind:     global_buffer
      - .address_space:  global
        .offset:         16
        .size:           8
        .value_kind:     global_buffer
      - .offset:         24
        .size:           4
        .value_kind:     by_value
    .group_segment_fixed_size: 4096
    .kernarg_segment_align: 8
    .kernarg_segment_size: 28
    .language:       OpenCL C
    .language_version:
      - 2
      - 0
    .max_flat_workgroup_size: 256
    .name:           _Z6kernelI27subtract_right_partial_tileLj256ELj32ELb1EJPxPiS1_jEEvDpT3_
    .private_segment_fixed_size: 0
    .sgpr_count:     15
    .sgpr_spill_count: 0
    .symbol:         _Z6kernelI27subtract_right_partial_tileLj256ELj32ELb1EJPxPiS1_jEEvDpT3_.kd
    .uniform_work_group_size: 1
    .uses_dynamic_stack: false
    .vgpr_count:     110
    .vgpr_spill_count: 0
    .wavefront_size: 32
  - .args:
      - .address_space:  global
        .offset:         0
        .size:           8
        .value_kind:     global_buffer
      - .address_space:  global
        .offset:         8
        .size:           8
        .value_kind:     global_buffer
      - .address_space:  global
        .offset:         16
        .size:           8
        .value_kind:     global_buffer
      - .offset:         24
        .size:           4
        .value_kind:     by_value
    .group_segment_fixed_size: 4096
    .kernarg_segment_align: 8
    .kernarg_segment_size: 28
    .language:       OpenCL C
    .language_version:
      - 2
      - 0
    .max_flat_workgroup_size: 256
    .name:           _Z6kernelI27subtract_right_partial_tileLj256ELj1ELb1EJPdPiS1_jEEvDpT3_
    .private_segment_fixed_size: 0
    .sgpr_count:     13
    .sgpr_spill_count: 0
    .symbol:         _Z6kernelI27subtract_right_partial_tileLj256ELj1ELb1EJPdPiS1_jEEvDpT3_.kd
    .uniform_work_group_size: 1
    .uses_dynamic_stack: false
    .vgpr_count:     7
    .vgpr_spill_count: 0
    .wavefront_size: 32
  - .args:
      - .address_space:  global
        .offset:         0
        .size:           8
        .value_kind:     global_buffer
      - .address_space:  global
        .offset:         8
        .size:           8
        .value_kind:     global_buffer
      - .address_space:  global
        .offset:         16
        .size:           8
        .value_kind:     global_buffer
      - .offset:         24
        .size:           4
        .value_kind:     by_value
    .group_segment_fixed_size: 4096
    .kernarg_segment_align: 8
    .kernarg_segment_size: 28
    .language:       OpenCL C
    .language_version:
      - 2
      - 0
    .max_flat_workgroup_size: 256
    .name:           _Z6kernelI27subtract_right_partial_tileLj256ELj3ELb1EJPdPiS1_jEEvDpT3_
    .private_segment_fixed_size: 0
    .sgpr_count:     15
    .sgpr_spill_count: 0
    .symbol:         _Z6kernelI27subtract_right_partial_tileLj256ELj3ELb1EJPdPiS1_jEEvDpT3_.kd
    .uniform_work_group_size: 1
    .uses_dynamic_stack: false
    .vgpr_count:     18
    .vgpr_spill_count: 0
    .wavefront_size: 32
  - .args:
      - .address_space:  global
        .offset:         0
        .size:           8
        .value_kind:     global_buffer
      - .address_space:  global
        .offset:         8
        .size:           8
        .value_kind:     global_buffer
      - .address_space:  global
        .offset:         16
        .size:           8
        .value_kind:     global_buffer
      - .offset:         24
        .size:           4
        .value_kind:     by_value
    .group_segment_fixed_size: 4096
    .kernarg_segment_align: 8
    .kernarg_segment_size: 28
    .language:       OpenCL C
    .language_version:
      - 2
      - 0
    .max_flat_workgroup_size: 256
    .name:           _Z6kernelI27subtract_right_partial_tileLj256ELj4ELb1EJPdPiS1_jEEvDpT3_
    .private_segment_fixed_size: 0
    .sgpr_count:     15
    .sgpr_spill_count: 0
    .symbol:         _Z6kernelI27subtract_right_partial_tileLj256ELj4ELb1EJPdPiS1_jEEvDpT3_.kd
    .uniform_work_group_size: 1
    .uses_dynamic_stack: false
    .vgpr_count:     22
    .vgpr_spill_count: 0
    .wavefront_size: 32
  - .args:
      - .address_space:  global
        .offset:         0
        .size:           8
        .value_kind:     global_buffer
      - .address_space:  global
        .offset:         8
        .size:           8
        .value_kind:     global_buffer
      - .address_space:  global
        .offset:         16
        .size:           8
        .value_kind:     global_buffer
      - .offset:         24
        .size:           4
        .value_kind:     by_value
    .group_segment_fixed_size: 4096
    .kernarg_segment_align: 8
    .kernarg_segment_size: 28
    .language:       OpenCL C
    .language_version:
      - 2
      - 0
    .max_flat_workgroup_size: 256
    .name:           _Z6kernelI27subtract_right_partial_tileLj256ELj8ELb1EJPdPiS1_jEEvDpT3_
    .private_segment_fixed_size: 0
    .sgpr_count:     16
    .sgpr_spill_count: 0
    .symbol:         _Z6kernelI27subtract_right_partial_tileLj256ELj8ELb1EJPdPiS1_jEEvDpT3_.kd
    .uniform_work_group_size: 1
    .uses_dynamic_stack: false
    .vgpr_count:     42
    .vgpr_spill_count: 0
    .wavefront_size: 32
  - .args:
      - .address_space:  global
        .offset:         0
        .size:           8
        .value_kind:     global_buffer
      - .address_space:  global
        .offset:         8
        .size:           8
        .value_kind:     global_buffer
      - .address_space:  global
        .offset:         16
        .size:           8
        .value_kind:     global_buffer
      - .offset:         24
        .size:           4
        .value_kind:     by_value
    .group_segment_fixed_size: 4096
    .kernarg_segment_align: 8
    .kernarg_segment_size: 28
    .language:       OpenCL C
    .language_version:
      - 2
      - 0
    .max_flat_workgroup_size: 256
    .name:           _Z6kernelI27subtract_right_partial_tileLj256ELj16ELb1EJPdPiS1_jEEvDpT3_
    .private_segment_fixed_size: 0
    .sgpr_count:     17
    .sgpr_spill_count: 0
    .symbol:         _Z6kernelI27subtract_right_partial_tileLj256ELj16ELb1EJPdPiS1_jEEvDpT3_.kd
    .uniform_work_group_size: 1
    .uses_dynamic_stack: false
    .vgpr_count:     82
    .vgpr_spill_count: 0
    .wavefront_size: 32
  - .args:
      - .address_space:  global
        .offset:         0
        .size:           8
        .value_kind:     global_buffer
      - .address_space:  global
        .offset:         8
        .size:           8
        .value_kind:     global_buffer
      - .address_space:  global
        .offset:         16
        .size:           8
        .value_kind:     global_buffer
      - .offset:         24
        .size:           4
        .value_kind:     by_value
    .group_segment_fixed_size: 4096
    .kernarg_segment_align: 8
    .kernarg_segment_size: 28
    .language:       OpenCL C
    .language_version:
      - 2
      - 0
    .max_flat_workgroup_size: 256
    .name:           _Z6kernelI27subtract_right_partial_tileLj256ELj32ELb1EJPdPiS1_jEEvDpT3_
    .private_segment_fixed_size: 0
    .sgpr_count:     16
    .sgpr_spill_count: 0
    .symbol:         _Z6kernelI27subtract_right_partial_tileLj256ELj32ELb1EJPdPiS1_jEEvDpT3_.kd
    .uniform_work_group_size: 1
    .uses_dynamic_stack: false
    .vgpr_count:     162
    .vgpr_spill_count: 0
    .wavefront_size: 32
amdhsa.target:   amdgcn-amd-amdhsa--gfx1250
amdhsa.version:
  - 1
  - 2
...

	.end_amdgpu_metadata
